;; amdgpu-corpus repo=ROCm/rccl kind=compiled arch=gfx906 opt=O3
	.amdgcn_target "amdgcn-amd-amdhsa--gfx906"
	.amdhsa_code_object_version 6
	.text
	.p2align	2                               ; -- Begin function __ockl_fprintf_append_string_n
	.type	__ockl_fprintf_append_string_n,@function
__ockl_fprintf_append_string_n:         ; @__ockl_fprintf_append_string_n
; %bb.0:
	s_waitcnt vmcnt(0) expcnt(0) lgkmcnt(0)
	v_or_b32_e32 v2, 2, v0
	v_cmp_eq_u32_e32 vcc, 0, v6
	s_getpc_b64 s[4:5]
	s_add_u32 s4, s4, .str.3@rel32@lo+4
	s_addc_u32 s5, s5, .str.3@rel32@hi+12
	s_mov_b32 s20, 0
	v_cndmask_b32_e32 v36, v2, v0, vcc
	s_mov_b64 s[6:7], 0
	s_cmp_lg_u64 s[4:5], 0
	v_mbcnt_lo_u32_b32 v37, -1, 0
	s_cbranch_scc0 .LBB0_112
; %bb.1:
	s_load_dwordx2 s[10:11], s[8:9], 0x50
	s_getpc_b64 s[4:5]
	s_add_u32 s4, s4, .str.3@rel32@lo+4
	s_addc_u32 s5, s5, .str.3@rel32@hi+12
	v_and_b32_e32 v0, -3, v36
	v_mov_b32_e32 v31, s5
	v_mov_b32_e32 v11, v1
	v_and_b32_e32 v38, 2, v36
	v_mov_b32_e32 v3, 0
	v_mbcnt_hi_u32_b32 v39, -1, v37
	v_mov_b32_e32 v30, s4
	s_movk_i32 s21, 0x1e0
	v_mov_b32_e32 v8, 2
	v_mov_b32_e32 v9, 1
	;; [unrolled: 1-line block ×3, first 2 shown]
	s_branch .LBB0_3
.LBB0_2:                                ;   in Loop: Header=BB0_3 Depth=1
	s_or_b64 exec, exec, s[14:15]
	v_sub_co_u32_e32 v4, vcc, v4, v32
	v_subb_co_u32_e32 v5, vcc, v5, v33, vcc
	v_cmp_eq_u64_e32 vcc, 0, v[4:5]
	s_or_b64 s[6:7], vcc, s[6:7]
	v_add_co_u32_e32 v30, vcc, v30, v32
	v_addc_co_u32_e32 v31, vcc, v31, v33, vcc
	s_andn2_b64 exec, exec, s[6:7]
	s_cbranch_execz .LBB0_85
.LBB0_3:                                ; =>This Loop Header: Depth=1
                                        ;     Child Loop BB0_6 Depth 2
                                        ;     Child Loop BB0_14 Depth 2
	;; [unrolled: 1-line block ×11, first 2 shown]
	v_cmp_gt_u64_e32 vcc, 56, v[4:5]
	v_add_co_u32_e64 v16, s[4:5], 8, v30
	v_cndmask_b32_e32 v33, 0, v5, vcc
	v_cndmask_b32_e32 v32, 56, v4, vcc
	v_cmp_gt_u64_e32 vcc, 8, v[4:5]
	v_addc_co_u32_e64 v17, s[4:5], 0, v31, s[4:5]
	s_and_saveexec_b64 s[4:5], vcc
	s_xor_b64 s[4:5], exec, s[4:5]
	s_cbranch_execz .LBB0_9
; %bb.4:                                ;   in Loop: Header=BB0_3 Depth=1
	s_waitcnt vmcnt(0)
	v_mov_b32_e32 v12, 0
	v_cmp_ne_u64_e32 vcc, 0, v[4:5]
	v_mov_b32_e32 v13, 0
	s_and_saveexec_b64 s[12:13], vcc
	s_cbranch_execz .LBB0_8
; %bb.5:                                ;   in Loop: Header=BB0_3 Depth=1
	v_lshlrev_b64 v[6:7], 3, v[32:33]
	v_mov_b32_e32 v12, 0
	v_mov_b32_e32 v14, v30
	s_mov_b64 s[14:15], 0
	v_mov_b32_e32 v13, 0
	v_mov_b32_e32 v15, v31
	s_mov_b64 s[16:17], 0
.LBB0_6:                                ;   Parent Loop BB0_3 Depth=1
                                        ; =>  This Inner Loop Header: Depth=2
	global_load_ubyte v0, v[14:15], off
	v_mov_b32_e32 v17, s20
	v_add_co_u32_e32 v14, vcc, 1, v14
	v_addc_co_u32_e32 v15, vcc, 0, v15, vcc
	s_waitcnt vmcnt(0)
	v_and_b32_e32 v16, 0xffff, v0
	v_lshlrev_b64 v[16:17], s16, v[16:17]
	s_add_u32 s16, s16, 8
	s_addc_u32 s17, s17, 0
	v_cmp_eq_u32_e32 vcc, s16, v6
	v_or_b32_e32 v13, v17, v13
	s_or_b64 s[14:15], vcc, s[14:15]
	v_or_b32_e32 v12, v16, v12
	s_andn2_b64 exec, exec, s[14:15]
	s_cbranch_execnz .LBB0_6
; %bb.7:                                ;   in Loop: Header=BB0_3 Depth=1
	s_or_b64 exec, exec, s[14:15]
.LBB0_8:                                ;   in Loop: Header=BB0_3 Depth=1
	s_or_b64 exec, exec, s[12:13]
	v_mov_b32_e32 v16, v30
	v_mov_b32_e32 v17, v31
.LBB0_9:                                ;   in Loop: Header=BB0_3 Depth=1
	s_or_saveexec_b64 s[4:5], s[4:5]
	v_mov_b32_e32 v0, 0
	s_xor_b64 exec, exec, s[4:5]
	s_cbranch_execz .LBB0_11
; %bb.10:                               ;   in Loop: Header=BB0_3 Depth=1
	global_load_dwordx2 v[12:13], v[30:31], off
	v_add_u32_e32 v0, -8, v32
.LBB0_11:                               ;   in Loop: Header=BB0_3 Depth=1
	s_or_b64 exec, exec, s[4:5]
	v_add_co_u32_e64 v6, s[4:5], 8, v16
	v_cmp_gt_u32_e32 vcc, 8, v0
	v_addc_co_u32_e64 v7, s[4:5], 0, v17, s[4:5]
                                        ; implicit-def: $vgpr14_vgpr15
	s_and_saveexec_b64 s[4:5], vcc
	s_xor_b64 s[4:5], exec, s[4:5]
	s_cbranch_execz .LBB0_17
; %bb.12:                               ;   in Loop: Header=BB0_3 Depth=1
	v_mov_b32_e32 v14, 0
	v_mov_b32_e32 v15, 0
	v_cmp_ne_u32_e32 vcc, 0, v0
	s_and_saveexec_b64 s[12:13], vcc
	s_cbranch_execz .LBB0_16
; %bb.13:                               ;   in Loop: Header=BB0_3 Depth=1
	v_mov_b32_e32 v14, 0
	s_mov_b64 s[14:15], 0
	v_mov_b32_e32 v15, 0
	s_mov_b64 s[16:17], 0
	s_mov_b64 s[18:19], 0
.LBB0_14:                               ;   Parent Loop BB0_3 Depth=1
                                        ; =>  This Inner Loop Header: Depth=2
	v_mov_b32_e32 v2, s19
	v_add_co_u32_e32 v6, vcc, s18, v16
	v_addc_co_u32_e32 v7, vcc, v17, v2, vcc
	global_load_ubyte v2, v[6:7], off
	s_add_u32 s18, s18, 1
	v_mov_b32_e32 v7, s20
	s_addc_u32 s19, s19, 0
	v_cmp_eq_u32_e32 vcc, s18, v0
	s_waitcnt vmcnt(0)
	v_and_b32_e32 v6, 0xffff, v2
	v_lshlrev_b64 v[6:7], s16, v[6:7]
	s_add_u32 s16, s16, 8
	s_addc_u32 s17, s17, 0
	v_or_b32_e32 v15, v7, v15
	s_or_b64 s[14:15], vcc, s[14:15]
	v_or_b32_e32 v14, v6, v14
	s_andn2_b64 exec, exec, s[14:15]
	s_cbranch_execnz .LBB0_14
; %bb.15:                               ;   in Loop: Header=BB0_3 Depth=1
	s_or_b64 exec, exec, s[14:15]
.LBB0_16:                               ;   in Loop: Header=BB0_3 Depth=1
	s_or_b64 exec, exec, s[12:13]
	v_mov_b32_e32 v6, v16
	v_mov_b32_e32 v7, v17
                                        ; implicit-def: $vgpr0
.LBB0_17:                               ;   in Loop: Header=BB0_3 Depth=1
	s_or_saveexec_b64 s[4:5], s[4:5]
	v_mov_b32_e32 v2, 0
	s_xor_b64 exec, exec, s[4:5]
	s_cbranch_execz .LBB0_19
; %bb.18:                               ;   in Loop: Header=BB0_3 Depth=1
	global_load_dwordx2 v[14:15], v[16:17], off
	v_add_u32_e32 v2, -8, v0
.LBB0_19:                               ;   in Loop: Header=BB0_3 Depth=1
	s_or_b64 exec, exec, s[4:5]
	v_add_co_u32_e64 v20, s[4:5], 8, v6
	v_cmp_gt_u32_e32 vcc, 8, v2
	v_addc_co_u32_e64 v21, s[4:5], 0, v7, s[4:5]
	s_and_saveexec_b64 s[4:5], vcc
	s_xor_b64 s[4:5], exec, s[4:5]
	s_cbranch_execz .LBB0_25
; %bb.20:                               ;   in Loop: Header=BB0_3 Depth=1
	v_mov_b32_e32 v16, 0
	v_mov_b32_e32 v17, 0
	v_cmp_ne_u32_e32 vcc, 0, v2
	s_and_saveexec_b64 s[12:13], vcc
	s_cbranch_execz .LBB0_24
; %bb.21:                               ;   in Loop: Header=BB0_3 Depth=1
	v_mov_b32_e32 v16, 0
	s_mov_b64 s[14:15], 0
	v_mov_b32_e32 v17, 0
	s_mov_b64 s[16:17], 0
	s_mov_b64 s[18:19], 0
.LBB0_22:                               ;   Parent Loop BB0_3 Depth=1
                                        ; =>  This Inner Loop Header: Depth=2
	v_mov_b32_e32 v0, s19
	v_add_co_u32_e32 v18, vcc, s18, v6
	v_addc_co_u32_e32 v19, vcc, v7, v0, vcc
	global_load_ubyte v0, v[18:19], off
	s_add_u32 s18, s18, 1
	v_mov_b32_e32 v19, s20
	s_addc_u32 s19, s19, 0
	v_cmp_eq_u32_e32 vcc, s18, v2
	s_waitcnt vmcnt(0)
	v_and_b32_e32 v18, 0xffff, v0
	v_lshlrev_b64 v[18:19], s16, v[18:19]
	s_add_u32 s16, s16, 8
	s_addc_u32 s17, s17, 0
	v_or_b32_e32 v17, v19, v17
	s_or_b64 s[14:15], vcc, s[14:15]
	v_or_b32_e32 v16, v18, v16
	s_andn2_b64 exec, exec, s[14:15]
	s_cbranch_execnz .LBB0_22
; %bb.23:                               ;   in Loop: Header=BB0_3 Depth=1
	s_or_b64 exec, exec, s[14:15]
.LBB0_24:                               ;   in Loop: Header=BB0_3 Depth=1
	s_or_b64 exec, exec, s[12:13]
	v_mov_b32_e32 v21, v7
	v_mov_b32_e32 v20, v6
                                        ; implicit-def: $vgpr2
.LBB0_25:                               ;   in Loop: Header=BB0_3 Depth=1
	s_or_saveexec_b64 s[4:5], s[4:5]
	v_mov_b32_e32 v0, 0
	s_xor_b64 exec, exec, s[4:5]
	s_cbranch_execz .LBB0_27
; %bb.26:                               ;   in Loop: Header=BB0_3 Depth=1
	global_load_dwordx2 v[16:17], v[6:7], off
	v_add_u32_e32 v0, -8, v2
.LBB0_27:                               ;   in Loop: Header=BB0_3 Depth=1
	s_or_b64 exec, exec, s[4:5]
	v_add_co_u32_e64 v6, s[4:5], 8, v20
	v_cmp_gt_u32_e32 vcc, 8, v0
	v_addc_co_u32_e64 v7, s[4:5], 0, v21, s[4:5]
                                        ; implicit-def: $vgpr18_vgpr19
	s_and_saveexec_b64 s[4:5], vcc
	s_xor_b64 s[4:5], exec, s[4:5]
	s_cbranch_execz .LBB0_33
; %bb.28:                               ;   in Loop: Header=BB0_3 Depth=1
	v_mov_b32_e32 v18, 0
	v_mov_b32_e32 v19, 0
	v_cmp_ne_u32_e32 vcc, 0, v0
	s_and_saveexec_b64 s[12:13], vcc
	s_cbranch_execz .LBB0_32
; %bb.29:                               ;   in Loop: Header=BB0_3 Depth=1
	v_mov_b32_e32 v18, 0
	s_mov_b64 s[14:15], 0
	v_mov_b32_e32 v19, 0
	s_mov_b64 s[16:17], 0
	s_mov_b64 s[18:19], 0
.LBB0_30:                               ;   Parent Loop BB0_3 Depth=1
                                        ; =>  This Inner Loop Header: Depth=2
	v_mov_b32_e32 v2, s19
	v_add_co_u32_e32 v6, vcc, s18, v20
	v_addc_co_u32_e32 v7, vcc, v21, v2, vcc
	global_load_ubyte v2, v[6:7], off
	s_add_u32 s18, s18, 1
	v_mov_b32_e32 v7, s20
	s_addc_u32 s19, s19, 0
	v_cmp_eq_u32_e32 vcc, s18, v0
	s_waitcnt vmcnt(0)
	v_and_b32_e32 v6, 0xffff, v2
	v_lshlrev_b64 v[6:7], s16, v[6:7]
	s_add_u32 s16, s16, 8
	s_addc_u32 s17, s17, 0
	v_or_b32_e32 v19, v7, v19
	s_or_b64 s[14:15], vcc, s[14:15]
	v_or_b32_e32 v18, v6, v18
	s_andn2_b64 exec, exec, s[14:15]
	s_cbranch_execnz .LBB0_30
; %bb.31:                               ;   in Loop: Header=BB0_3 Depth=1
	s_or_b64 exec, exec, s[14:15]
.LBB0_32:                               ;   in Loop: Header=BB0_3 Depth=1
	s_or_b64 exec, exec, s[12:13]
	v_mov_b32_e32 v6, v20
	v_mov_b32_e32 v7, v21
                                        ; implicit-def: $vgpr0
.LBB0_33:                               ;   in Loop: Header=BB0_3 Depth=1
	s_or_saveexec_b64 s[4:5], s[4:5]
	v_mov_b32_e32 v2, 0
	s_xor_b64 exec, exec, s[4:5]
	s_cbranch_execz .LBB0_35
; %bb.34:                               ;   in Loop: Header=BB0_3 Depth=1
	global_load_dwordx2 v[18:19], v[20:21], off
	v_add_u32_e32 v2, -8, v0
.LBB0_35:                               ;   in Loop: Header=BB0_3 Depth=1
	s_or_b64 exec, exec, s[4:5]
	v_add_co_u32_e64 v24, s[4:5], 8, v6
	v_cmp_gt_u32_e32 vcc, 8, v2
	v_addc_co_u32_e64 v25, s[4:5], 0, v7, s[4:5]
	s_and_saveexec_b64 s[4:5], vcc
	s_xor_b64 s[4:5], exec, s[4:5]
	s_cbranch_execz .LBB0_41
; %bb.36:                               ;   in Loop: Header=BB0_3 Depth=1
	v_mov_b32_e32 v20, 0
	v_mov_b32_e32 v21, 0
	v_cmp_ne_u32_e32 vcc, 0, v2
	s_and_saveexec_b64 s[12:13], vcc
	s_cbranch_execz .LBB0_40
; %bb.37:                               ;   in Loop: Header=BB0_3 Depth=1
	v_mov_b32_e32 v20, 0
	s_mov_b64 s[14:15], 0
	v_mov_b32_e32 v21, 0
	s_mov_b64 s[16:17], 0
	s_mov_b64 s[18:19], 0
.LBB0_38:                               ;   Parent Loop BB0_3 Depth=1
                                        ; =>  This Inner Loop Header: Depth=2
	v_mov_b32_e32 v0, s19
	v_add_co_u32_e32 v22, vcc, s18, v6
	v_addc_co_u32_e32 v23, vcc, v7, v0, vcc
	global_load_ubyte v0, v[22:23], off
	s_add_u32 s18, s18, 1
	v_mov_b32_e32 v23, s20
	s_addc_u32 s19, s19, 0
	v_cmp_eq_u32_e32 vcc, s18, v2
	s_waitcnt vmcnt(0)
	v_and_b32_e32 v22, 0xffff, v0
	v_lshlrev_b64 v[22:23], s16, v[22:23]
	s_add_u32 s16, s16, 8
	s_addc_u32 s17, s17, 0
	v_or_b32_e32 v21, v23, v21
	s_or_b64 s[14:15], vcc, s[14:15]
	v_or_b32_e32 v20, v22, v20
	s_andn2_b64 exec, exec, s[14:15]
	s_cbranch_execnz .LBB0_38
; %bb.39:                               ;   in Loop: Header=BB0_3 Depth=1
	s_or_b64 exec, exec, s[14:15]
.LBB0_40:                               ;   in Loop: Header=BB0_3 Depth=1
	s_or_b64 exec, exec, s[12:13]
	v_mov_b32_e32 v25, v7
	v_mov_b32_e32 v24, v6
                                        ; implicit-def: $vgpr2
.LBB0_41:                               ;   in Loop: Header=BB0_3 Depth=1
	s_or_saveexec_b64 s[4:5], s[4:5]
	v_mov_b32_e32 v0, 0
	s_xor_b64 exec, exec, s[4:5]
	s_cbranch_execz .LBB0_43
; %bb.42:                               ;   in Loop: Header=BB0_3 Depth=1
	global_load_dwordx2 v[20:21], v[6:7], off
	v_add_u32_e32 v0, -8, v2
.LBB0_43:                               ;   in Loop: Header=BB0_3 Depth=1
	s_or_b64 exec, exec, s[4:5]
	v_add_co_u32_e64 v6, s[4:5], 8, v24
	v_cmp_gt_u32_e32 vcc, 8, v0
	v_addc_co_u32_e64 v7, s[4:5], 0, v25, s[4:5]
                                        ; implicit-def: $vgpr22_vgpr23
	s_and_saveexec_b64 s[4:5], vcc
	s_xor_b64 s[4:5], exec, s[4:5]
	s_cbranch_execz .LBB0_49
; %bb.44:                               ;   in Loop: Header=BB0_3 Depth=1
	v_mov_b32_e32 v22, 0
	v_mov_b32_e32 v23, 0
	v_cmp_ne_u32_e32 vcc, 0, v0
	s_and_saveexec_b64 s[12:13], vcc
	s_cbranch_execz .LBB0_48
; %bb.45:                               ;   in Loop: Header=BB0_3 Depth=1
	v_mov_b32_e32 v22, 0
	s_mov_b64 s[14:15], 0
	v_mov_b32_e32 v23, 0
	s_mov_b64 s[16:17], 0
	s_mov_b64 s[18:19], 0
.LBB0_46:                               ;   Parent Loop BB0_3 Depth=1
                                        ; =>  This Inner Loop Header: Depth=2
	v_mov_b32_e32 v2, s19
	v_add_co_u32_e32 v6, vcc, s18, v24
	v_addc_co_u32_e32 v7, vcc, v25, v2, vcc
	global_load_ubyte v2, v[6:7], off
	s_add_u32 s18, s18, 1
	v_mov_b32_e32 v7, s20
	s_addc_u32 s19, s19, 0
	v_cmp_eq_u32_e32 vcc, s18, v0
	s_waitcnt vmcnt(0)
	v_and_b32_e32 v6, 0xffff, v2
	v_lshlrev_b64 v[6:7], s16, v[6:7]
	s_add_u32 s16, s16, 8
	s_addc_u32 s17, s17, 0
	v_or_b32_e32 v23, v7, v23
	s_or_b64 s[14:15], vcc, s[14:15]
	v_or_b32_e32 v22, v6, v22
	s_andn2_b64 exec, exec, s[14:15]
	s_cbranch_execnz .LBB0_46
; %bb.47:                               ;   in Loop: Header=BB0_3 Depth=1
	s_or_b64 exec, exec, s[14:15]
.LBB0_48:                               ;   in Loop: Header=BB0_3 Depth=1
	s_or_b64 exec, exec, s[12:13]
	v_mov_b32_e32 v6, v24
	v_mov_b32_e32 v7, v25
                                        ; implicit-def: $vgpr0
.LBB0_49:                               ;   in Loop: Header=BB0_3 Depth=1
	s_or_saveexec_b64 s[4:5], s[4:5]
	v_mov_b32_e32 v2, 0
	s_xor_b64 exec, exec, s[4:5]
	s_cbranch_execz .LBB0_51
; %bb.50:                               ;   in Loop: Header=BB0_3 Depth=1
	global_load_dwordx2 v[22:23], v[24:25], off
	v_add_u32_e32 v2, -8, v0
.LBB0_51:                               ;   in Loop: Header=BB0_3 Depth=1
	s_or_b64 exec, exec, s[4:5]
	v_cmp_gt_u32_e32 vcc, 8, v2
	s_and_saveexec_b64 s[4:5], vcc
	s_xor_b64 s[4:5], exec, s[4:5]
	s_cbranch_execz .LBB0_57
; %bb.52:                               ;   in Loop: Header=BB0_3 Depth=1
	v_mov_b32_e32 v24, 0
	v_mov_b32_e32 v25, 0
	v_cmp_ne_u32_e32 vcc, 0, v2
	s_and_saveexec_b64 s[12:13], vcc
	s_cbranch_execz .LBB0_56
; %bb.53:                               ;   in Loop: Header=BB0_3 Depth=1
	v_mov_b32_e32 v24, 0
	s_mov_b64 s[14:15], 0
	v_mov_b32_e32 v25, 0
	s_mov_b64 s[16:17], 0
.LBB0_54:                               ;   Parent Loop BB0_3 Depth=1
                                        ; =>  This Inner Loop Header: Depth=2
	global_load_ubyte v0, v[6:7], off
	v_mov_b32_e32 v27, s20
	v_add_co_u32_e32 v6, vcc, 1, v6
	v_add_u32_e32 v2, -1, v2
	v_addc_co_u32_e32 v7, vcc, 0, v7, vcc
	v_cmp_eq_u32_e32 vcc, 0, v2
	s_waitcnt vmcnt(0)
	v_and_b32_e32 v26, 0xffff, v0
	v_lshlrev_b64 v[26:27], s16, v[26:27]
	s_add_u32 s16, s16, 8
	s_addc_u32 s17, s17, 0
	v_or_b32_e32 v25, v27, v25
	s_or_b64 s[14:15], vcc, s[14:15]
	v_or_b32_e32 v24, v26, v24
	s_andn2_b64 exec, exec, s[14:15]
	s_cbranch_execnz .LBB0_54
; %bb.55:                               ;   in Loop: Header=BB0_3 Depth=1
	s_or_b64 exec, exec, s[14:15]
.LBB0_56:                               ;   in Loop: Header=BB0_3 Depth=1
	s_or_b64 exec, exec, s[12:13]
                                        ; implicit-def: $vgpr6_vgpr7
.LBB0_57:                               ;   in Loop: Header=BB0_3 Depth=1
	s_andn2_saveexec_b64 s[4:5], s[4:5]
	s_cbranch_execz .LBB0_59
; %bb.58:                               ;   in Loop: Header=BB0_3 Depth=1
	global_load_dwordx2 v[24:25], v[6:7], off
.LBB0_59:                               ;   in Loop: Header=BB0_3 Depth=1
	s_or_b64 exec, exec, s[4:5]
	v_readfirstlane_b32 s4, v39
	v_mov_b32_e32 v6, 0
	v_mov_b32_e32 v7, 0
	v_cmp_eq_u32_e64 s[4:5], s4, v39
	s_and_saveexec_b64 s[12:13], s[4:5]
	s_cbranch_execz .LBB0_65
; %bb.60:                               ;   in Loop: Header=BB0_3 Depth=1
	s_waitcnt lgkmcnt(0)
	global_load_dwordx2 v[28:29], v3, s[10:11] offset:24 glc
	s_waitcnt vmcnt(0)
	buffer_wbinvl1_vol
	global_load_dwordx2 v[6:7], v3, s[10:11] offset:40
	global_load_dwordx2 v[26:27], v3, s[10:11]
	s_waitcnt vmcnt(1)
	v_and_b32_e32 v0, v6, v28
	v_and_b32_e32 v2, v7, v29
	v_mul_lo_u32 v2, v2, 24
	v_mul_hi_u32 v6, v0, 24
	v_mul_lo_u32 v0, v0, 24
	v_add_u32_e32 v2, v6, v2
	s_waitcnt vmcnt(0)
	v_add_co_u32_e32 v6, vcc, v26, v0
	v_addc_co_u32_e32 v7, vcc, v27, v2, vcc
	global_load_dwordx2 v[26:27], v[6:7], off glc
	s_waitcnt vmcnt(0)
	global_atomic_cmpswap_x2 v[6:7], v3, v[26:29], s[10:11] offset:24 glc
	s_waitcnt vmcnt(0)
	buffer_wbinvl1_vol
	v_cmp_ne_u64_e32 vcc, v[6:7], v[28:29]
	s_and_saveexec_b64 s[14:15], vcc
	s_cbranch_execz .LBB0_64
; %bb.61:                               ;   in Loop: Header=BB0_3 Depth=1
	s_mov_b64 s[16:17], 0
.LBB0_62:                               ;   Parent Loop BB0_3 Depth=1
                                        ; =>  This Inner Loop Header: Depth=2
	s_sleep 1
	global_load_dwordx2 v[26:27], v3, s[10:11] offset:40
	global_load_dwordx2 v[34:35], v3, s[10:11]
	v_mov_b32_e32 v29, v7
	v_mov_b32_e32 v28, v6
	s_waitcnt vmcnt(1)
	v_and_b32_e32 v0, v26, v28
	s_waitcnt vmcnt(0)
	v_mad_u64_u32 v[6:7], s[18:19], v0, 24, v[34:35]
	v_and_b32_e32 v2, v27, v29
	v_mov_b32_e32 v0, v7
	v_mad_u64_u32 v[26:27], s[18:19], v2, 24, v[0:1]
	v_mov_b32_e32 v7, v26
	global_load_dwordx2 v[26:27], v[6:7], off glc
	s_waitcnt vmcnt(0)
	global_atomic_cmpswap_x2 v[6:7], v3, v[26:29], s[10:11] offset:24 glc
	s_waitcnt vmcnt(0)
	buffer_wbinvl1_vol
	v_cmp_eq_u64_e32 vcc, v[6:7], v[28:29]
	s_or_b64 s[16:17], vcc, s[16:17]
	s_andn2_b64 exec, exec, s[16:17]
	s_cbranch_execnz .LBB0_62
; %bb.63:                               ;   in Loop: Header=BB0_3 Depth=1
	s_or_b64 exec, exec, s[16:17]
.LBB0_64:                               ;   in Loop: Header=BB0_3 Depth=1
	s_or_b64 exec, exec, s[14:15]
.LBB0_65:                               ;   in Loop: Header=BB0_3 Depth=1
	s_or_b64 exec, exec, s[12:13]
	s_waitcnt lgkmcnt(0)
	global_load_dwordx2 v[34:35], v3, s[10:11] offset:40
	global_load_dwordx4 v[26:29], v3, s[10:11]
	v_readfirstlane_b32 s13, v7
	v_readfirstlane_b32 s12, v6
	s_mov_b64 s[14:15], exec
	s_waitcnt vmcnt(1)
	v_readfirstlane_b32 s16, v34
	v_readfirstlane_b32 s17, v35
	s_and_b64 s[16:17], s[16:17], s[12:13]
	s_mul_i32 s18, s17, 24
	s_mul_hi_u32 s19, s16, 24
	s_mul_i32 s22, s16, 24
	s_add_i32 s18, s19, s18
	v_mov_b32_e32 v0, s18
	s_waitcnt vmcnt(0)
	v_add_co_u32_e32 v34, vcc, s22, v26
	v_addc_co_u32_e32 v35, vcc, v27, v0, vcc
	s_and_saveexec_b64 s[18:19], s[4:5]
	s_cbranch_execz .LBB0_67
; %bb.66:                               ;   in Loop: Header=BB0_3 Depth=1
	v_mov_b32_e32 v6, s14
	v_mov_b32_e32 v7, s15
	global_store_dwordx4 v[34:35], v[6:9], off offset:8
.LBB0_67:                               ;   in Loop: Header=BB0_3 Depth=1
	s_or_b64 exec, exec, s[18:19]
	s_lshl_b64 s[14:15], s[16:17], 12
	v_mov_b32_e32 v2, s15
	v_add_co_u32_e32 v0, vcc, s14, v28
	v_addc_co_u32_e32 v28, vcc, v29, v2, vcc
	v_cmp_gt_u64_e32 vcc, 57, v[4:5]
	v_and_b32_e32 v7, 0xffffff1f, v10
	v_cndmask_b32_e32 v2, 0, v38, vcc
	v_lshl_add_u32 v6, v32, 2, 28
	v_or_b32_e32 v2, v7, v2
	v_and_or_b32 v10, v6, s21, v2
	v_lshlrev_b32_e32 v29, 6, v39
	v_readfirstlane_b32 s14, v0
	v_readfirstlane_b32 s15, v28
	s_nop 4
	global_store_dwordx4 v29, v[10:13], s[14:15]
	global_store_dwordx4 v29, v[14:17], s[14:15] offset:16
	global_store_dwordx4 v29, v[18:21], s[14:15] offset:32
	;; [unrolled: 1-line block ×3, first 2 shown]
	s_and_saveexec_b64 s[14:15], s[4:5]
	s_cbranch_execz .LBB0_75
; %bb.68:                               ;   in Loop: Header=BB0_3 Depth=1
	global_load_dwordx2 v[14:15], v3, s[10:11] offset:32 glc
	global_load_dwordx2 v[6:7], v3, s[10:11] offset:40
	v_mov_b32_e32 v12, s12
	v_mov_b32_e32 v13, s13
	s_waitcnt vmcnt(0)
	v_readfirstlane_b32 s16, v6
	v_readfirstlane_b32 s17, v7
	s_and_b64 s[16:17], s[16:17], s[12:13]
	s_mul_i32 s17, s17, 24
	s_mul_hi_u32 s18, s16, 24
	s_mul_i32 s16, s16, 24
	s_add_i32 s17, s18, s17
	v_mov_b32_e32 v2, s17
	v_add_co_u32_e32 v6, vcc, s16, v26
	v_addc_co_u32_e32 v7, vcc, v27, v2, vcc
	global_store_dwordx2 v[6:7], v[14:15], off
	s_waitcnt vmcnt(0)
	global_atomic_cmpswap_x2 v[12:13], v3, v[12:15], s[10:11] offset:32 glc
	s_waitcnt vmcnt(0)
	v_cmp_ne_u64_e32 vcc, v[12:13], v[14:15]
	s_and_saveexec_b64 s[16:17], vcc
	s_cbranch_execz .LBB0_71
; %bb.69:                               ;   in Loop: Header=BB0_3 Depth=1
	s_mov_b64 s[18:19], 0
.LBB0_70:                               ;   Parent Loop BB0_3 Depth=1
                                        ; =>  This Inner Loop Header: Depth=2
	s_sleep 1
	global_store_dwordx2 v[6:7], v[12:13], off
	v_mov_b32_e32 v10, s12
	v_mov_b32_e32 v11, s13
	s_waitcnt vmcnt(0)
	global_atomic_cmpswap_x2 v[10:11], v3, v[10:13], s[10:11] offset:32 glc
	s_waitcnt vmcnt(0)
	v_cmp_eq_u64_e32 vcc, v[10:11], v[12:13]
	v_mov_b32_e32 v13, v11
	s_or_b64 s[18:19], vcc, s[18:19]
	v_mov_b32_e32 v12, v10
	s_andn2_b64 exec, exec, s[18:19]
	s_cbranch_execnz .LBB0_70
.LBB0_71:                               ;   in Loop: Header=BB0_3 Depth=1
	s_or_b64 exec, exec, s[16:17]
	global_load_dwordx2 v[6:7], v3, s[10:11] offset:16
	s_mov_b64 s[18:19], exec
	v_mbcnt_lo_u32_b32 v2, s18, 0
	v_mbcnt_hi_u32_b32 v2, s19, v2
	v_cmp_eq_u32_e32 vcc, 0, v2
	s_and_saveexec_b64 s[16:17], vcc
	s_cbranch_execz .LBB0_73
; %bb.72:                               ;   in Loop: Header=BB0_3 Depth=1
	s_bcnt1_i32_b64 s18, s[18:19]
	v_mov_b32_e32 v2, s18
	s_waitcnt vmcnt(0)
	global_atomic_add_x2 v[6:7], v[2:3], off offset:8
.LBB0_73:                               ;   in Loop: Header=BB0_3 Depth=1
	s_or_b64 exec, exec, s[16:17]
	s_waitcnt vmcnt(0)
	global_load_dwordx2 v[10:11], v[6:7], off offset:16
	s_waitcnt vmcnt(0)
	v_cmp_eq_u64_e32 vcc, 0, v[10:11]
	s_cbranch_vccnz .LBB0_75
; %bb.74:                               ;   in Loop: Header=BB0_3 Depth=1
	global_load_dword v2, v[6:7], off offset:24
	s_waitcnt vmcnt(0)
	v_readfirstlane_b32 s16, v2
	s_and_b32 m0, s16, 0xffffff
	global_store_dwordx2 v[10:11], v[2:3], off
	s_sendmsg sendmsg(MSG_INTERRUPT)
.LBB0_75:                               ;   in Loop: Header=BB0_3 Depth=1
	s_or_b64 exec, exec, s[14:15]
	v_add_co_u32_e32 v6, vcc, v0, v29
	v_addc_co_u32_e32 v7, vcc, 0, v28, vcc
	s_branch .LBB0_79
.LBB0_76:                               ;   in Loop: Header=BB0_79 Depth=2
	s_or_b64 exec, exec, s[14:15]
	v_readfirstlane_b32 s14, v0
	s_cmp_eq_u32 s14, 0
	s_cbranch_scc1 .LBB0_78
; %bb.77:                               ;   in Loop: Header=BB0_79 Depth=2
	s_sleep 1
	s_cbranch_execnz .LBB0_79
	s_branch .LBB0_81
.LBB0_78:                               ;   in Loop: Header=BB0_3 Depth=1
	s_branch .LBB0_81
.LBB0_79:                               ;   Parent Loop BB0_3 Depth=1
                                        ; =>  This Inner Loop Header: Depth=2
	v_mov_b32_e32 v0, 1
	s_and_saveexec_b64 s[14:15], s[4:5]
	s_cbranch_execz .LBB0_76
; %bb.80:                               ;   in Loop: Header=BB0_79 Depth=2
	global_load_dword v0, v[34:35], off offset:20 glc
	s_waitcnt vmcnt(0)
	buffer_wbinvl1_vol
	v_and_b32_e32 v0, 1, v0
	s_branch .LBB0_76
.LBB0_81:                               ;   in Loop: Header=BB0_3 Depth=1
	global_load_dwordx4 v[10:13], v[6:7], off
	s_and_saveexec_b64 s[14:15], s[4:5]
	s_cbranch_execz .LBB0_2
; %bb.82:                               ;   in Loop: Header=BB0_3 Depth=1
	global_load_dwordx2 v[6:7], v3, s[10:11] offset:40
	global_load_dwordx2 v[16:17], v3, s[10:11] offset:24 glc
	global_load_dwordx2 v[12:13], v3, s[10:11]
	s_waitcnt vmcnt(2)
	v_readfirstlane_b32 s16, v6
	v_readfirstlane_b32 s17, v7
	s_add_u32 s18, s16, 1
	s_addc_u32 s19, s17, 0
	s_add_u32 s4, s18, s12
	s_addc_u32 s5, s19, s13
	s_cmp_eq_u64 s[4:5], 0
	s_cselect_b32 s5, s19, s5
	s_cselect_b32 s4, s18, s4
	s_and_b64 s[12:13], s[4:5], s[16:17]
	s_mul_i32 s13, s13, 24
	s_mul_hi_u32 s16, s12, 24
	s_mul_i32 s12, s12, 24
	s_add_i32 s13, s16, s13
	v_mov_b32_e32 v0, s13
	s_waitcnt vmcnt(0)
	v_add_co_u32_e32 v6, vcc, s12, v12
	v_addc_co_u32_e32 v7, vcc, v13, v0, vcc
	v_mov_b32_e32 v14, s4
	global_store_dwordx2 v[6:7], v[16:17], off
	v_mov_b32_e32 v15, s5
	s_waitcnt vmcnt(0)
	global_atomic_cmpswap_x2 v[14:15], v3, v[14:17], s[10:11] offset:24 glc
	s_waitcnt vmcnt(0)
	v_cmp_ne_u64_e32 vcc, v[14:15], v[16:17]
	s_and_b64 exec, exec, vcc
	s_cbranch_execz .LBB0_2
; %bb.83:                               ;   in Loop: Header=BB0_3 Depth=1
	s_mov_b64 s[12:13], 0
.LBB0_84:                               ;   Parent Loop BB0_3 Depth=1
                                        ; =>  This Inner Loop Header: Depth=2
	s_sleep 1
	global_store_dwordx2 v[6:7], v[14:15], off
	v_mov_b32_e32 v12, s4
	v_mov_b32_e32 v13, s5
	s_waitcnt vmcnt(0)
	global_atomic_cmpswap_x2 v[12:13], v3, v[12:15], s[10:11] offset:24 glc
	s_waitcnt vmcnt(0)
	v_cmp_eq_u64_e32 vcc, v[12:13], v[14:15]
	v_mov_b32_e32 v15, v13
	s_or_b64 s[12:13], vcc, s[12:13]
	v_mov_b32_e32 v14, v12
	s_andn2_b64 exec, exec, s[12:13]
	s_cbranch_execnz .LBB0_84
	s_branch .LBB0_2
.LBB0_85:
	s_or_b64 exec, exec, s[6:7]
	s_branch .LBB0_113
.LBB0_86:
	s_load_dwordx2 s[6:7], s[8:9], 0x50
	v_mbcnt_hi_u32_b32 v3, -1, v37
	v_readfirstlane_b32 s4, v3
	v_mov_b32_e32 v8, 0
	v_mov_b32_e32 v9, 0
	v_cmp_eq_u32_e64 s[4:5], s4, v3
	s_and_saveexec_b64 s[8:9], s[4:5]
	s_cbranch_execz .LBB0_92
; %bb.87:
	v_mov_b32_e32 v0, 0
	s_waitcnt lgkmcnt(0)
	global_load_dwordx2 v[6:7], v0, s[6:7] offset:24 glc
	s_waitcnt vmcnt(0)
	buffer_wbinvl1_vol
	global_load_dwordx2 v[4:5], v0, s[6:7] offset:40
	global_load_dwordx2 v[8:9], v0, s[6:7]
	s_waitcnt vmcnt(1)
	v_and_b32_e32 v2, v4, v6
	v_and_b32_e32 v4, v5, v7
	v_mul_lo_u32 v4, v4, 24
	v_mul_hi_u32 v5, v2, 24
	v_mul_lo_u32 v2, v2, 24
	v_add_u32_e32 v5, v5, v4
	s_waitcnt vmcnt(0)
	v_add_co_u32_e32 v4, vcc, v8, v2
	v_addc_co_u32_e32 v5, vcc, v9, v5, vcc
	global_load_dwordx2 v[4:5], v[4:5], off glc
	s_waitcnt vmcnt(0)
	global_atomic_cmpswap_x2 v[8:9], v0, v[4:7], s[6:7] offset:24 glc
	s_waitcnt vmcnt(0)
	buffer_wbinvl1_vol
	v_cmp_ne_u64_e32 vcc, v[8:9], v[6:7]
	s_and_saveexec_b64 s[10:11], vcc
	s_cbranch_execz .LBB0_91
; %bb.88:
	s_mov_b64 s[12:13], 0
.LBB0_89:                               ; =>This Inner Loop Header: Depth=1
	s_sleep 1
	global_load_dwordx2 v[4:5], v0, s[6:7] offset:40
	global_load_dwordx2 v[10:11], v0, s[6:7]
	v_mov_b32_e32 v6, v8
	v_mov_b32_e32 v7, v9
	s_waitcnt vmcnt(1)
	v_and_b32_e32 v2, v4, v6
	s_waitcnt vmcnt(0)
	v_mad_u64_u32 v[8:9], s[14:15], v2, 24, v[10:11]
	v_and_b32_e32 v4, v5, v7
	v_mov_b32_e32 v2, v9
	v_mad_u64_u32 v[4:5], s[14:15], v4, 24, v[2:3]
	v_mov_b32_e32 v9, v4
	global_load_dwordx2 v[4:5], v[8:9], off glc
	s_waitcnt vmcnt(0)
	global_atomic_cmpswap_x2 v[8:9], v0, v[4:7], s[6:7] offset:24 glc
	s_waitcnt vmcnt(0)
	buffer_wbinvl1_vol
	v_cmp_eq_u64_e32 vcc, v[8:9], v[6:7]
	s_or_b64 s[12:13], vcc, s[12:13]
	s_andn2_b64 exec, exec, s[12:13]
	s_cbranch_execnz .LBB0_89
; %bb.90:
	s_or_b64 exec, exec, s[12:13]
.LBB0_91:
	s_or_b64 exec, exec, s[10:11]
.LBB0_92:
	s_or_b64 exec, exec, s[8:9]
	v_mov_b32_e32 v2, 0
	s_waitcnt lgkmcnt(0)
	global_load_dwordx2 v[10:11], v2, s[6:7] offset:40
	global_load_dwordx4 v[4:7], v2, s[6:7]
	v_readfirstlane_b32 s9, v9
	v_readfirstlane_b32 s8, v8
	s_mov_b64 s[10:11], exec
	s_waitcnt vmcnt(1)
	v_readfirstlane_b32 s12, v10
	v_readfirstlane_b32 s13, v11
	s_and_b64 s[12:13], s[12:13], s[8:9]
	s_mul_i32 s14, s13, 24
	s_mul_hi_u32 s15, s12, 24
	s_mul_i32 s16, s12, 24
	s_add_i32 s14, s15, s14
	v_mov_b32_e32 v0, s14
	s_waitcnt vmcnt(0)
	v_add_co_u32_e32 v8, vcc, s16, v4
	v_addc_co_u32_e32 v9, vcc, v5, v0, vcc
	s_and_saveexec_b64 s[14:15], s[4:5]
	s_cbranch_execz .LBB0_94
; %bb.93:
	v_mov_b32_e32 v10, s10
	v_mov_b32_e32 v11, s11
	;; [unrolled: 1-line block ×4, first 2 shown]
	global_store_dwordx4 v[8:9], v[10:13], off offset:8
.LBB0_94:
	s_or_b64 exec, exec, s[14:15]
	s_lshl_b64 s[10:11], s[12:13], 12
	v_mov_b32_e32 v0, s11
	v_add_co_u32_e32 v6, vcc, s10, v6
	v_addc_co_u32_e32 v7, vcc, v7, v0, vcc
	s_movk_i32 s10, 0xff1f
	v_and_or_b32 v0, v36, s10, 32
	v_lshlrev_b32_e32 v10, 6, v3
	s_mov_b32 s12, 0
	v_mov_b32_e32 v3, v2
	v_readfirstlane_b32 s10, v6
	v_readfirstlane_b32 s11, v7
	s_mov_b32 s13, s12
	s_mov_b32 s14, s12
	;; [unrolled: 1-line block ×3, first 2 shown]
	s_nop 1
	global_store_dwordx4 v10, v[0:3], s[10:11]
	s_nop 0
	v_mov_b32_e32 v0, s12
	v_mov_b32_e32 v1, s13
	;; [unrolled: 1-line block ×4, first 2 shown]
	global_store_dwordx4 v10, v[0:3], s[10:11] offset:16
	global_store_dwordx4 v10, v[0:3], s[10:11] offset:32
	;; [unrolled: 1-line block ×3, first 2 shown]
	s_and_saveexec_b64 s[10:11], s[4:5]
	s_cbranch_execz .LBB0_102
; %bb.95:
	v_mov_b32_e32 v6, 0
	global_load_dwordx2 v[12:13], v6, s[6:7] offset:32 glc
	global_load_dwordx2 v[0:1], v6, s[6:7] offset:40
	v_mov_b32_e32 v10, s8
	v_mov_b32_e32 v11, s9
	s_waitcnt vmcnt(0)
	v_and_b32_e32 v0, s8, v0
	v_and_b32_e32 v1, s9, v1
	v_mul_lo_u32 v1, v1, 24
	v_mul_hi_u32 v2, v0, 24
	v_mul_lo_u32 v0, v0, 24
	v_add_u32_e32 v1, v2, v1
	v_add_co_u32_e32 v4, vcc, v4, v0
	v_addc_co_u32_e32 v5, vcc, v5, v1, vcc
	global_store_dwordx2 v[4:5], v[12:13], off
	s_waitcnt vmcnt(0)
	global_atomic_cmpswap_x2 v[2:3], v6, v[10:13], s[6:7] offset:32 glc
	s_waitcnt vmcnt(0)
	v_cmp_ne_u64_e32 vcc, v[2:3], v[12:13]
	s_and_saveexec_b64 s[12:13], vcc
	s_cbranch_execz .LBB0_98
; %bb.96:
	s_mov_b64 s[14:15], 0
.LBB0_97:                               ; =>This Inner Loop Header: Depth=1
	s_sleep 1
	global_store_dwordx2 v[4:5], v[2:3], off
	v_mov_b32_e32 v0, s8
	v_mov_b32_e32 v1, s9
	s_waitcnt vmcnt(0)
	global_atomic_cmpswap_x2 v[0:1], v6, v[0:3], s[6:7] offset:32 glc
	s_waitcnt vmcnt(0)
	v_cmp_eq_u64_e32 vcc, v[0:1], v[2:3]
	v_mov_b32_e32 v3, v1
	s_or_b64 s[14:15], vcc, s[14:15]
	v_mov_b32_e32 v2, v0
	s_andn2_b64 exec, exec, s[14:15]
	s_cbranch_execnz .LBB0_97
.LBB0_98:
	s_or_b64 exec, exec, s[12:13]
	v_mov_b32_e32 v3, 0
	global_load_dwordx2 v[0:1], v3, s[6:7] offset:16
	s_mov_b64 s[12:13], exec
	v_mbcnt_lo_u32_b32 v2, s12, 0
	v_mbcnt_hi_u32_b32 v2, s13, v2
	v_cmp_eq_u32_e32 vcc, 0, v2
	s_and_saveexec_b64 s[14:15], vcc
	s_cbranch_execz .LBB0_100
; %bb.99:
	s_bcnt1_i32_b64 s12, s[12:13]
	v_mov_b32_e32 v2, s12
	s_waitcnt vmcnt(0)
	global_atomic_add_x2 v[0:1], v[2:3], off offset:8
.LBB0_100:
	s_or_b64 exec, exec, s[14:15]
	s_waitcnt vmcnt(0)
	global_load_dwordx2 v[2:3], v[0:1], off offset:16
	s_waitcnt vmcnt(0)
	v_cmp_eq_u64_e32 vcc, 0, v[2:3]
	s_cbranch_vccnz .LBB0_102
; %bb.101:
	global_load_dword v0, v[0:1], off offset:24
	v_mov_b32_e32 v1, 0
	s_waitcnt vmcnt(0)
	v_readfirstlane_b32 s12, v0
	s_and_b32 m0, s12, 0xffffff
	global_store_dwordx2 v[2:3], v[0:1], off
	s_sendmsg sendmsg(MSG_INTERRUPT)
.LBB0_102:
	s_or_b64 exec, exec, s[10:11]
	s_branch .LBB0_106
.LBB0_103:                              ;   in Loop: Header=BB0_106 Depth=1
	s_or_b64 exec, exec, s[10:11]
	v_readfirstlane_b32 s10, v0
	s_cmp_eq_u32 s10, 0
	s_cbranch_scc1 .LBB0_105
; %bb.104:                              ;   in Loop: Header=BB0_106 Depth=1
	s_sleep 1
	s_cbranch_execnz .LBB0_106
	s_branch .LBB0_108
.LBB0_105:
	s_branch .LBB0_108
.LBB0_106:                              ; =>This Inner Loop Header: Depth=1
	v_mov_b32_e32 v0, 1
	s_and_saveexec_b64 s[10:11], s[4:5]
	s_cbranch_execz .LBB0_103
; %bb.107:                              ;   in Loop: Header=BB0_106 Depth=1
	global_load_dword v0, v[8:9], off offset:20 glc
	s_waitcnt vmcnt(0)
	buffer_wbinvl1_vol
	v_and_b32_e32 v0, 1, v0
	s_branch .LBB0_103
.LBB0_108:
	s_and_saveexec_b64 s[10:11], s[4:5]
	s_cbranch_execz .LBB0_111
; %bb.109:
	v_mov_b32_e32 v6, 0
	global_load_dwordx2 v[0:1], v6, s[6:7] offset:40
	global_load_dwordx2 v[9:10], v6, s[6:7] offset:24 glc
	global_load_dwordx2 v[2:3], v6, s[6:7]
	s_waitcnt vmcnt(2)
	v_readfirstlane_b32 s12, v0
	v_readfirstlane_b32 s13, v1
	s_add_u32 s14, s12, 1
	s_addc_u32 s15, s13, 0
	s_add_u32 s4, s14, s8
	s_addc_u32 s5, s15, s9
	s_cmp_eq_u64 s[4:5], 0
	s_cselect_b32 s5, s15, s5
	s_cselect_b32 s4, s14, s4
	s_and_b64 s[8:9], s[4:5], s[12:13]
	s_mul_i32 s9, s9, 24
	s_mul_hi_u32 s12, s8, 24
	s_mul_i32 s8, s8, 24
	s_add_i32 s9, s12, s9
	v_mov_b32_e32 v0, s9
	s_waitcnt vmcnt(0)
	v_add_co_u32_e32 v4, vcc, s8, v2
	v_addc_co_u32_e32 v5, vcc, v3, v0, vcc
	v_mov_b32_e32 v7, s4
	global_store_dwordx2 v[4:5], v[9:10], off
	v_mov_b32_e32 v8, s5
	s_waitcnt vmcnt(0)
	global_atomic_cmpswap_x2 v[2:3], v6, v[7:10], s[6:7] offset:24 glc
	s_mov_b64 s[8:9], 0
	s_waitcnt vmcnt(0)
	v_cmp_ne_u64_e32 vcc, v[2:3], v[9:10]
	s_and_b64 exec, exec, vcc
	s_cbranch_execz .LBB0_111
.LBB0_110:                              ; =>This Inner Loop Header: Depth=1
	s_sleep 1
	global_store_dwordx2 v[4:5], v[2:3], off
	v_mov_b32_e32 v0, s4
	v_mov_b32_e32 v1, s5
	s_waitcnt vmcnt(0)
	global_atomic_cmpswap_x2 v[0:1], v6, v[0:3], s[6:7] offset:24 glc
	s_waitcnt vmcnt(0)
	v_cmp_eq_u64_e32 vcc, v[0:1], v[2:3]
	v_mov_b32_e32 v3, v1
	s_or_b64 s[8:9], vcc, s[8:9]
	v_mov_b32_e32 v2, v0
	s_andn2_b64 exec, exec, s[8:9]
	s_cbranch_execnz .LBB0_110
.LBB0_111:
	s_or_b64 exec, exec, s[10:11]
	s_waitcnt vmcnt(0) lgkmcnt(0)
	s_setpc_b64 s[30:31]
.LBB0_112:
	s_cbranch_execnz .LBB0_86
.LBB0_113:
	s_waitcnt vmcnt(0) lgkmcnt(0)
	s_setpc_b64 s[30:31]
.Lfunc_end0:
	.size	__ockl_fprintf_append_string_n, .Lfunc_end0-__ockl_fprintf_append_string_n
                                        ; -- End function
	.set .L__ockl_fprintf_append_string_n.num_vgpr, 40
	.set .L__ockl_fprintf_append_string_n.num_agpr, 0
	.set .L__ockl_fprintf_append_string_n.numbered_sgpr, 32
	.set .L__ockl_fprintf_append_string_n.num_named_barrier, 0
	.set .L__ockl_fprintf_append_string_n.private_seg_size, 0
	.set .L__ockl_fprintf_append_string_n.uses_vcc, 1
	.set .L__ockl_fprintf_append_string_n.uses_flat_scratch, 0
	.set .L__ockl_fprintf_append_string_n.has_dyn_sized_stack, 0
	.set .L__ockl_fprintf_append_string_n.has_recursion, 0
	.set .L__ockl_fprintf_append_string_n.has_indirect_call, 0
	.section	.AMDGPU.csdata,"",@progbits
; Function info:
; codeLenInByte = 3900
; TotalNumSgprs: 36
; NumVgprs: 40
; ScratchSize: 0
; MemoryBound: 0
	.text
	.p2align	2                               ; -- Begin function __assert_fail
	.type	__assert_fail,@function
__assert_fail:                          ; @__assert_fail
; %bb.0:
	s_waitcnt vmcnt(0) expcnt(0) lgkmcnt(0)
	s_mov_b32 s25, s33
	s_mov_b32 s33, s32
	s_or_saveexec_b64 s[4:5], -1
	buffer_store_dword v40, off, s[0:3], s33 offset:48 ; 4-byte Folded Spill
	s_mov_b64 exec, s[4:5]
	v_writelane_b32 v40, s30, 0
	s_addk_i32 s32, 0x1000
	v_writelane_b32 v40, s31, 1
	v_mov_b32_e32 v8, 0
	s_getpc_b64 s[4:5]
	s_add_u32 s4, s4, __const.__assert_fail.fmt@rel32@lo+35
	s_addc_u32 s5, s5, __const.__assert_fail.fmt@rel32@hi+43
	v_mov_b32_e32 v5, v1
	v_mov_b32_e32 v4, v0
	global_load_dwordx4 v[0:3], v8, s[4:5]
	s_getpc_b64 s[16:17]
	s_add_u32 s16, s16, __const.__assert_fail.fmt@rel32@lo+4
	s_addc_u32 s17, s17, __const.__assert_fail.fmt@rel32@hi+12
	s_getpc_b64 s[18:19]
	s_add_u32 s18, s18, __const.__assert_fail.fmt@rel32@lo+20
	s_addc_u32 s19, s19, __const.__assert_fail.fmt@rel32@hi+28
	v_mbcnt_lo_u32_b32 v9, -1, 0
	s_load_dwordx4 s[4:7], s[16:17], 0x0
	s_load_dwordx4 s[12:15], s[18:19], 0x0
	s_load_dwordx2 s[10:11], s[8:9], 0x50
	v_mbcnt_hi_u32_b32 v34, -1, v9
	v_mov_b32_e32 v6, 0
	v_readfirstlane_b32 s16, v34
	v_mov_b32_e32 v7, 0
	s_waitcnt lgkmcnt(0)
	v_mov_b32_e32 v9, s7
	v_mov_b32_e32 v11, s5
	;; [unrolled: 1-line block ×3, first 2 shown]
	v_cmp_eq_u32_e64 s[4:5], s16, v34
	v_mov_b32_e32 v10, s6
	v_mov_b32_e32 v13, s15
	;; [unrolled: 1-line block ×5, first 2 shown]
	buffer_store_dword v9, off, s[0:3], s33 offset:12
	buffer_store_dword v10, off, s[0:3], s33 offset:8
	buffer_store_dword v11, off, s[0:3], s33 offset:4
	buffer_store_dword v12, off, s[0:3], s33
	buffer_store_dword v13, off, s[0:3], s33 offset:28
	buffer_store_dword v14, off, s[0:3], s33 offset:24
	;; [unrolled: 1-line block ×4, first 2 shown]
	s_waitcnt vmcnt(8)
	buffer_store_dword v3, off, s[0:3], s33 offset:43
	buffer_store_dword v2, off, s[0:3], s33 offset:39
	;; [unrolled: 1-line block ×4, first 2 shown]
	s_and_saveexec_b64 s[6:7], s[4:5]
	s_cbranch_execz .LBB1_6
; %bb.1:
	global_load_dwordx2 v[2:3], v8, s[10:11] offset:24 glc
	s_waitcnt vmcnt(0)
	buffer_wbinvl1_vol
	global_load_dwordx2 v[0:1], v8, s[10:11] offset:40
	global_load_dwordx2 v[6:7], v8, s[10:11]
	s_waitcnt vmcnt(1)
	v_and_b32_e32 v0, v0, v2
	v_and_b32_e32 v1, v1, v3
	v_mul_lo_u32 v1, v1, 24
	v_mul_hi_u32 v9, v0, 24
	v_mul_lo_u32 v0, v0, 24
	v_add_u32_e32 v1, v9, v1
	s_waitcnt vmcnt(0)
	v_add_co_u32_e32 v0, vcc, v6, v0
	v_addc_co_u32_e32 v1, vcc, v7, v1, vcc
	global_load_dwordx2 v[0:1], v[0:1], off glc
	s_waitcnt vmcnt(0)
	global_atomic_cmpswap_x2 v[6:7], v8, v[0:3], s[10:11] offset:24 glc
	s_waitcnt vmcnt(0)
	buffer_wbinvl1_vol
	v_cmp_ne_u64_e32 vcc, v[6:7], v[2:3]
	s_and_saveexec_b64 s[12:13], vcc
	s_cbranch_execz .LBB1_5
; %bb.2:
	s_mov_b64 s[14:15], 0
	v_mov_b32_e32 v0, 0
.LBB1_3:                                ; =>This Inner Loop Header: Depth=1
	s_sleep 1
	global_load_dwordx2 v[1:2], v0, s[10:11] offset:40
	global_load_dwordx2 v[9:10], v0, s[10:11]
	v_mov_b32_e32 v12, v7
	v_mov_b32_e32 v11, v6
	s_waitcnt vmcnt(1)
	v_and_b32_e32 v1, v1, v11
	s_waitcnt vmcnt(0)
	v_mad_u64_u32 v[6:7], s[16:17], v1, 24, v[9:10]
	v_and_b32_e32 v2, v2, v12
	v_mov_b32_e32 v1, v7
	v_mad_u64_u32 v[1:2], s[16:17], v2, 24, v[1:2]
	v_mov_b32_e32 v7, v1
	global_load_dwordx2 v[9:10], v[6:7], off glc
	s_waitcnt vmcnt(0)
	global_atomic_cmpswap_x2 v[6:7], v0, v[9:12], s[10:11] offset:24 glc
	s_waitcnt vmcnt(0)
	buffer_wbinvl1_vol
	v_cmp_eq_u64_e32 vcc, v[6:7], v[11:12]
	s_or_b64 s[14:15], vcc, s[14:15]
	s_andn2_b64 exec, exec, s[14:15]
	s_cbranch_execnz .LBB1_3
; %bb.4:
	s_or_b64 exec, exec, s[14:15]
.LBB1_5:
	s_or_b64 exec, exec, s[12:13]
.LBB1_6:
	s_or_b64 exec, exec, s[6:7]
	global_load_dwordx2 v[9:10], v8, s[10:11] offset:40
	global_load_dwordx4 v[0:3], v8, s[10:11]
	v_readfirstlane_b32 s7, v7
	v_readfirstlane_b32 s6, v6
	s_mov_b64 s[12:13], exec
	s_waitcnt vmcnt(1)
	v_readfirstlane_b32 s14, v9
	v_readfirstlane_b32 s15, v10
	s_and_b64 s[14:15], s[14:15], s[6:7]
	s_mul_i32 s16, s15, 24
	s_mul_hi_u32 s17, s14, 24
	s_mul_i32 s18, s14, 24
	s_add_i32 s16, s17, s16
	v_mov_b32_e32 v6, s16
	s_waitcnt vmcnt(0)
	v_add_co_u32_e32 v10, vcc, s18, v0
	v_addc_co_u32_e32 v11, vcc, v1, v6, vcc
	s_and_saveexec_b64 s[16:17], s[4:5]
	s_cbranch_execz .LBB1_8
; %bb.7:
	v_mov_b32_e32 v6, s12
	v_mov_b32_e32 v7, s13
	;; [unrolled: 1-line block ×4, first 2 shown]
	global_store_dwordx4 v[10:11], v[6:9], off offset:8
.LBB1_8:
	s_or_b64 exec, exec, s[16:17]
	s_lshl_b64 s[12:13], s[14:15], 12
	v_mov_b32_e32 v6, s13
	v_add_co_u32_e32 v2, vcc, s12, v2
	s_mov_b32 s12, 0
	v_addc_co_u32_e32 v3, vcc, v3, v6, vcc
	v_lshlrev_b32_e32 v35, 6, v34
	s_mov_b32 s15, s12
	v_mov_b32_e32 v7, 0
	v_add_co_u32_e32 v12, vcc, v2, v35
	s_mov_b32 s13, s12
	s_mov_b32 s14, s12
	v_mov_b32_e32 v17, s15
	v_addc_co_u32_e32 v13, vcc, 0, v3, vcc
	v_mov_b32_e32 v6, 33
	v_mov_b32_e32 v8, 1
	;; [unrolled: 1-line block ×3, first 2 shown]
	v_readfirstlane_b32 s16, v2
	v_readfirstlane_b32 s17, v3
	v_mov_b32_e32 v16, s14
	v_mov_b32_e32 v15, s13
	;; [unrolled: 1-line block ×3, first 2 shown]
	s_nop 1
	global_store_dwordx4 v35, v[6:9], s[16:17]
	global_store_dwordx4 v35, v[14:17], s[16:17] offset:16
	global_store_dwordx4 v35, v[14:17], s[16:17] offset:32
	;; [unrolled: 1-line block ×3, first 2 shown]
	s_and_saveexec_b64 s[12:13], s[4:5]
	s_cbranch_execz .LBB1_16
; %bb.9:
	global_load_dwordx2 v[16:17], v7, s[10:11] offset:32 glc
	global_load_dwordx2 v[2:3], v7, s[10:11] offset:40
	v_mov_b32_e32 v14, s6
	v_mov_b32_e32 v15, s7
	s_waitcnt vmcnt(0)
	v_and_b32_e32 v2, s6, v2
	v_and_b32_e32 v3, s7, v3
	v_mul_lo_u32 v3, v3, 24
	v_mul_hi_u32 v6, v2, 24
	v_mul_lo_u32 v2, v2, 24
	v_add_u32_e32 v3, v6, v3
	v_add_co_u32_e32 v8, vcc, v0, v2
	v_addc_co_u32_e32 v9, vcc, v1, v3, vcc
	global_store_dwordx2 v[8:9], v[16:17], off
	s_waitcnt vmcnt(0)
	global_atomic_cmpswap_x2 v[2:3], v7, v[14:17], s[10:11] offset:32 glc
	s_waitcnt vmcnt(0)
	v_cmp_ne_u64_e32 vcc, v[2:3], v[16:17]
	s_and_saveexec_b64 s[14:15], vcc
	s_cbranch_execz .LBB1_12
; %bb.10:
	s_mov_b64 s[16:17], 0
	v_mov_b32_e32 v6, 0
.LBB1_11:                               ; =>This Inner Loop Header: Depth=1
	s_sleep 1
	global_store_dwordx2 v[8:9], v[2:3], off
	v_mov_b32_e32 v0, s6
	v_mov_b32_e32 v1, s7
	s_waitcnt vmcnt(0)
	global_atomic_cmpswap_x2 v[0:1], v6, v[0:3], s[10:11] offset:32 glc
	s_waitcnt vmcnt(0)
	v_cmp_eq_u64_e32 vcc, v[0:1], v[2:3]
	v_mov_b32_e32 v3, v1
	s_or_b64 s[16:17], vcc, s[16:17]
	v_mov_b32_e32 v2, v0
	s_andn2_b64 exec, exec, s[16:17]
	s_cbranch_execnz .LBB1_11
.LBB1_12:
	s_or_b64 exec, exec, s[14:15]
	v_mov_b32_e32 v3, 0
	global_load_dwordx2 v[0:1], v3, s[10:11] offset:16
	s_mov_b64 s[14:15], exec
	v_mbcnt_lo_u32_b32 v2, s14, 0
	v_mbcnt_hi_u32_b32 v2, s15, v2
	v_cmp_eq_u32_e32 vcc, 0, v2
	s_and_saveexec_b64 s[16:17], vcc
	s_cbranch_execz .LBB1_14
; %bb.13:
	s_bcnt1_i32_b64 s14, s[14:15]
	v_mov_b32_e32 v2, s14
	s_waitcnt vmcnt(0)
	global_atomic_add_x2 v[0:1], v[2:3], off offset:8
.LBB1_14:
	s_or_b64 exec, exec, s[16:17]
	s_waitcnt vmcnt(0)
	global_load_dwordx2 v[2:3], v[0:1], off offset:16
	s_waitcnt vmcnt(0)
	v_cmp_eq_u64_e32 vcc, 0, v[2:3]
	s_cbranch_vccnz .LBB1_16
; %bb.15:
	global_load_dword v0, v[0:1], off offset:24
	v_mov_b32_e32 v1, 0
	s_waitcnt vmcnt(0)
	v_readfirstlane_b32 s14, v0
	s_and_b32 m0, s14, 0xffffff
	global_store_dwordx2 v[2:3], v[0:1], off
	s_sendmsg sendmsg(MSG_INTERRUPT)
.LBB1_16:
	s_or_b64 exec, exec, s[12:13]
	s_branch .LBB1_20
.LBB1_17:                               ;   in Loop: Header=BB1_20 Depth=1
	s_or_b64 exec, exec, s[12:13]
	v_readfirstlane_b32 s12, v0
	s_cmp_eq_u32 s12, 0
	s_cbranch_scc1 .LBB1_19
; %bb.18:                               ;   in Loop: Header=BB1_20 Depth=1
	s_sleep 1
	s_cbranch_execnz .LBB1_20
	s_branch .LBB1_22
.LBB1_19:
	s_branch .LBB1_22
.LBB1_20:                               ; =>This Inner Loop Header: Depth=1
	v_mov_b32_e32 v0, 1
	s_and_saveexec_b64 s[12:13], s[4:5]
	s_cbranch_execz .LBB1_17
; %bb.21:                               ;   in Loop: Header=BB1_20 Depth=1
	global_load_dword v0, v[10:11], off offset:20 glc
	s_waitcnt vmcnt(0)
	buffer_wbinvl1_vol
	v_and_b32_e32 v0, 1, v0
	s_branch .LBB1_17
.LBB1_22:
	global_load_dwordx2 v[6:7], v[12:13], off
	s_and_saveexec_b64 s[12:13], s[4:5]
	s_cbranch_execz .LBB1_25
; %bb.23:
	v_mov_b32_e32 v10, 0
	global_load_dwordx2 v[0:1], v10, s[10:11] offset:40
	global_load_dwordx2 v[13:14], v10, s[10:11] offset:24 glc
	global_load_dwordx2 v[2:3], v10, s[10:11]
	s_waitcnt vmcnt(2)
	v_readfirstlane_b32 s14, v0
	v_readfirstlane_b32 s15, v1
	s_add_u32 s16, s14, 1
	s_addc_u32 s17, s15, 0
	s_add_u32 s4, s16, s6
	s_addc_u32 s5, s17, s7
	s_cmp_eq_u64 s[4:5], 0
	s_cselect_b32 s5, s17, s5
	s_cselect_b32 s4, s16, s4
	s_and_b64 s[6:7], s[4:5], s[14:15]
	s_mul_i32 s7, s7, 24
	s_mul_hi_u32 s14, s6, 24
	s_mul_i32 s6, s6, 24
	s_add_i32 s7, s14, s7
	v_mov_b32_e32 v0, s7
	s_waitcnt vmcnt(0)
	v_add_co_u32_e32 v8, vcc, s6, v2
	v_addc_co_u32_e32 v9, vcc, v3, v0, vcc
	v_mov_b32_e32 v11, s4
	global_store_dwordx2 v[8:9], v[13:14], off
	v_mov_b32_e32 v12, s5
	s_waitcnt vmcnt(0)
	global_atomic_cmpswap_x2 v[2:3], v10, v[11:14], s[10:11] offset:24 glc
	s_mov_b64 s[6:7], 0
	s_waitcnt vmcnt(0)
	v_cmp_ne_u64_e32 vcc, v[2:3], v[13:14]
	s_and_b64 exec, exec, vcc
	s_cbranch_execz .LBB1_25
.LBB1_24:                               ; =>This Inner Loop Header: Depth=1
	s_sleep 1
	global_store_dwordx2 v[8:9], v[2:3], off
	v_mov_b32_e32 v0, s4
	v_mov_b32_e32 v1, s5
	s_waitcnt vmcnt(0)
	global_atomic_cmpswap_x2 v[0:1], v10, v[0:3], s[10:11] offset:24 glc
	s_waitcnt vmcnt(0)
	v_cmp_eq_u64_e32 vcc, v[0:1], v[2:3]
	v_mov_b32_e32 v3, v1
	s_or_b64 s[6:7], vcc, s[6:7]
	v_mov_b32_e32 v2, v0
	s_andn2_b64 exec, exec, s[6:7]
	s_cbranch_execnz .LBB1_24
.LBB1_25:
	s_or_b64 exec, exec, s[12:13]
	s_lshr_b32 s6, s33, 6
	s_mov_b64 s[4:5], 0
.LBB1_26:                               ; =>This Inner Loop Header: Depth=1
	v_mov_b32_e32 v0, s6
	buffer_load_ubyte v1, v0, s[0:3], 0 offen
	s_add_i32 s6, s6, 1
	v_mov_b32_e32 v0, s6
	s_waitcnt vmcnt(0)
	v_cmp_eq_u16_e32 vcc, 0, v1
	s_or_b64 s[4:5], vcc, s[4:5]
	s_andn2_b64 exec, exec, s[4:5]
	s_cbranch_execnz .LBB1_26
; %bb.27:
	s_or_b64 exec, exec, s[4:5]
	s_lshr_b32 s4, s33, 6
	s_cmp_lg_u32 s4, -1
	s_cbranch_scc0 .LBB1_112
; %bb.28:
	v_lshrrev_b32_e64 v1, 6, s33
	v_subrev_u32_e32 v28, v1, v0
	v_ashrrev_i32_e32 v29, 31, v28
	v_and_b32_e32 v36, 2, v6
	v_mov_b32_e32 v31, 0
	v_and_b32_e32 v0, -3, v6
	v_mov_b32_e32 v1, v7
	s_mov_b64 s[12:13], 0
	v_lshrrev_b32_e64 v37, 6, s33
	s_mov_b32 s20, 0
	s_movk_i32 s21, 0x1e0
	v_mov_b32_e32 v10, 2
	v_mov_b32_e32 v11, 1
	s_branch .LBB1_30
.LBB1_29:                               ;   in Loop: Header=BB1_30 Depth=1
	s_or_b64 exec, exec, s[6:7]
	v_sub_co_u32_e32 v28, vcc, v28, v38
	v_subb_co_u32_e32 v29, vcc, v29, v39, vcc
	v_cmp_eq_u64_e32 vcc, 0, v[28:29]
	v_add_u32_e32 v37, v37, v38
	s_or_b64 s[12:13], vcc, s[12:13]
	s_andn2_b64 exec, exec, s[12:13]
	s_cbranch_execz .LBB1_113
.LBB1_30:                               ; =>This Loop Header: Depth=1
                                        ;     Child Loop BB1_33 Depth 2
                                        ;     Child Loop BB1_41 Depth 2
	;; [unrolled: 1-line block ×11, first 2 shown]
	v_cmp_gt_u64_e32 vcc, 56, v[28:29]
	v_cmp_gt_u64_e64 s[4:5], 8, v[28:29]
	v_cndmask_b32_e32 v38, 56, v28, vcc
	v_add_u32_e32 v9, 8, v37
	s_and_saveexec_b64 s[6:7], s[4:5]
	s_xor_b64 s[6:7], exec, s[6:7]
	s_cbranch_execz .LBB1_36
; %bb.31:                               ;   in Loop: Header=BB1_30 Depth=1
	v_mov_b32_e32 v2, 0
	v_cmp_ne_u64_e64 s[4:5], 0, v[28:29]
	v_mov_b32_e32 v3, 0
	s_and_saveexec_b64 s[14:15], s[4:5]
	s_cbranch_execz .LBB1_35
; %bb.32:                               ;   in Loop: Header=BB1_30 Depth=1
	v_mov_b32_e32 v2, 0
	s_mov_b32 s22, 0
	s_mov_b64 s[16:17], 0
	v_mov_b32_e32 v3, 0
	s_mov_b64 s[18:19], 0
.LBB1_33:                               ;   Parent Loop BB1_30 Depth=1
                                        ; =>  This Inner Loop Header: Depth=2
	v_add_u32_e32 v8, s22, v37
	buffer_load_ubyte v8, v8, s[0:3], 0 offen
	v_mov_b32_e32 v9, s20
	s_add_i32 s22, s22, 1
	v_cmp_eq_u32_e64 s[4:5], s22, v38
	s_waitcnt vmcnt(0)
	v_and_b32_e32 v8, 0xffff, v8
	v_lshlrev_b64 v[8:9], s18, v[8:9]
	s_add_u32 s18, s18, 8
	s_addc_u32 s19, s19, 0
	v_or_b32_e32 v3, v9, v3
	s_or_b64 s[16:17], s[4:5], s[16:17]
	v_or_b32_e32 v2, v8, v2
	s_andn2_b64 exec, exec, s[16:17]
	s_cbranch_execnz .LBB1_33
; %bb.34:                               ;   in Loop: Header=BB1_30 Depth=1
	s_or_b64 exec, exec, s[16:17]
.LBB1_35:                               ;   in Loop: Header=BB1_30 Depth=1
	s_or_b64 exec, exec, s[14:15]
	v_mov_b32_e32 v9, v37
.LBB1_36:                               ;   in Loop: Header=BB1_30 Depth=1
	s_or_saveexec_b64 s[4:5], s[6:7]
	v_mov_b32_e32 v14, 0
	s_xor_b64 exec, exec, s[4:5]
	s_cbranch_execz .LBB1_38
; %bb.37:                               ;   in Loop: Header=BB1_30 Depth=1
	buffer_load_dword v2, v37, s[0:3], 0 offen
	buffer_load_dword v3, v37, s[0:3], 0 offen offset:4
	v_add_u32_e32 v14, -8, v38
.LBB1_38:                               ;   in Loop: Header=BB1_30 Depth=1
	s_or_b64 exec, exec, s[4:5]
	v_cmp_gt_u32_e64 s[4:5], 8, v14
	v_add_u32_e32 v8, 8, v9
                                        ; implicit-def: $vgpr12_vgpr13
	s_and_saveexec_b64 s[6:7], s[4:5]
	s_xor_b64 s[6:7], exec, s[6:7]
	s_cbranch_execz .LBB1_44
; %bb.39:                               ;   in Loop: Header=BB1_30 Depth=1
	v_mov_b32_e32 v12, 0
	v_mov_b32_e32 v13, 0
	v_cmp_ne_u32_e64 s[4:5], 0, v14
	s_and_saveexec_b64 s[14:15], s[4:5]
	s_cbranch_execz .LBB1_43
; %bb.40:                               ;   in Loop: Header=BB1_30 Depth=1
	v_mov_b32_e32 v12, 0
	s_mov_b32 s22, 0
	s_mov_b64 s[16:17], 0
	v_mov_b32_e32 v13, 0
	s_mov_b64 s[18:19], 0
.LBB1_41:                               ;   Parent Loop BB1_30 Depth=1
                                        ; =>  This Inner Loop Header: Depth=2
	v_add_u32_e32 v8, s22, v9
	buffer_load_ubyte v8, v8, s[0:3], 0 offen
	v_mov_b32_e32 v16, s20
	s_add_i32 s22, s22, 1
	v_cmp_eq_u32_e64 s[4:5], s22, v14
	s_waitcnt vmcnt(0)
	v_and_b32_e32 v15, 0xffff, v8
	v_lshlrev_b64 v[15:16], s18, v[15:16]
	s_add_u32 s18, s18, 8
	s_addc_u32 s19, s19, 0
	v_or_b32_e32 v13, v16, v13
	s_or_b64 s[16:17], s[4:5], s[16:17]
	v_or_b32_e32 v12, v15, v12
	s_andn2_b64 exec, exec, s[16:17]
	s_cbranch_execnz .LBB1_41
; %bb.42:                               ;   in Loop: Header=BB1_30 Depth=1
	s_or_b64 exec, exec, s[16:17]
.LBB1_43:                               ;   in Loop: Header=BB1_30 Depth=1
	s_or_b64 exec, exec, s[14:15]
	v_mov_b32_e32 v8, v9
                                        ; implicit-def: $vgpr14
.LBB1_44:                               ;   in Loop: Header=BB1_30 Depth=1
	s_or_saveexec_b64 s[4:5], s[6:7]
	v_mov_b32_e32 v16, 0
	s_xor_b64 exec, exec, s[4:5]
	s_cbranch_execz .LBB1_46
; %bb.45:                               ;   in Loop: Header=BB1_30 Depth=1
	buffer_load_dword v12, v9, s[0:3], 0 offen
	buffer_load_dword v13, v9, s[0:3], 0 offen offset:4
	v_add_u32_e32 v16, -8, v14
.LBB1_46:                               ;   in Loop: Header=BB1_30 Depth=1
	s_or_b64 exec, exec, s[4:5]
	v_cmp_gt_u32_e64 s[4:5], 8, v16
	v_add_u32_e32 v9, 8, v8
	s_and_saveexec_b64 s[6:7], s[4:5]
	s_xor_b64 s[6:7], exec, s[6:7]
	s_cbranch_execz .LBB1_52
; %bb.47:                               ;   in Loop: Header=BB1_30 Depth=1
	v_mov_b32_e32 v14, 0
	v_mov_b32_e32 v15, 0
	v_cmp_ne_u32_e64 s[4:5], 0, v16
	s_and_saveexec_b64 s[14:15], s[4:5]
	s_cbranch_execz .LBB1_51
; %bb.48:                               ;   in Loop: Header=BB1_30 Depth=1
	v_mov_b32_e32 v14, 0
	s_mov_b32 s22, 0
	s_mov_b64 s[16:17], 0
	v_mov_b32_e32 v15, 0
	s_mov_b64 s[18:19], 0
.LBB1_49:                               ;   Parent Loop BB1_30 Depth=1
                                        ; =>  This Inner Loop Header: Depth=2
	v_add_u32_e32 v9, s22, v8
	buffer_load_ubyte v9, v9, s[0:3], 0 offen
	v_mov_b32_e32 v18, s20
	s_add_i32 s22, s22, 1
	v_cmp_eq_u32_e64 s[4:5], s22, v16
	s_waitcnt vmcnt(0)
	v_and_b32_e32 v17, 0xffff, v9
	v_lshlrev_b64 v[17:18], s18, v[17:18]
	s_add_u32 s18, s18, 8
	s_addc_u32 s19, s19, 0
	v_or_b32_e32 v15, v18, v15
	s_or_b64 s[16:17], s[4:5], s[16:17]
	v_or_b32_e32 v14, v17, v14
	s_andn2_b64 exec, exec, s[16:17]
	s_cbranch_execnz .LBB1_49
; %bb.50:                               ;   in Loop: Header=BB1_30 Depth=1
	s_or_b64 exec, exec, s[16:17]
.LBB1_51:                               ;   in Loop: Header=BB1_30 Depth=1
	s_or_b64 exec, exec, s[14:15]
	v_mov_b32_e32 v9, v8
                                        ; implicit-def: $vgpr16
.LBB1_52:                               ;   in Loop: Header=BB1_30 Depth=1
	s_or_saveexec_b64 s[4:5], s[6:7]
	v_mov_b32_e32 v18, 0
	s_xor_b64 exec, exec, s[4:5]
	s_cbranch_execz .LBB1_54
; %bb.53:                               ;   in Loop: Header=BB1_30 Depth=1
	buffer_load_dword v14, v8, s[0:3], 0 offen
	buffer_load_dword v15, v8, s[0:3], 0 offen offset:4
	v_add_u32_e32 v18, -8, v16
.LBB1_54:                               ;   in Loop: Header=BB1_30 Depth=1
	s_or_b64 exec, exec, s[4:5]
	v_cmp_gt_u32_e64 s[4:5], 8, v18
	v_add_u32_e32 v8, 8, v9
                                        ; implicit-def: $vgpr16_vgpr17
	s_and_saveexec_b64 s[6:7], s[4:5]
	s_xor_b64 s[6:7], exec, s[6:7]
	s_cbranch_execz .LBB1_60
; %bb.55:                               ;   in Loop: Header=BB1_30 Depth=1
	v_mov_b32_e32 v16, 0
	v_mov_b32_e32 v17, 0
	v_cmp_ne_u32_e64 s[4:5], 0, v18
	s_and_saveexec_b64 s[14:15], s[4:5]
	s_cbranch_execz .LBB1_59
; %bb.56:                               ;   in Loop: Header=BB1_30 Depth=1
	v_mov_b32_e32 v16, 0
	s_mov_b32 s22, 0
	s_mov_b64 s[16:17], 0
	v_mov_b32_e32 v17, 0
	s_mov_b64 s[18:19], 0
.LBB1_57:                               ;   Parent Loop BB1_30 Depth=1
                                        ; =>  This Inner Loop Header: Depth=2
	v_add_u32_e32 v8, s22, v9
	buffer_load_ubyte v8, v8, s[0:3], 0 offen
	v_mov_b32_e32 v20, s20
	s_add_i32 s22, s22, 1
	v_cmp_eq_u32_e64 s[4:5], s22, v18
	s_waitcnt vmcnt(0)
	v_and_b32_e32 v19, 0xffff, v8
	v_lshlrev_b64 v[19:20], s18, v[19:20]
	s_add_u32 s18, s18, 8
	s_addc_u32 s19, s19, 0
	v_or_b32_e32 v17, v20, v17
	s_or_b64 s[16:17], s[4:5], s[16:17]
	v_or_b32_e32 v16, v19, v16
	s_andn2_b64 exec, exec, s[16:17]
	s_cbranch_execnz .LBB1_57
; %bb.58:                               ;   in Loop: Header=BB1_30 Depth=1
	s_or_b64 exec, exec, s[16:17]
.LBB1_59:                               ;   in Loop: Header=BB1_30 Depth=1
	s_or_b64 exec, exec, s[14:15]
	v_mov_b32_e32 v8, v9
                                        ; implicit-def: $vgpr18
.LBB1_60:                               ;   in Loop: Header=BB1_30 Depth=1
	s_or_saveexec_b64 s[4:5], s[6:7]
	v_mov_b32_e32 v20, 0
	s_xor_b64 exec, exec, s[4:5]
	s_cbranch_execz .LBB1_62
; %bb.61:                               ;   in Loop: Header=BB1_30 Depth=1
	buffer_load_dword v16, v9, s[0:3], 0 offen
	buffer_load_dword v17, v9, s[0:3], 0 offen offset:4
	v_add_u32_e32 v20, -8, v18
.LBB1_62:                               ;   in Loop: Header=BB1_30 Depth=1
	s_or_b64 exec, exec, s[4:5]
	v_cmp_gt_u32_e64 s[4:5], 8, v20
	v_add_u32_e32 v9, 8, v8
	s_and_saveexec_b64 s[6:7], s[4:5]
	s_xor_b64 s[6:7], exec, s[6:7]
	s_cbranch_execz .LBB1_68
; %bb.63:                               ;   in Loop: Header=BB1_30 Depth=1
	v_mov_b32_e32 v18, 0
	v_mov_b32_e32 v19, 0
	v_cmp_ne_u32_e64 s[4:5], 0, v20
	s_and_saveexec_b64 s[14:15], s[4:5]
	s_cbranch_execz .LBB1_67
; %bb.64:                               ;   in Loop: Header=BB1_30 Depth=1
	v_mov_b32_e32 v18, 0
	s_mov_b32 s22, 0
	s_mov_b64 s[16:17], 0
	v_mov_b32_e32 v19, 0
	s_mov_b64 s[18:19], 0
.LBB1_65:                               ;   Parent Loop BB1_30 Depth=1
                                        ; =>  This Inner Loop Header: Depth=2
	v_add_u32_e32 v9, s22, v8
	buffer_load_ubyte v9, v9, s[0:3], 0 offen
	v_mov_b32_e32 v22, s20
	s_add_i32 s22, s22, 1
	v_cmp_eq_u32_e64 s[4:5], s22, v20
	s_waitcnt vmcnt(0)
	v_and_b32_e32 v21, 0xffff, v9
	v_lshlrev_b64 v[21:22], s18, v[21:22]
	s_add_u32 s18, s18, 8
	s_addc_u32 s19, s19, 0
	v_or_b32_e32 v19, v22, v19
	s_or_b64 s[16:17], s[4:5], s[16:17]
	v_or_b32_e32 v18, v21, v18
	s_andn2_b64 exec, exec, s[16:17]
	s_cbranch_execnz .LBB1_65
; %bb.66:                               ;   in Loop: Header=BB1_30 Depth=1
	s_or_b64 exec, exec, s[16:17]
.LBB1_67:                               ;   in Loop: Header=BB1_30 Depth=1
	s_or_b64 exec, exec, s[14:15]
	v_mov_b32_e32 v9, v8
                                        ; implicit-def: $vgpr20
.LBB1_68:                               ;   in Loop: Header=BB1_30 Depth=1
	s_or_saveexec_b64 s[4:5], s[6:7]
	v_mov_b32_e32 v22, 0
	s_xor_b64 exec, exec, s[4:5]
	s_cbranch_execz .LBB1_70
; %bb.69:                               ;   in Loop: Header=BB1_30 Depth=1
	buffer_load_dword v18, v8, s[0:3], 0 offen
	buffer_load_dword v19, v8, s[0:3], 0 offen offset:4
	v_add_u32_e32 v22, -8, v20
.LBB1_70:                               ;   in Loop: Header=BB1_30 Depth=1
	s_or_b64 exec, exec, s[4:5]
	v_cmp_gt_u32_e64 s[4:5], 8, v22
	v_add_u32_e32 v8, 8, v9
                                        ; implicit-def: $vgpr20_vgpr21
	s_and_saveexec_b64 s[6:7], s[4:5]
	s_xor_b64 s[6:7], exec, s[6:7]
	s_cbranch_execz .LBB1_76
; %bb.71:                               ;   in Loop: Header=BB1_30 Depth=1
	v_mov_b32_e32 v20, 0
	v_mov_b32_e32 v21, 0
	v_cmp_ne_u32_e64 s[4:5], 0, v22
	s_and_saveexec_b64 s[14:15], s[4:5]
	s_cbranch_execz .LBB1_75
; %bb.72:                               ;   in Loop: Header=BB1_30 Depth=1
	v_mov_b32_e32 v20, 0
	s_mov_b32 s22, 0
	s_mov_b64 s[16:17], 0
	v_mov_b32_e32 v21, 0
	s_mov_b64 s[18:19], 0
.LBB1_73:                               ;   Parent Loop BB1_30 Depth=1
                                        ; =>  This Inner Loop Header: Depth=2
	v_add_u32_e32 v8, s22, v9
	buffer_load_ubyte v8, v8, s[0:3], 0 offen
	v_mov_b32_e32 v24, s20
	s_add_i32 s22, s22, 1
	v_cmp_eq_u32_e64 s[4:5], s22, v22
	s_waitcnt vmcnt(0)
	v_and_b32_e32 v23, 0xffff, v8
	v_lshlrev_b64 v[23:24], s18, v[23:24]
	s_add_u32 s18, s18, 8
	s_addc_u32 s19, s19, 0
	v_or_b32_e32 v21, v24, v21
	s_or_b64 s[16:17], s[4:5], s[16:17]
	v_or_b32_e32 v20, v23, v20
	s_andn2_b64 exec, exec, s[16:17]
	s_cbranch_execnz .LBB1_73
; %bb.74:                               ;   in Loop: Header=BB1_30 Depth=1
	s_or_b64 exec, exec, s[16:17]
.LBB1_75:                               ;   in Loop: Header=BB1_30 Depth=1
	s_or_b64 exec, exec, s[14:15]
	v_mov_b32_e32 v8, v9
                                        ; implicit-def: $vgpr22
.LBB1_76:                               ;   in Loop: Header=BB1_30 Depth=1
	s_or_saveexec_b64 s[4:5], s[6:7]
	v_mov_b32_e32 v24, 0
	s_xor_b64 exec, exec, s[4:5]
	s_cbranch_execz .LBB1_78
; %bb.77:                               ;   in Loop: Header=BB1_30 Depth=1
	buffer_load_dword v20, v9, s[0:3], 0 offen
	buffer_load_dword v21, v9, s[0:3], 0 offen offset:4
	v_add_u32_e32 v24, -8, v22
.LBB1_78:                               ;   in Loop: Header=BB1_30 Depth=1
	s_or_b64 exec, exec, s[4:5]
	v_cmp_gt_u32_e64 s[4:5], 8, v24
	s_and_saveexec_b64 s[6:7], s[4:5]
	s_xor_b64 s[6:7], exec, s[6:7]
	s_cbranch_execz .LBB1_84
; %bb.79:                               ;   in Loop: Header=BB1_30 Depth=1
	v_mov_b32_e32 v22, 0
	v_mov_b32_e32 v23, 0
	v_cmp_ne_u32_e64 s[4:5], 0, v24
	s_and_saveexec_b64 s[14:15], s[4:5]
	s_cbranch_execz .LBB1_83
; %bb.80:                               ;   in Loop: Header=BB1_30 Depth=1
	v_mov_b32_e32 v22, 0
	s_mov_b64 s[16:17], 0
	v_mov_b32_e32 v23, 0
	s_mov_b64 s[18:19], 0
.LBB1_81:                               ;   Parent Loop BB1_30 Depth=1
                                        ; =>  This Inner Loop Header: Depth=2
	buffer_load_ubyte v9, v8, s[0:3], 0 offen
	v_mov_b32_e32 v26, s20
	v_add_u32_e32 v24, -1, v24
	v_cmp_eq_u32_e64 s[4:5], 0, v24
	v_add_u32_e32 v8, 1, v8
	s_waitcnt vmcnt(0)
	v_and_b32_e32 v25, 0xffff, v9
	v_lshlrev_b64 v[25:26], s18, v[25:26]
	s_add_u32 s18, s18, 8
	s_addc_u32 s19, s19, 0
	v_or_b32_e32 v23, v26, v23
	s_or_b64 s[16:17], s[4:5], s[16:17]
	v_or_b32_e32 v22, v25, v22
	s_andn2_b64 exec, exec, s[16:17]
	s_cbranch_execnz .LBB1_81
; %bb.82:                               ;   in Loop: Header=BB1_30 Depth=1
	s_or_b64 exec, exec, s[16:17]
.LBB1_83:                               ;   in Loop: Header=BB1_30 Depth=1
	s_or_b64 exec, exec, s[14:15]
                                        ; implicit-def: $vgpr8
.LBB1_84:                               ;   in Loop: Header=BB1_30 Depth=1
	s_andn2_saveexec_b64 s[4:5], s[6:7]
	s_cbranch_execz .LBB1_86
; %bb.85:                               ;   in Loop: Header=BB1_30 Depth=1
	buffer_load_dword v22, v8, s[0:3], 0 offen
	buffer_load_dword v23, v8, s[0:3], 0 offen offset:4
.LBB1_86:                               ;   in Loop: Header=BB1_30 Depth=1
	s_or_b64 exec, exec, s[4:5]
	v_readfirstlane_b32 s4, v34
	v_mov_b32_e32 v8, 0
	v_mov_b32_e32 v9, 0
	v_cmp_eq_u32_e64 s[4:5], s4, v34
	s_and_saveexec_b64 s[14:15], s[4:5]
	s_cbranch_execz .LBB1_92
; %bb.87:                               ;   in Loop: Header=BB1_30 Depth=1
	global_load_dwordx2 v[26:27], v31, s[10:11] offset:24 glc
	s_waitcnt vmcnt(0)
	buffer_wbinvl1_vol
	global_load_dwordx2 v[8:9], v31, s[10:11] offset:40
	global_load_dwordx2 v[24:25], v31, s[10:11]
	s_waitcnt vmcnt(1)
	v_and_b32_e32 v8, v8, v26
	v_and_b32_e32 v9, v9, v27
	v_mul_lo_u32 v9, v9, 24
	v_mul_hi_u32 v30, v8, 24
	v_mul_lo_u32 v8, v8, 24
	v_add_u32_e32 v9, v30, v9
	s_waitcnt vmcnt(0)
	v_add_co_u32_e64 v8, s[6:7], v24, v8
	v_addc_co_u32_e64 v9, s[6:7], v25, v9, s[6:7]
	global_load_dwordx2 v[24:25], v[8:9], off glc
	s_waitcnt vmcnt(0)
	global_atomic_cmpswap_x2 v[8:9], v31, v[24:27], s[10:11] offset:24 glc
	s_waitcnt vmcnt(0)
	buffer_wbinvl1_vol
	v_cmp_ne_u64_e64 s[6:7], v[8:9], v[26:27]
	s_and_saveexec_b64 s[16:17], s[6:7]
	s_cbranch_execz .LBB1_91
; %bb.88:                               ;   in Loop: Header=BB1_30 Depth=1
	s_mov_b64 s[18:19], 0
.LBB1_89:                               ;   Parent Loop BB1_30 Depth=1
                                        ; =>  This Inner Loop Header: Depth=2
	s_sleep 1
	global_load_dwordx2 v[24:25], v31, s[10:11] offset:40
	global_load_dwordx2 v[32:33], v31, s[10:11]
	v_mov_b32_e32 v27, v9
	v_mov_b32_e32 v26, v8
	s_waitcnt vmcnt(1)
	v_and_b32_e32 v8, v24, v26
	s_waitcnt vmcnt(0)
	v_mad_u64_u32 v[8:9], s[6:7], v8, 24, v[32:33]
	v_and_b32_e32 v24, v25, v27
	v_mad_u64_u32 v[24:25], s[6:7], v24, 24, v[9:10]
	v_mov_b32_e32 v9, v24
	global_load_dwordx2 v[24:25], v[8:9], off glc
	s_waitcnt vmcnt(0)
	global_atomic_cmpswap_x2 v[8:9], v31, v[24:27], s[10:11] offset:24 glc
	s_waitcnt vmcnt(0)
	buffer_wbinvl1_vol
	v_cmp_eq_u64_e64 s[6:7], v[8:9], v[26:27]
	s_or_b64 s[18:19], s[6:7], s[18:19]
	s_andn2_b64 exec, exec, s[18:19]
	s_cbranch_execnz .LBB1_89
; %bb.90:                               ;   in Loop: Header=BB1_30 Depth=1
	s_or_b64 exec, exec, s[18:19]
.LBB1_91:                               ;   in Loop: Header=BB1_30 Depth=1
	s_or_b64 exec, exec, s[16:17]
.LBB1_92:                               ;   in Loop: Header=BB1_30 Depth=1
	s_or_b64 exec, exec, s[14:15]
	global_load_dwordx2 v[32:33], v31, s[10:11] offset:40
	global_load_dwordx4 v[24:27], v31, s[10:11]
	v_readfirstlane_b32 s15, v9
	v_readfirstlane_b32 s14, v8
	s_mov_b64 s[16:17], exec
	s_waitcnt vmcnt(1)
	v_readfirstlane_b32 s6, v32
	v_readfirstlane_b32 s7, v33
	s_and_b64 s[18:19], s[6:7], s[14:15]
	s_mul_i32 s6, s19, 24
	s_mul_hi_u32 s7, s18, 24
	s_mul_i32 s22, s18, 24
	s_add_i32 s6, s7, s6
	v_mov_b32_e32 v8, s6
	s_waitcnt vmcnt(0)
	v_add_co_u32_e64 v32, s[6:7], s22, v24
	v_addc_co_u32_e64 v33, s[6:7], v25, v8, s[6:7]
	s_and_saveexec_b64 s[6:7], s[4:5]
	s_cbranch_execz .LBB1_94
; %bb.93:                               ;   in Loop: Header=BB1_30 Depth=1
	v_mov_b32_e32 v8, s16
	v_mov_b32_e32 v9, s17
	global_store_dwordx4 v[32:33], v[8:11], off offset:8
.LBB1_94:                               ;   in Loop: Header=BB1_30 Depth=1
	s_or_b64 exec, exec, s[6:7]
	s_lshl_b64 s[6:7], s[18:19], 12
	v_cndmask_b32_e32 v39, 0, v29, vcc
	v_mov_b32_e32 v8, s7
	v_add_co_u32_e32 v26, vcc, s6, v26
	v_addc_co_u32_e32 v27, vcc, v27, v8, vcc
	v_cmp_gt_u64_e32 vcc, 57, v[28:29]
	v_and_b32_e32 v0, 0xffffff1f, v0
	v_cndmask_b32_e32 v8, 0, v36, vcc
	v_lshl_add_u32 v9, v38, 2, 28
	v_or_b32_e32 v0, v0, v8
	v_and_or_b32 v0, v9, s21, v0
	v_readfirstlane_b32 s6, v26
	v_readfirstlane_b32 s7, v27
	s_nop 4
	global_store_dwordx4 v35, v[0:3], s[6:7]
	global_store_dwordx4 v35, v[12:15], s[6:7] offset:16
	global_store_dwordx4 v35, v[16:19], s[6:7] offset:32
	global_store_dwordx4 v35, v[20:23], s[6:7] offset:48
	s_and_saveexec_b64 s[6:7], s[4:5]
	s_cbranch_execz .LBB1_102
; %bb.95:                               ;   in Loop: Header=BB1_30 Depth=1
	global_load_dwordx2 v[14:15], v31, s[10:11] offset:32 glc
	global_load_dwordx2 v[0:1], v31, s[10:11] offset:40
	v_mov_b32_e32 v12, s14
	v_mov_b32_e32 v13, s15
	s_waitcnt vmcnt(0)
	v_readfirstlane_b32 s16, v0
	v_readfirstlane_b32 s17, v1
	s_and_b64 s[16:17], s[16:17], s[14:15]
	s_mul_i32 s17, s17, 24
	s_mul_hi_u32 s18, s16, 24
	s_mul_i32 s16, s16, 24
	s_add_i32 s17, s18, s17
	v_mov_b32_e32 v0, s17
	v_add_co_u32_e32 v8, vcc, s16, v24
	v_addc_co_u32_e32 v9, vcc, v25, v0, vcc
	global_store_dwordx2 v[8:9], v[14:15], off
	s_waitcnt vmcnt(0)
	global_atomic_cmpswap_x2 v[2:3], v31, v[12:15], s[10:11] offset:32 glc
	s_waitcnt vmcnt(0)
	v_cmp_ne_u64_e32 vcc, v[2:3], v[14:15]
	s_and_saveexec_b64 s[16:17], vcc
	s_cbranch_execz .LBB1_98
; %bb.96:                               ;   in Loop: Header=BB1_30 Depth=1
	s_mov_b64 s[18:19], 0
.LBB1_97:                               ;   Parent Loop BB1_30 Depth=1
                                        ; =>  This Inner Loop Header: Depth=2
	s_sleep 1
	global_store_dwordx2 v[8:9], v[2:3], off
	v_mov_b32_e32 v0, s14
	v_mov_b32_e32 v1, s15
	s_waitcnt vmcnt(0)
	global_atomic_cmpswap_x2 v[0:1], v31, v[0:3], s[10:11] offset:32 glc
	s_waitcnt vmcnt(0)
	v_cmp_eq_u64_e32 vcc, v[0:1], v[2:3]
	v_mov_b32_e32 v3, v1
	s_or_b64 s[18:19], vcc, s[18:19]
	v_mov_b32_e32 v2, v0
	s_andn2_b64 exec, exec, s[18:19]
	s_cbranch_execnz .LBB1_97
.LBB1_98:                               ;   in Loop: Header=BB1_30 Depth=1
	s_or_b64 exec, exec, s[16:17]
	global_load_dwordx2 v[0:1], v31, s[10:11] offset:16
	s_mov_b64 s[18:19], exec
	v_mbcnt_lo_u32_b32 v2, s18, 0
	v_mbcnt_hi_u32_b32 v2, s19, v2
	v_cmp_eq_u32_e32 vcc, 0, v2
	s_and_saveexec_b64 s[16:17], vcc
	s_cbranch_execz .LBB1_100
; %bb.99:                               ;   in Loop: Header=BB1_30 Depth=1
	s_bcnt1_i32_b64 s18, s[18:19]
	v_mov_b32_e32 v30, s18
	s_waitcnt vmcnt(0)
	global_atomic_add_x2 v[0:1], v[30:31], off offset:8
.LBB1_100:                              ;   in Loop: Header=BB1_30 Depth=1
	s_or_b64 exec, exec, s[16:17]
	s_waitcnt vmcnt(0)
	global_load_dwordx2 v[2:3], v[0:1], off offset:16
	s_waitcnt vmcnt(0)
	v_cmp_eq_u64_e32 vcc, 0, v[2:3]
	s_cbranch_vccnz .LBB1_102
; %bb.101:                              ;   in Loop: Header=BB1_30 Depth=1
	global_load_dword v30, v[0:1], off offset:24
	s_waitcnt vmcnt(0)
	v_readfirstlane_b32 s16, v30
	s_and_b32 m0, s16, 0xffffff
	global_store_dwordx2 v[2:3], v[30:31], off
	s_sendmsg sendmsg(MSG_INTERRUPT)
.LBB1_102:                              ;   in Loop: Header=BB1_30 Depth=1
	s_or_b64 exec, exec, s[6:7]
	v_add_co_u32_e32 v0, vcc, v26, v35
	v_addc_co_u32_e32 v1, vcc, 0, v27, vcc
	s_branch .LBB1_106
.LBB1_103:                              ;   in Loop: Header=BB1_106 Depth=2
	s_or_b64 exec, exec, s[6:7]
	v_readfirstlane_b32 s6, v2
	s_cmp_eq_u32 s6, 0
	s_cbranch_scc1 .LBB1_105
; %bb.104:                              ;   in Loop: Header=BB1_106 Depth=2
	s_sleep 1
	s_cbranch_execnz .LBB1_106
	s_branch .LBB1_108
.LBB1_105:                              ;   in Loop: Header=BB1_30 Depth=1
	s_branch .LBB1_108
.LBB1_106:                              ;   Parent Loop BB1_30 Depth=1
                                        ; =>  This Inner Loop Header: Depth=2
	v_mov_b32_e32 v2, 1
	s_and_saveexec_b64 s[6:7], s[4:5]
	s_cbranch_execz .LBB1_103
; %bb.107:                              ;   in Loop: Header=BB1_106 Depth=2
	global_load_dword v2, v[32:33], off offset:20 glc
	s_waitcnt vmcnt(0)
	buffer_wbinvl1_vol
	v_and_b32_e32 v2, 1, v2
	s_branch .LBB1_103
.LBB1_108:                              ;   in Loop: Header=BB1_30 Depth=1
	global_load_dwordx2 v[0:1], v[0:1], off
	s_and_saveexec_b64 s[6:7], s[4:5]
	s_cbranch_execz .LBB1_29
; %bb.109:                              ;   in Loop: Header=BB1_30 Depth=1
	global_load_dwordx2 v[2:3], v31, s[10:11] offset:40
	global_load_dwordx2 v[16:17], v31, s[10:11] offset:24 glc
	global_load_dwordx2 v[8:9], v31, s[10:11]
	s_waitcnt vmcnt(2)
	v_readfirstlane_b32 s16, v2
	v_readfirstlane_b32 s17, v3
	s_add_u32 s18, s16, 1
	s_addc_u32 s19, s17, 0
	s_add_u32 s4, s18, s14
	s_addc_u32 s5, s19, s15
	s_cmp_eq_u64 s[4:5], 0
	s_cselect_b32 s5, s19, s5
	s_cselect_b32 s4, s18, s4
	s_and_b64 s[14:15], s[4:5], s[16:17]
	s_mul_i32 s15, s15, 24
	s_mul_hi_u32 s16, s14, 24
	s_mul_i32 s14, s14, 24
	s_add_i32 s15, s16, s15
	v_mov_b32_e32 v3, s15
	s_waitcnt vmcnt(0)
	v_add_co_u32_e32 v2, vcc, s14, v8
	v_addc_co_u32_e32 v3, vcc, v9, v3, vcc
	v_mov_b32_e32 v14, s4
	global_store_dwordx2 v[2:3], v[16:17], off
	v_mov_b32_e32 v15, s5
	s_waitcnt vmcnt(0)
	global_atomic_cmpswap_x2 v[14:15], v31, v[14:17], s[10:11] offset:24 glc
	s_waitcnt vmcnt(0)
	v_cmp_ne_u64_e32 vcc, v[14:15], v[16:17]
	s_and_b64 exec, exec, vcc
	s_cbranch_execz .LBB1_29
; %bb.110:                              ;   in Loop: Header=BB1_30 Depth=1
	s_mov_b64 s[14:15], 0
.LBB1_111:                              ;   Parent Loop BB1_30 Depth=1
                                        ; =>  This Inner Loop Header: Depth=2
	s_sleep 1
	global_store_dwordx2 v[2:3], v[14:15], off
	v_mov_b32_e32 v12, s4
	v_mov_b32_e32 v13, s5
	s_waitcnt vmcnt(0)
	global_atomic_cmpswap_x2 v[8:9], v31, v[12:15], s[10:11] offset:24 glc
	s_waitcnt vmcnt(0)
	v_cmp_eq_u64_e32 vcc, v[8:9], v[14:15]
	v_mov_b32_e32 v15, v9
	s_or_b64 s[14:15], vcc, s[14:15]
	v_mov_b32_e32 v14, v8
	s_andn2_b64 exec, exec, s[14:15]
	s_cbranch_execnz .LBB1_111
	s_branch .LBB1_29
.LBB1_112:
                                        ; implicit-def: $vgpr0_vgpr1
	s_cbranch_execnz .LBB1_114
	s_branch .LBB1_140
.LBB1_113:
	s_or_b64 exec, exec, s[12:13]
	s_branch .LBB1_140
.LBB1_114:
	v_readfirstlane_b32 s4, v34
	v_mov_b32_e32 v9, 0
	v_mov_b32_e32 v10, 0
	v_cmp_eq_u32_e64 s[4:5], s4, v34
	s_and_saveexec_b64 s[6:7], s[4:5]
	s_cbranch_execz .LBB1_120
; %bb.115:
	s_waitcnt vmcnt(0)
	v_mov_b32_e32 v0, 0
	global_load_dwordx2 v[11:12], v0, s[10:11] offset:24 glc
	s_waitcnt vmcnt(0)
	buffer_wbinvl1_vol
	global_load_dwordx2 v[1:2], v0, s[10:11] offset:40
	global_load_dwordx2 v[8:9], v0, s[10:11]
	s_waitcnt vmcnt(1)
	v_and_b32_e32 v1, v1, v11
	v_and_b32_e32 v2, v2, v12
	v_mul_lo_u32 v2, v2, 24
	v_mul_hi_u32 v3, v1, 24
	v_mul_lo_u32 v1, v1, 24
	v_add_u32_e32 v2, v3, v2
	s_waitcnt vmcnt(0)
	v_add_co_u32_e32 v1, vcc, v8, v1
	v_addc_co_u32_e32 v2, vcc, v9, v2, vcc
	global_load_dwordx2 v[9:10], v[1:2], off glc
	s_waitcnt vmcnt(0)
	global_atomic_cmpswap_x2 v[9:10], v0, v[9:12], s[10:11] offset:24 glc
	s_waitcnt vmcnt(0)
	buffer_wbinvl1_vol
	v_cmp_ne_u64_e32 vcc, v[9:10], v[11:12]
	s_and_saveexec_b64 s[12:13], vcc
	s_cbranch_execz .LBB1_119
; %bb.116:
	s_mov_b64 s[14:15], 0
.LBB1_117:                              ; =>This Inner Loop Header: Depth=1
	s_sleep 1
	global_load_dwordx2 v[1:2], v0, s[10:11] offset:40
	global_load_dwordx2 v[13:14], v0, s[10:11]
	v_mov_b32_e32 v12, v10
	v_mov_b32_e32 v11, v9
	s_waitcnt vmcnt(1)
	v_and_b32_e32 v1, v1, v11
	s_waitcnt vmcnt(0)
	v_mad_u64_u32 v[8:9], s[16:17], v1, 24, v[13:14]
	v_and_b32_e32 v2, v2, v12
	v_mov_b32_e32 v1, v9
	v_mad_u64_u32 v[1:2], s[16:17], v2, 24, v[1:2]
	v_mov_b32_e32 v9, v1
	global_load_dwordx2 v[9:10], v[8:9], off glc
	s_waitcnt vmcnt(0)
	global_atomic_cmpswap_x2 v[9:10], v0, v[9:12], s[10:11] offset:24 glc
	s_waitcnt vmcnt(0)
	buffer_wbinvl1_vol
	v_cmp_eq_u64_e32 vcc, v[9:10], v[11:12]
	s_or_b64 s[14:15], vcc, s[14:15]
	s_andn2_b64 exec, exec, s[14:15]
	s_cbranch_execnz .LBB1_117
; %bb.118:
	s_or_b64 exec, exec, s[14:15]
.LBB1_119:
	s_or_b64 exec, exec, s[12:13]
.LBB1_120:
	s_or_b64 exec, exec, s[6:7]
	v_mov_b32_e32 v8, 0
	global_load_dwordx2 v[11:12], v8, s[10:11] offset:40
	global_load_dwordx4 v[0:3], v8, s[10:11]
	v_readfirstlane_b32 s7, v10
	v_readfirstlane_b32 s6, v9
	s_mov_b64 s[12:13], exec
	s_waitcnt vmcnt(1)
	v_readfirstlane_b32 s14, v11
	v_readfirstlane_b32 s15, v12
	s_and_b64 s[14:15], s[14:15], s[6:7]
	s_mul_i32 s16, s15, 24
	s_mul_hi_u32 s17, s14, 24
	s_mul_i32 s18, s14, 24
	s_add_i32 s16, s17, s16
	v_mov_b32_e32 v9, s16
	s_waitcnt vmcnt(0)
	v_add_co_u32_e32 v10, vcc, s18, v0
	v_addc_co_u32_e32 v11, vcc, v1, v9, vcc
	s_and_saveexec_b64 s[16:17], s[4:5]
	s_cbranch_execz .LBB1_122
; %bb.121:
	v_mov_b32_e32 v12, s12
	v_mov_b32_e32 v13, s13
	;; [unrolled: 1-line block ×4, first 2 shown]
	global_store_dwordx4 v[10:11], v[12:15], off offset:8
.LBB1_122:
	s_or_b64 exec, exec, s[16:17]
	s_lshl_b64 s[12:13], s[14:15], 12
	v_mov_b32_e32 v9, s13
	v_add_co_u32_e32 v2, vcc, s12, v2
	v_addc_co_u32_e32 v3, vcc, v3, v9, vcc
	s_movk_i32 s12, 0xff1f
	v_and_or_b32 v6, v6, s12, 32
	s_mov_b32 s12, 0
	v_mov_b32_e32 v9, v8
	v_readfirstlane_b32 s16, v2
	v_readfirstlane_b32 s17, v3
	v_add_co_u32_e32 v12, vcc, v2, v35
	s_mov_b32 s13, s12
	s_mov_b32 s14, s12
	;; [unrolled: 1-line block ×3, first 2 shown]
	s_nop 0
	global_store_dwordx4 v35, v[6:9], s[16:17]
	v_addc_co_u32_e32 v13, vcc, 0, v3, vcc
	v_mov_b32_e32 v6, s12
	v_mov_b32_e32 v7, s13
	;; [unrolled: 1-line block ×4, first 2 shown]
	global_store_dwordx4 v35, v[6:9], s[16:17] offset:16
	global_store_dwordx4 v35, v[6:9], s[16:17] offset:32
	;; [unrolled: 1-line block ×3, first 2 shown]
	s_and_saveexec_b64 s[12:13], s[4:5]
	s_cbranch_execz .LBB1_130
; %bb.123:
	v_mov_b32_e32 v8, 0
	global_load_dwordx2 v[16:17], v8, s[10:11] offset:32 glc
	global_load_dwordx2 v[2:3], v8, s[10:11] offset:40
	v_mov_b32_e32 v14, s6
	v_mov_b32_e32 v15, s7
	s_waitcnt vmcnt(0)
	v_readfirstlane_b32 s14, v2
	v_readfirstlane_b32 s15, v3
	s_and_b64 s[14:15], s[14:15], s[6:7]
	s_mul_i32 s15, s15, 24
	s_mul_hi_u32 s16, s14, 24
	s_mul_i32 s14, s14, 24
	s_add_i32 s15, s16, s15
	v_mov_b32_e32 v2, s15
	v_add_co_u32_e32 v6, vcc, s14, v0
	v_addc_co_u32_e32 v7, vcc, v1, v2, vcc
	global_store_dwordx2 v[6:7], v[16:17], off
	s_waitcnt vmcnt(0)
	global_atomic_cmpswap_x2 v[2:3], v8, v[14:17], s[10:11] offset:32 glc
	s_waitcnt vmcnt(0)
	v_cmp_ne_u64_e32 vcc, v[2:3], v[16:17]
	s_and_saveexec_b64 s[14:15], vcc
	s_cbranch_execz .LBB1_126
; %bb.124:
	s_mov_b64 s[16:17], 0
.LBB1_125:                              ; =>This Inner Loop Header: Depth=1
	s_sleep 1
	global_store_dwordx2 v[6:7], v[2:3], off
	v_mov_b32_e32 v0, s6
	v_mov_b32_e32 v1, s7
	s_waitcnt vmcnt(0)
	global_atomic_cmpswap_x2 v[0:1], v8, v[0:3], s[10:11] offset:32 glc
	s_waitcnt vmcnt(0)
	v_cmp_eq_u64_e32 vcc, v[0:1], v[2:3]
	v_mov_b32_e32 v3, v1
	s_or_b64 s[16:17], vcc, s[16:17]
	v_mov_b32_e32 v2, v0
	s_andn2_b64 exec, exec, s[16:17]
	s_cbranch_execnz .LBB1_125
.LBB1_126:
	s_or_b64 exec, exec, s[14:15]
	v_mov_b32_e32 v3, 0
	global_load_dwordx2 v[0:1], v3, s[10:11] offset:16
	s_mov_b64 s[14:15], exec
	v_mbcnt_lo_u32_b32 v2, s14, 0
	v_mbcnt_hi_u32_b32 v2, s15, v2
	v_cmp_eq_u32_e32 vcc, 0, v2
	s_and_saveexec_b64 s[16:17], vcc
	s_cbranch_execz .LBB1_128
; %bb.127:
	s_bcnt1_i32_b64 s14, s[14:15]
	v_mov_b32_e32 v2, s14
	s_waitcnt vmcnt(0)
	global_atomic_add_x2 v[0:1], v[2:3], off offset:8
.LBB1_128:
	s_or_b64 exec, exec, s[16:17]
	s_waitcnt vmcnt(0)
	global_load_dwordx2 v[2:3], v[0:1], off offset:16
	s_waitcnt vmcnt(0)
	v_cmp_eq_u64_e32 vcc, 0, v[2:3]
	s_cbranch_vccnz .LBB1_130
; %bb.129:
	global_load_dword v0, v[0:1], off offset:24
	v_mov_b32_e32 v1, 0
	s_waitcnt vmcnt(0)
	v_readfirstlane_b32 s14, v0
	s_and_b32 m0, s14, 0xffffff
	global_store_dwordx2 v[2:3], v[0:1], off
	s_sendmsg sendmsg(MSG_INTERRUPT)
.LBB1_130:
	s_or_b64 exec, exec, s[12:13]
	s_branch .LBB1_134
.LBB1_131:                              ;   in Loop: Header=BB1_134 Depth=1
	s_or_b64 exec, exec, s[12:13]
	v_readfirstlane_b32 s12, v0
	s_cmp_eq_u32 s12, 0
	s_cbranch_scc1 .LBB1_133
; %bb.132:                              ;   in Loop: Header=BB1_134 Depth=1
	s_sleep 1
	s_cbranch_execnz .LBB1_134
	s_branch .LBB1_136
.LBB1_133:
	s_branch .LBB1_136
.LBB1_134:                              ; =>This Inner Loop Header: Depth=1
	v_mov_b32_e32 v0, 1
	s_and_saveexec_b64 s[12:13], s[4:5]
	s_cbranch_execz .LBB1_131
; %bb.135:                              ;   in Loop: Header=BB1_134 Depth=1
	global_load_dword v0, v[10:11], off offset:20 glc
	s_waitcnt vmcnt(0)
	buffer_wbinvl1_vol
	v_and_b32_e32 v0, 1, v0
	s_branch .LBB1_131
.LBB1_136:
	global_load_dwordx2 v[0:1], v[12:13], off
	s_and_saveexec_b64 s[12:13], s[4:5]
	s_cbranch_execz .LBB1_139
; %bb.137:
	v_mov_b32_e32 v10, 0
	global_load_dwordx2 v[2:3], v10, s[10:11] offset:40
	global_load_dwordx2 v[13:14], v10, s[10:11] offset:24 glc
	global_load_dwordx2 v[6:7], v10, s[10:11]
	s_waitcnt vmcnt(2)
	v_readfirstlane_b32 s14, v2
	v_readfirstlane_b32 s15, v3
	s_add_u32 s16, s14, 1
	s_addc_u32 s17, s15, 0
	s_add_u32 s4, s16, s6
	s_addc_u32 s5, s17, s7
	s_cmp_eq_u64 s[4:5], 0
	s_cselect_b32 s5, s17, s5
	s_cselect_b32 s4, s16, s4
	s_and_b64 s[6:7], s[4:5], s[14:15]
	s_mul_i32 s7, s7, 24
	s_mul_hi_u32 s14, s6, 24
	s_mul_i32 s6, s6, 24
	s_add_i32 s7, s14, s7
	v_mov_b32_e32 v3, s7
	s_waitcnt vmcnt(0)
	v_add_co_u32_e32 v2, vcc, s6, v6
	v_addc_co_u32_e32 v3, vcc, v7, v3, vcc
	v_mov_b32_e32 v11, s4
	global_store_dwordx2 v[2:3], v[13:14], off
	v_mov_b32_e32 v12, s5
	s_waitcnt vmcnt(0)
	global_atomic_cmpswap_x2 v[8:9], v10, v[11:14], s[10:11] offset:24 glc
	s_mov_b64 s[6:7], 0
	s_waitcnt vmcnt(0)
	v_cmp_ne_u64_e32 vcc, v[8:9], v[13:14]
	s_and_b64 exec, exec, vcc
	s_cbranch_execz .LBB1_139
.LBB1_138:                              ; =>This Inner Loop Header: Depth=1
	s_sleep 1
	global_store_dwordx2 v[2:3], v[8:9], off
	v_mov_b32_e32 v6, s4
	v_mov_b32_e32 v7, s5
	s_waitcnt vmcnt(0)
	global_atomic_cmpswap_x2 v[6:7], v10, v[6:9], s[10:11] offset:24 glc
	s_waitcnt vmcnt(0)
	v_cmp_eq_u64_e32 vcc, v[6:7], v[8:9]
	v_mov_b32_e32 v9, v7
	s_or_b64 s[6:7], vcc, s[6:7]
	v_mov_b32_e32 v8, v6
	s_andn2_b64 exec, exec, s[6:7]
	s_cbranch_execnz .LBB1_138
.LBB1_139:
	s_or_b64 exec, exec, s[12:13]
.LBB1_140:
	s_getpc_b64 s[6:7]
	s_add_u32 s6, s6, .str.4@rel32@lo+4
	s_addc_u32 s7, s7, .str.4@rel32@hi+12
	s_cmp_lg_u64 s[6:7], 0
	s_cbranch_scc0 .LBB1_225
; %bb.141:
	s_getpc_b64 s[4:5]
	s_add_u32 s4, s4, .str.4@rel32@lo+80
	s_addc_u32 s5, s5, .str.4@rel32@hi+88
	s_sub_i32 s12, s4, s6
	s_ashr_i32 s13, s12, 31
	s_waitcnt vmcnt(0)
	v_and_b32_e32 v32, 2, v0
	v_mov_b32_e32 v3, 0
	v_and_b32_e32 v6, -3, v0
	v_mov_b32_e32 v7, v1
	v_mov_b32_e32 v12, 2
	;; [unrolled: 1-line block ×3, first 2 shown]
	s_branch .LBB1_143
.LBB1_142:                              ;   in Loop: Header=BB1_143 Depth=1
	s_or_b64 exec, exec, s[18:19]
	s_sub_u32 s12, s12, s14
	s_subb_u32 s13, s13, s15
	s_add_u32 s6, s6, s14
	s_addc_u32 s7, s7, s15
	s_cmp_lg_u64 s[12:13], 0
	s_cbranch_scc0 .LBB1_226
.LBB1_143:                              ; =>This Loop Header: Depth=1
                                        ;     Child Loop BB1_146 Depth 2
                                        ;     Child Loop BB1_154 Depth 2
                                        ;     Child Loop BB1_162 Depth 2
                                        ;     Child Loop BB1_170 Depth 2
                                        ;     Child Loop BB1_178 Depth 2
                                        ;     Child Loop BB1_186 Depth 2
                                        ;     Child Loop BB1_194 Depth 2
                                        ;     Child Loop BB1_202 Depth 2
                                        ;     Child Loop BB1_210 Depth 2
                                        ;     Child Loop BB1_219 Depth 2
                                        ;     Child Loop BB1_224 Depth 2
	v_cmp_lt_u64_e64 s[4:5], s[12:13], 56
	v_cmp_gt_u64_e64 s[16:17], s[12:13], 7
	s_and_b64 s[4:5], s[4:5], exec
	s_cselect_b32 s15, s13, 0
	s_cselect_b32 s14, s12, 56
	s_add_u32 s4, s6, 8
	s_addc_u32 s5, s7, 0
	s_and_b64 vcc, exec, s[16:17]
	s_cbranch_vccnz .LBB1_147
; %bb.144:                              ;   in Loop: Header=BB1_143 Depth=1
	s_cmp_eq_u64 s[12:13], 0
	s_cbranch_scc1 .LBB1_148
; %bb.145:                              ;   in Loop: Header=BB1_143 Depth=1
	v_mov_b32_e32 v8, 0
	s_lshl_b64 s[4:5], s[14:15], 3
	s_mov_b64 s[16:17], 0
	v_mov_b32_e32 v9, 0
	s_mov_b64 s[18:19], s[6:7]
.LBB1_146:                              ;   Parent Loop BB1_143 Depth=1
                                        ; =>  This Inner Loop Header: Depth=2
	global_load_ubyte v2, v3, s[18:19]
	s_waitcnt vmcnt(0)
	v_and_b32_e32 v2, 0xffff, v2
	v_lshlrev_b64 v[10:11], s16, v[2:3]
	s_add_u32 s16, s16, 8
	s_addc_u32 s17, s17, 0
	s_add_u32 s18, s18, 1
	s_addc_u32 s19, s19, 0
	v_or_b32_e32 v8, v10, v8
	s_cmp_lg_u32 s4, s16
	v_or_b32_e32 v9, v11, v9
	s_cbranch_scc1 .LBB1_146
	s_branch .LBB1_149
.LBB1_147:                              ;   in Loop: Header=BB1_143 Depth=1
	s_mov_b32 s20, 0
	s_branch .LBB1_150
.LBB1_148:                              ;   in Loop: Header=BB1_143 Depth=1
	v_mov_b32_e32 v8, 0
	v_mov_b32_e32 v9, 0
.LBB1_149:                              ;   in Loop: Header=BB1_143 Depth=1
	s_mov_b64 s[4:5], s[6:7]
	s_mov_b32 s20, 0
	s_cbranch_execnz .LBB1_151
.LBB1_150:                              ;   in Loop: Header=BB1_143 Depth=1
	global_load_dwordx2 v[8:9], v3, s[6:7]
	s_add_i32 s20, s14, -8
.LBB1_151:                              ;   in Loop: Header=BB1_143 Depth=1
	s_add_u32 s16, s4, 8
	s_addc_u32 s17, s5, 0
	s_cmp_gt_u32 s20, 7
	s_cbranch_scc1 .LBB1_155
; %bb.152:                              ;   in Loop: Header=BB1_143 Depth=1
	s_cmp_eq_u32 s20, 0
	s_cbranch_scc1 .LBB1_156
; %bb.153:                              ;   in Loop: Header=BB1_143 Depth=1
	v_mov_b32_e32 v14, 0
	s_mov_b64 s[16:17], 0
	v_mov_b32_e32 v15, 0
	s_mov_b64 s[18:19], 0
.LBB1_154:                              ;   Parent Loop BB1_143 Depth=1
                                        ; =>  This Inner Loop Header: Depth=2
	s_add_u32 s22, s4, s18
	s_addc_u32 s23, s5, s19
	global_load_ubyte v2, v3, s[22:23]
	s_add_u32 s18, s18, 1
	s_addc_u32 s19, s19, 0
	s_waitcnt vmcnt(0)
	v_and_b32_e32 v2, 0xffff, v2
	v_lshlrev_b64 v[10:11], s16, v[2:3]
	s_add_u32 s16, s16, 8
	s_addc_u32 s17, s17, 0
	v_or_b32_e32 v14, v10, v14
	s_cmp_lg_u32 s20, s18
	v_or_b32_e32 v15, v11, v15
	s_cbranch_scc1 .LBB1_154
	s_branch .LBB1_157
.LBB1_155:                              ;   in Loop: Header=BB1_143 Depth=1
                                        ; implicit-def: $vgpr14_vgpr15
	s_mov_b32 s21, 0
	s_branch .LBB1_158
.LBB1_156:                              ;   in Loop: Header=BB1_143 Depth=1
	v_mov_b32_e32 v14, 0
	v_mov_b32_e32 v15, 0
.LBB1_157:                              ;   in Loop: Header=BB1_143 Depth=1
	s_mov_b64 s[16:17], s[4:5]
	s_mov_b32 s21, 0
	s_cbranch_execnz .LBB1_159
.LBB1_158:                              ;   in Loop: Header=BB1_143 Depth=1
	global_load_dwordx2 v[14:15], v3, s[4:5]
	s_add_i32 s21, s20, -8
.LBB1_159:                              ;   in Loop: Header=BB1_143 Depth=1
	s_add_u32 s4, s16, 8
	s_addc_u32 s5, s17, 0
	s_cmp_gt_u32 s21, 7
	s_cbranch_scc1 .LBB1_163
; %bb.160:                              ;   in Loop: Header=BB1_143 Depth=1
	s_cmp_eq_u32 s21, 0
	s_cbranch_scc1 .LBB1_164
; %bb.161:                              ;   in Loop: Header=BB1_143 Depth=1
	v_mov_b32_e32 v16, 0
	s_mov_b64 s[4:5], 0
	v_mov_b32_e32 v17, 0
	s_mov_b64 s[18:19], 0
.LBB1_162:                              ;   Parent Loop BB1_143 Depth=1
                                        ; =>  This Inner Loop Header: Depth=2
	s_add_u32 s22, s16, s18
	s_addc_u32 s23, s17, s19
	global_load_ubyte v2, v3, s[22:23]
	s_add_u32 s18, s18, 1
	s_addc_u32 s19, s19, 0
	s_waitcnt vmcnt(0)
	v_and_b32_e32 v2, 0xffff, v2
	v_lshlrev_b64 v[10:11], s4, v[2:3]
	s_add_u32 s4, s4, 8
	s_addc_u32 s5, s5, 0
	v_or_b32_e32 v16, v10, v16
	s_cmp_lg_u32 s21, s18
	v_or_b32_e32 v17, v11, v17
	s_cbranch_scc1 .LBB1_162
	s_branch .LBB1_165
.LBB1_163:                              ;   in Loop: Header=BB1_143 Depth=1
	s_mov_b32 s20, 0
	s_branch .LBB1_166
.LBB1_164:                              ;   in Loop: Header=BB1_143 Depth=1
	v_mov_b32_e32 v16, 0
	v_mov_b32_e32 v17, 0
.LBB1_165:                              ;   in Loop: Header=BB1_143 Depth=1
	s_mov_b64 s[4:5], s[16:17]
	s_mov_b32 s20, 0
	s_cbranch_execnz .LBB1_167
.LBB1_166:                              ;   in Loop: Header=BB1_143 Depth=1
	global_load_dwordx2 v[16:17], v3, s[16:17]
	s_add_i32 s20, s21, -8
.LBB1_167:                              ;   in Loop: Header=BB1_143 Depth=1
	s_add_u32 s16, s4, 8
	s_addc_u32 s17, s5, 0
	s_cmp_gt_u32 s20, 7
	s_cbranch_scc1 .LBB1_171
; %bb.168:                              ;   in Loop: Header=BB1_143 Depth=1
	s_cmp_eq_u32 s20, 0
	s_cbranch_scc1 .LBB1_172
; %bb.169:                              ;   in Loop: Header=BB1_143 Depth=1
	v_mov_b32_e32 v18, 0
	s_mov_b64 s[16:17], 0
	v_mov_b32_e32 v19, 0
	s_mov_b64 s[18:19], 0
.LBB1_170:                              ;   Parent Loop BB1_143 Depth=1
                                        ; =>  This Inner Loop Header: Depth=2
	s_add_u32 s22, s4, s18
	s_addc_u32 s23, s5, s19
	global_load_ubyte v2, v3, s[22:23]
	s_add_u32 s18, s18, 1
	s_addc_u32 s19, s19, 0
	s_waitcnt vmcnt(0)
	v_and_b32_e32 v2, 0xffff, v2
	v_lshlrev_b64 v[10:11], s16, v[2:3]
	s_add_u32 s16, s16, 8
	s_addc_u32 s17, s17, 0
	v_or_b32_e32 v18, v10, v18
	s_cmp_lg_u32 s20, s18
	v_or_b32_e32 v19, v11, v19
	s_cbranch_scc1 .LBB1_170
	s_branch .LBB1_173
.LBB1_171:                              ;   in Loop: Header=BB1_143 Depth=1
                                        ; implicit-def: $vgpr18_vgpr19
	s_mov_b32 s21, 0
	s_branch .LBB1_174
.LBB1_172:                              ;   in Loop: Header=BB1_143 Depth=1
	v_mov_b32_e32 v18, 0
	v_mov_b32_e32 v19, 0
.LBB1_173:                              ;   in Loop: Header=BB1_143 Depth=1
	s_mov_b64 s[16:17], s[4:5]
	s_mov_b32 s21, 0
	s_cbranch_execnz .LBB1_175
.LBB1_174:                              ;   in Loop: Header=BB1_143 Depth=1
	global_load_dwordx2 v[18:19], v3, s[4:5]
	s_add_i32 s21, s20, -8
.LBB1_175:                              ;   in Loop: Header=BB1_143 Depth=1
	s_add_u32 s4, s16, 8
	s_addc_u32 s5, s17, 0
	s_cmp_gt_u32 s21, 7
	s_cbranch_scc1 .LBB1_179
; %bb.176:                              ;   in Loop: Header=BB1_143 Depth=1
	s_cmp_eq_u32 s21, 0
	s_cbranch_scc1 .LBB1_180
; %bb.177:                              ;   in Loop: Header=BB1_143 Depth=1
	v_mov_b32_e32 v20, 0
	s_mov_b64 s[4:5], 0
	v_mov_b32_e32 v21, 0
	s_mov_b64 s[18:19], 0
.LBB1_178:                              ;   Parent Loop BB1_143 Depth=1
                                        ; =>  This Inner Loop Header: Depth=2
	s_add_u32 s22, s16, s18
	s_addc_u32 s23, s17, s19
	global_load_ubyte v2, v3, s[22:23]
	s_add_u32 s18, s18, 1
	s_addc_u32 s19, s19, 0
	s_waitcnt vmcnt(0)
	v_and_b32_e32 v2, 0xffff, v2
	v_lshlrev_b64 v[10:11], s4, v[2:3]
	s_add_u32 s4, s4, 8
	s_addc_u32 s5, s5, 0
	v_or_b32_e32 v20, v10, v20
	s_cmp_lg_u32 s21, s18
	v_or_b32_e32 v21, v11, v21
	s_cbranch_scc1 .LBB1_178
	s_branch .LBB1_181
.LBB1_179:                              ;   in Loop: Header=BB1_143 Depth=1
	s_mov_b32 s20, 0
	s_branch .LBB1_182
.LBB1_180:                              ;   in Loop: Header=BB1_143 Depth=1
	v_mov_b32_e32 v20, 0
	v_mov_b32_e32 v21, 0
.LBB1_181:                              ;   in Loop: Header=BB1_143 Depth=1
	s_mov_b64 s[4:5], s[16:17]
	s_mov_b32 s20, 0
	s_cbranch_execnz .LBB1_183
.LBB1_182:                              ;   in Loop: Header=BB1_143 Depth=1
	global_load_dwordx2 v[20:21], v3, s[16:17]
	s_add_i32 s20, s21, -8
.LBB1_183:                              ;   in Loop: Header=BB1_143 Depth=1
	s_add_u32 s16, s4, 8
	s_addc_u32 s17, s5, 0
	s_cmp_gt_u32 s20, 7
	s_cbranch_scc1 .LBB1_187
; %bb.184:                              ;   in Loop: Header=BB1_143 Depth=1
	s_cmp_eq_u32 s20, 0
	s_cbranch_scc1 .LBB1_188
; %bb.185:                              ;   in Loop: Header=BB1_143 Depth=1
	v_mov_b32_e32 v22, 0
	s_mov_b64 s[16:17], 0
	v_mov_b32_e32 v23, 0
	s_mov_b64 s[18:19], 0
.LBB1_186:                              ;   Parent Loop BB1_143 Depth=1
                                        ; =>  This Inner Loop Header: Depth=2
	s_add_u32 s22, s4, s18
	s_addc_u32 s23, s5, s19
	global_load_ubyte v2, v3, s[22:23]
	s_add_u32 s18, s18, 1
	s_addc_u32 s19, s19, 0
	s_waitcnt vmcnt(0)
	v_and_b32_e32 v2, 0xffff, v2
	v_lshlrev_b64 v[10:11], s16, v[2:3]
	s_add_u32 s16, s16, 8
	s_addc_u32 s17, s17, 0
	v_or_b32_e32 v22, v10, v22
	s_cmp_lg_u32 s20, s18
	v_or_b32_e32 v23, v11, v23
	s_cbranch_scc1 .LBB1_186
	s_branch .LBB1_189
.LBB1_187:                              ;   in Loop: Header=BB1_143 Depth=1
                                        ; implicit-def: $vgpr22_vgpr23
	s_mov_b32 s21, 0
	s_branch .LBB1_190
.LBB1_188:                              ;   in Loop: Header=BB1_143 Depth=1
	v_mov_b32_e32 v22, 0
	v_mov_b32_e32 v23, 0
.LBB1_189:                              ;   in Loop: Header=BB1_143 Depth=1
	s_mov_b64 s[16:17], s[4:5]
	s_mov_b32 s21, 0
	s_cbranch_execnz .LBB1_191
.LBB1_190:                              ;   in Loop: Header=BB1_143 Depth=1
	global_load_dwordx2 v[22:23], v3, s[4:5]
	s_add_i32 s21, s20, -8
.LBB1_191:                              ;   in Loop: Header=BB1_143 Depth=1
	s_cmp_gt_u32 s21, 7
	s_cbranch_scc1 .LBB1_195
; %bb.192:                              ;   in Loop: Header=BB1_143 Depth=1
	s_cmp_eq_u32 s21, 0
	s_cbranch_scc1 .LBB1_196
; %bb.193:                              ;   in Loop: Header=BB1_143 Depth=1
	v_mov_b32_e32 v24, 0
	s_mov_b64 s[4:5], 0
	v_mov_b32_e32 v25, 0
	s_mov_b64 s[18:19], s[16:17]
.LBB1_194:                              ;   Parent Loop BB1_143 Depth=1
                                        ; =>  This Inner Loop Header: Depth=2
	global_load_ubyte v2, v3, s[18:19]
	s_add_i32 s21, s21, -1
	s_waitcnt vmcnt(0)
	v_and_b32_e32 v2, 0xffff, v2
	v_lshlrev_b64 v[10:11], s4, v[2:3]
	s_add_u32 s4, s4, 8
	s_addc_u32 s5, s5, 0
	s_add_u32 s18, s18, 1
	s_addc_u32 s19, s19, 0
	v_or_b32_e32 v24, v10, v24
	s_cmp_lg_u32 s21, 0
	v_or_b32_e32 v25, v11, v25
	s_cbranch_scc1 .LBB1_194
	s_branch .LBB1_197
.LBB1_195:                              ;   in Loop: Header=BB1_143 Depth=1
	s_branch .LBB1_198
.LBB1_196:                              ;   in Loop: Header=BB1_143 Depth=1
	v_mov_b32_e32 v24, 0
	v_mov_b32_e32 v25, 0
.LBB1_197:                              ;   in Loop: Header=BB1_143 Depth=1
	s_cbranch_execnz .LBB1_199
.LBB1_198:                              ;   in Loop: Header=BB1_143 Depth=1
	global_load_dwordx2 v[24:25], v3, s[16:17]
.LBB1_199:                              ;   in Loop: Header=BB1_143 Depth=1
	v_readfirstlane_b32 s4, v34
	v_mov_b32_e32 v10, 0
	v_mov_b32_e32 v11, 0
	v_cmp_eq_u32_e64 s[4:5], s4, v34
	s_and_saveexec_b64 s[16:17], s[4:5]
	s_cbranch_execz .LBB1_205
; %bb.200:                              ;   in Loop: Header=BB1_143 Depth=1
	global_load_dwordx2 v[28:29], v3, s[10:11] offset:24 glc
	s_waitcnt vmcnt(0)
	buffer_wbinvl1_vol
	global_load_dwordx2 v[10:11], v3, s[10:11] offset:40
	global_load_dwordx2 v[26:27], v3, s[10:11]
	s_waitcnt vmcnt(1)
	v_and_b32_e32 v2, v10, v28
	v_and_b32_e32 v10, v11, v29
	v_mul_lo_u32 v10, v10, 24
	v_mul_hi_u32 v11, v2, 24
	v_mul_lo_u32 v2, v2, 24
	v_add_u32_e32 v11, v11, v10
	s_waitcnt vmcnt(0)
	v_add_co_u32_e32 v10, vcc, v26, v2
	v_addc_co_u32_e32 v11, vcc, v27, v11, vcc
	global_load_dwordx2 v[26:27], v[10:11], off glc
	s_waitcnt vmcnt(0)
	global_atomic_cmpswap_x2 v[10:11], v3, v[26:29], s[10:11] offset:24 glc
	s_waitcnt vmcnt(0)
	buffer_wbinvl1_vol
	v_cmp_ne_u64_e32 vcc, v[10:11], v[28:29]
	s_and_saveexec_b64 s[18:19], vcc
	s_cbranch_execz .LBB1_204
; %bb.201:                              ;   in Loop: Header=BB1_143 Depth=1
	s_mov_b64 s[20:21], 0
.LBB1_202:                              ;   Parent Loop BB1_143 Depth=1
                                        ; =>  This Inner Loop Header: Depth=2
	s_sleep 1
	global_load_dwordx2 v[26:27], v3, s[10:11] offset:40
	global_load_dwordx2 v[30:31], v3, s[10:11]
	v_mov_b32_e32 v29, v11
	v_mov_b32_e32 v28, v10
	s_waitcnt vmcnt(1)
	v_and_b32_e32 v2, v26, v28
	s_waitcnt vmcnt(0)
	v_mad_u64_u32 v[10:11], s[22:23], v2, 24, v[30:31]
	v_and_b32_e32 v26, v27, v29
	v_mov_b32_e32 v2, v11
	v_mad_u64_u32 v[26:27], s[22:23], v26, 24, v[2:3]
	v_mov_b32_e32 v11, v26
	global_load_dwordx2 v[26:27], v[10:11], off glc
	s_waitcnt vmcnt(0)
	global_atomic_cmpswap_x2 v[10:11], v3, v[26:29], s[10:11] offset:24 glc
	s_waitcnt vmcnt(0)
	buffer_wbinvl1_vol
	v_cmp_eq_u64_e32 vcc, v[10:11], v[28:29]
	s_or_b64 s[20:21], vcc, s[20:21]
	s_andn2_b64 exec, exec, s[20:21]
	s_cbranch_execnz .LBB1_202
; %bb.203:                              ;   in Loop: Header=BB1_143 Depth=1
	s_or_b64 exec, exec, s[20:21]
.LBB1_204:                              ;   in Loop: Header=BB1_143 Depth=1
	s_or_b64 exec, exec, s[18:19]
.LBB1_205:                              ;   in Loop: Header=BB1_143 Depth=1
	s_or_b64 exec, exec, s[16:17]
	global_load_dwordx2 v[30:31], v3, s[10:11] offset:40
	global_load_dwordx4 v[26:29], v3, s[10:11]
	v_readfirstlane_b32 s17, v11
	v_readfirstlane_b32 s16, v10
	s_mov_b64 s[18:19], exec
	s_waitcnt vmcnt(1)
	v_readfirstlane_b32 s20, v30
	v_readfirstlane_b32 s21, v31
	s_and_b64 s[20:21], s[20:21], s[16:17]
	s_mul_i32 s22, s21, 24
	s_mul_hi_u32 s23, s20, 24
	s_mul_i32 s24, s20, 24
	s_add_i32 s22, s23, s22
	v_mov_b32_e32 v2, s22
	s_waitcnt vmcnt(0)
	v_add_co_u32_e32 v30, vcc, s24, v26
	v_addc_co_u32_e32 v31, vcc, v27, v2, vcc
	s_and_saveexec_b64 s[22:23], s[4:5]
	s_cbranch_execz .LBB1_207
; %bb.206:                              ;   in Loop: Header=BB1_143 Depth=1
	v_mov_b32_e32 v10, s18
	v_mov_b32_e32 v11, s19
	global_store_dwordx4 v[30:31], v[10:13], off offset:8
.LBB1_207:                              ;   in Loop: Header=BB1_143 Depth=1
	s_or_b64 exec, exec, s[22:23]
	s_lshl_b64 s[18:19], s[20:21], 12
	v_mov_b32_e32 v2, s19
	v_add_co_u32_e32 v28, vcc, s18, v28
	v_addc_co_u32_e32 v29, vcc, v29, v2, vcc
	v_cmp_lt_u64_e64 vcc, s[12:13], 57
	s_lshl_b32 s18, s14, 2
	v_cndmask_b32_e32 v2, 0, v32, vcc
	s_add_i32 s18, s18, 28
	v_and_b32_e32 v6, 0xffffff1f, v6
	s_and_b32 s18, s18, 0x1e0
	v_or_b32_e32 v2, v6, v2
	v_or_b32_e32 v6, s18, v2
	v_readfirstlane_b32 s18, v28
	v_readfirstlane_b32 s19, v29
	s_nop 4
	global_store_dwordx4 v35, v[6:9], s[18:19]
	global_store_dwordx4 v35, v[14:17], s[18:19] offset:16
	global_store_dwordx4 v35, v[18:21], s[18:19] offset:32
	;; [unrolled: 1-line block ×3, first 2 shown]
	s_and_saveexec_b64 s[18:19], s[4:5]
	s_cbranch_execz .LBB1_215
; %bb.208:                              ;   in Loop: Header=BB1_143 Depth=1
	global_load_dwordx2 v[16:17], v3, s[10:11] offset:32 glc
	global_load_dwordx2 v[6:7], v3, s[10:11] offset:40
	v_mov_b32_e32 v14, s16
	v_mov_b32_e32 v15, s17
	s_waitcnt vmcnt(0)
	v_readfirstlane_b32 s20, v6
	v_readfirstlane_b32 s21, v7
	s_and_b64 s[20:21], s[20:21], s[16:17]
	s_mul_i32 s21, s21, 24
	s_mul_hi_u32 s22, s20, 24
	s_mul_i32 s20, s20, 24
	s_add_i32 s21, s22, s21
	v_mov_b32_e32 v2, s21
	v_add_co_u32_e32 v10, vcc, s20, v26
	v_addc_co_u32_e32 v11, vcc, v27, v2, vcc
	global_store_dwordx2 v[10:11], v[16:17], off
	s_waitcnt vmcnt(0)
	global_atomic_cmpswap_x2 v[8:9], v3, v[14:17], s[10:11] offset:32 glc
	s_waitcnt vmcnt(0)
	v_cmp_ne_u64_e32 vcc, v[8:9], v[16:17]
	s_and_saveexec_b64 s[20:21], vcc
	s_cbranch_execz .LBB1_211
; %bb.209:                              ;   in Loop: Header=BB1_143 Depth=1
	s_mov_b64 s[22:23], 0
.LBB1_210:                              ;   Parent Loop BB1_143 Depth=1
                                        ; =>  This Inner Loop Header: Depth=2
	s_sleep 1
	global_store_dwordx2 v[10:11], v[8:9], off
	v_mov_b32_e32 v6, s16
	v_mov_b32_e32 v7, s17
	s_waitcnt vmcnt(0)
	global_atomic_cmpswap_x2 v[6:7], v3, v[6:9], s[10:11] offset:32 glc
	s_waitcnt vmcnt(0)
	v_cmp_eq_u64_e32 vcc, v[6:7], v[8:9]
	v_mov_b32_e32 v9, v7
	s_or_b64 s[22:23], vcc, s[22:23]
	v_mov_b32_e32 v8, v6
	s_andn2_b64 exec, exec, s[22:23]
	s_cbranch_execnz .LBB1_210
.LBB1_211:                              ;   in Loop: Header=BB1_143 Depth=1
	s_or_b64 exec, exec, s[20:21]
	global_load_dwordx2 v[6:7], v3, s[10:11] offset:16
	s_mov_b64 s[22:23], exec
	v_mbcnt_lo_u32_b32 v2, s22, 0
	v_mbcnt_hi_u32_b32 v2, s23, v2
	v_cmp_eq_u32_e32 vcc, 0, v2
	s_and_saveexec_b64 s[20:21], vcc
	s_cbranch_execz .LBB1_213
; %bb.212:                              ;   in Loop: Header=BB1_143 Depth=1
	s_bcnt1_i32_b64 s22, s[22:23]
	v_mov_b32_e32 v2, s22
	s_waitcnt vmcnt(0)
	global_atomic_add_x2 v[6:7], v[2:3], off offset:8
.LBB1_213:                              ;   in Loop: Header=BB1_143 Depth=1
	s_or_b64 exec, exec, s[20:21]
	s_waitcnt vmcnt(0)
	global_load_dwordx2 v[8:9], v[6:7], off offset:16
	s_waitcnt vmcnt(0)
	v_cmp_eq_u64_e32 vcc, 0, v[8:9]
	s_cbranch_vccnz .LBB1_215
; %bb.214:                              ;   in Loop: Header=BB1_143 Depth=1
	global_load_dword v2, v[6:7], off offset:24
	s_waitcnt vmcnt(0)
	v_readfirstlane_b32 s20, v2
	s_and_b32 m0, s20, 0xffffff
	global_store_dwordx2 v[8:9], v[2:3], off
	s_sendmsg sendmsg(MSG_INTERRUPT)
.LBB1_215:                              ;   in Loop: Header=BB1_143 Depth=1
	s_or_b64 exec, exec, s[18:19]
	v_add_co_u32_e32 v6, vcc, v28, v35
	v_addc_co_u32_e32 v7, vcc, 0, v29, vcc
	s_branch .LBB1_219
.LBB1_216:                              ;   in Loop: Header=BB1_219 Depth=2
	s_or_b64 exec, exec, s[18:19]
	v_readfirstlane_b32 s18, v2
	s_cmp_eq_u32 s18, 0
	s_cbranch_scc1 .LBB1_218
; %bb.217:                              ;   in Loop: Header=BB1_219 Depth=2
	s_sleep 1
	s_cbranch_execnz .LBB1_219
	s_branch .LBB1_221
.LBB1_218:                              ;   in Loop: Header=BB1_143 Depth=1
	s_branch .LBB1_221
.LBB1_219:                              ;   Parent Loop BB1_143 Depth=1
                                        ; =>  This Inner Loop Header: Depth=2
	v_mov_b32_e32 v2, 1
	s_and_saveexec_b64 s[18:19], s[4:5]
	s_cbranch_execz .LBB1_216
; %bb.220:                              ;   in Loop: Header=BB1_219 Depth=2
	global_load_dword v2, v[30:31], off offset:20 glc
	s_waitcnt vmcnt(0)
	buffer_wbinvl1_vol
	v_and_b32_e32 v2, 1, v2
	s_branch .LBB1_216
.LBB1_221:                              ;   in Loop: Header=BB1_143 Depth=1
	global_load_dwordx2 v[6:7], v[6:7], off
	s_and_saveexec_b64 s[18:19], s[4:5]
	s_cbranch_execz .LBB1_142
; %bb.222:                              ;   in Loop: Header=BB1_143 Depth=1
	global_load_dwordx2 v[8:9], v3, s[10:11] offset:40
	global_load_dwordx2 v[18:19], v3, s[10:11] offset:24 glc
	global_load_dwordx2 v[10:11], v3, s[10:11]
	s_waitcnt vmcnt(2)
	v_readfirstlane_b32 s20, v8
	v_readfirstlane_b32 s21, v9
	s_add_u32 s22, s20, 1
	s_addc_u32 s23, s21, 0
	s_add_u32 s4, s22, s16
	s_addc_u32 s5, s23, s17
	s_cmp_eq_u64 s[4:5], 0
	s_cselect_b32 s5, s23, s5
	s_cselect_b32 s4, s22, s4
	s_and_b64 s[16:17], s[4:5], s[20:21]
	s_mul_i32 s17, s17, 24
	s_mul_hi_u32 s20, s16, 24
	s_mul_i32 s16, s16, 24
	s_add_i32 s17, s20, s17
	v_mov_b32_e32 v2, s17
	s_waitcnt vmcnt(0)
	v_add_co_u32_e32 v14, vcc, s16, v10
	v_addc_co_u32_e32 v15, vcc, v11, v2, vcc
	v_mov_b32_e32 v16, s4
	global_store_dwordx2 v[14:15], v[18:19], off
	v_mov_b32_e32 v17, s5
	s_waitcnt vmcnt(0)
	global_atomic_cmpswap_x2 v[10:11], v3, v[16:19], s[10:11] offset:24 glc
	s_waitcnt vmcnt(0)
	v_cmp_ne_u64_e32 vcc, v[10:11], v[18:19]
	s_and_b64 exec, exec, vcc
	s_cbranch_execz .LBB1_142
; %bb.223:                              ;   in Loop: Header=BB1_143 Depth=1
	s_mov_b64 s[16:17], 0
.LBB1_224:                              ;   Parent Loop BB1_143 Depth=1
                                        ; =>  This Inner Loop Header: Depth=2
	s_sleep 1
	global_store_dwordx2 v[14:15], v[10:11], off
	v_mov_b32_e32 v8, s4
	v_mov_b32_e32 v9, s5
	s_waitcnt vmcnt(0)
	global_atomic_cmpswap_x2 v[8:9], v3, v[8:11], s[10:11] offset:24 glc
	s_waitcnt vmcnt(0)
	v_cmp_eq_u64_e32 vcc, v[8:9], v[10:11]
	v_mov_b32_e32 v11, v9
	s_or_b64 s[16:17], vcc, s[16:17]
	v_mov_b32_e32 v10, v8
	s_andn2_b64 exec, exec, s[16:17]
	s_cbranch_execnz .LBB1_224
	s_branch .LBB1_142
.LBB1_225:
                                        ; implicit-def: $vgpr6_vgpr7
	s_cbranch_execnz .LBB1_227
	s_branch .LBB1_253
.LBB1_226:
	s_branch .LBB1_253
.LBB1_227:
	v_readfirstlane_b32 s4, v34
	v_mov_b32_e32 v10, 0
	v_mov_b32_e32 v11, 0
	v_cmp_eq_u32_e64 s[4:5], s4, v34
	s_and_saveexec_b64 s[6:7], s[4:5]
	s_cbranch_execz .LBB1_233
; %bb.228:
	v_mov_b32_e32 v2, 0
	global_load_dwordx2 v[8:9], v2, s[10:11] offset:24 glc
	s_waitcnt vmcnt(0)
	buffer_wbinvl1_vol
	global_load_dwordx2 v[6:7], v2, s[10:11] offset:40
	global_load_dwordx2 v[10:11], v2, s[10:11]
	s_waitcnt vmcnt(1)
	v_and_b32_e32 v3, v6, v8
	v_and_b32_e32 v6, v7, v9
	v_mul_lo_u32 v6, v6, 24
	v_mul_hi_u32 v7, v3, 24
	v_mul_lo_u32 v3, v3, 24
	v_add_u32_e32 v7, v7, v6
	s_waitcnt vmcnt(0)
	v_add_co_u32_e32 v6, vcc, v10, v3
	v_addc_co_u32_e32 v7, vcc, v11, v7, vcc
	global_load_dwordx2 v[6:7], v[6:7], off glc
	s_waitcnt vmcnt(0)
	global_atomic_cmpswap_x2 v[10:11], v2, v[6:9], s[10:11] offset:24 glc
	s_waitcnt vmcnt(0)
	buffer_wbinvl1_vol
	v_cmp_ne_u64_e32 vcc, v[10:11], v[8:9]
	s_and_saveexec_b64 s[12:13], vcc
	s_cbranch_execz .LBB1_232
; %bb.229:
	s_mov_b64 s[14:15], 0
.LBB1_230:                              ; =>This Inner Loop Header: Depth=1
	s_sleep 1
	global_load_dwordx2 v[6:7], v2, s[10:11] offset:40
	global_load_dwordx2 v[12:13], v2, s[10:11]
	v_mov_b32_e32 v8, v10
	v_mov_b32_e32 v9, v11
	s_waitcnt vmcnt(1)
	v_and_b32_e32 v3, v6, v8
	s_waitcnt vmcnt(0)
	v_mad_u64_u32 v[10:11], s[16:17], v3, 24, v[12:13]
	v_and_b32_e32 v6, v7, v9
	v_mov_b32_e32 v3, v11
	v_mad_u64_u32 v[6:7], s[16:17], v6, 24, v[3:4]
	v_mov_b32_e32 v11, v6
	global_load_dwordx2 v[6:7], v[10:11], off glc
	s_waitcnt vmcnt(0)
	global_atomic_cmpswap_x2 v[10:11], v2, v[6:9], s[10:11] offset:24 glc
	s_waitcnt vmcnt(0)
	buffer_wbinvl1_vol
	v_cmp_eq_u64_e32 vcc, v[10:11], v[8:9]
	s_or_b64 s[14:15], vcc, s[14:15]
	s_andn2_b64 exec, exec, s[14:15]
	s_cbranch_execnz .LBB1_230
; %bb.231:
	s_or_b64 exec, exec, s[14:15]
.LBB1_232:
	s_or_b64 exec, exec, s[12:13]
.LBB1_233:
	s_or_b64 exec, exec, s[6:7]
	v_mov_b32_e32 v2, 0
	global_load_dwordx2 v[12:13], v2, s[10:11] offset:40
	global_load_dwordx4 v[6:9], v2, s[10:11]
	v_readfirstlane_b32 s7, v11
	v_readfirstlane_b32 s6, v10
	s_mov_b64 s[12:13], exec
	s_waitcnt vmcnt(1)
	v_readfirstlane_b32 s14, v12
	v_readfirstlane_b32 s15, v13
	s_and_b64 s[14:15], s[14:15], s[6:7]
	s_mul_i32 s16, s15, 24
	s_mul_hi_u32 s17, s14, 24
	s_mul_i32 s18, s14, 24
	s_add_i32 s16, s17, s16
	v_mov_b32_e32 v3, s16
	s_waitcnt vmcnt(0)
	v_add_co_u32_e32 v10, vcc, s18, v6
	v_addc_co_u32_e32 v11, vcc, v7, v3, vcc
	s_and_saveexec_b64 s[16:17], s[4:5]
	s_cbranch_execz .LBB1_235
; %bb.234:
	v_mov_b32_e32 v12, s12
	v_mov_b32_e32 v13, s13
	v_mov_b32_e32 v14, 2
	v_mov_b32_e32 v15, 1
	global_store_dwordx4 v[10:11], v[12:15], off offset:8
.LBB1_235:
	s_or_b64 exec, exec, s[16:17]
	s_lshl_b64 s[12:13], s[14:15], 12
	v_mov_b32_e32 v3, s13
	v_add_co_u32_e32 v12, vcc, s12, v8
	v_addc_co_u32_e32 v13, vcc, v9, v3, vcc
	s_movk_i32 s12, 0xff1f
	v_and_or_b32 v0, v0, s12, 32
	s_mov_b32 s12, 0
	v_mov_b32_e32 v3, v2
	v_readfirstlane_b32 s16, v12
	v_readfirstlane_b32 s17, v13
	v_add_co_u32_e32 v8, vcc, v12, v35
	s_mov_b32 s13, s12
	s_mov_b32 s14, s12
	;; [unrolled: 1-line block ×3, first 2 shown]
	s_nop 0
	global_store_dwordx4 v35, v[0:3], s[16:17]
	v_addc_co_u32_e32 v9, vcc, 0, v13, vcc
	v_mov_b32_e32 v0, s12
	v_mov_b32_e32 v1, s13
	;; [unrolled: 1-line block ×4, first 2 shown]
	global_store_dwordx4 v35, v[0:3], s[16:17] offset:16
	global_store_dwordx4 v35, v[0:3], s[16:17] offset:32
	;; [unrolled: 1-line block ×3, first 2 shown]
	s_and_saveexec_b64 s[12:13], s[4:5]
	s_cbranch_execz .LBB1_243
; %bb.236:
	v_mov_b32_e32 v12, 0
	global_load_dwordx2 v[15:16], v12, s[10:11] offset:32 glc
	global_load_dwordx2 v[0:1], v12, s[10:11] offset:40
	v_mov_b32_e32 v13, s6
	v_mov_b32_e32 v14, s7
	s_waitcnt vmcnt(0)
	v_readfirstlane_b32 s14, v0
	v_readfirstlane_b32 s15, v1
	s_and_b64 s[14:15], s[14:15], s[6:7]
	s_mul_i32 s15, s15, 24
	s_mul_hi_u32 s16, s14, 24
	s_mul_i32 s14, s14, 24
	s_add_i32 s15, s16, s15
	v_mov_b32_e32 v0, s15
	v_add_co_u32_e32 v6, vcc, s14, v6
	v_addc_co_u32_e32 v7, vcc, v7, v0, vcc
	global_store_dwordx2 v[6:7], v[15:16], off
	s_waitcnt vmcnt(0)
	global_atomic_cmpswap_x2 v[2:3], v12, v[13:16], s[10:11] offset:32 glc
	s_waitcnt vmcnt(0)
	v_cmp_ne_u64_e32 vcc, v[2:3], v[15:16]
	s_and_saveexec_b64 s[14:15], vcc
	s_cbranch_execz .LBB1_239
; %bb.237:
	s_mov_b64 s[16:17], 0
.LBB1_238:                              ; =>This Inner Loop Header: Depth=1
	s_sleep 1
	global_store_dwordx2 v[6:7], v[2:3], off
	v_mov_b32_e32 v0, s6
	v_mov_b32_e32 v1, s7
	s_waitcnt vmcnt(0)
	global_atomic_cmpswap_x2 v[0:1], v12, v[0:3], s[10:11] offset:32 glc
	s_waitcnt vmcnt(0)
	v_cmp_eq_u64_e32 vcc, v[0:1], v[2:3]
	v_mov_b32_e32 v3, v1
	s_or_b64 s[16:17], vcc, s[16:17]
	v_mov_b32_e32 v2, v0
	s_andn2_b64 exec, exec, s[16:17]
	s_cbranch_execnz .LBB1_238
.LBB1_239:
	s_or_b64 exec, exec, s[14:15]
	v_mov_b32_e32 v3, 0
	global_load_dwordx2 v[0:1], v3, s[10:11] offset:16
	s_mov_b64 s[14:15], exec
	v_mbcnt_lo_u32_b32 v2, s14, 0
	v_mbcnt_hi_u32_b32 v2, s15, v2
	v_cmp_eq_u32_e32 vcc, 0, v2
	s_and_saveexec_b64 s[16:17], vcc
	s_cbranch_execz .LBB1_241
; %bb.240:
	s_bcnt1_i32_b64 s14, s[14:15]
	v_mov_b32_e32 v2, s14
	s_waitcnt vmcnt(0)
	global_atomic_add_x2 v[0:1], v[2:3], off offset:8
.LBB1_241:
	s_or_b64 exec, exec, s[16:17]
	s_waitcnt vmcnt(0)
	global_load_dwordx2 v[2:3], v[0:1], off offset:16
	s_waitcnt vmcnt(0)
	v_cmp_eq_u64_e32 vcc, 0, v[2:3]
	s_cbranch_vccnz .LBB1_243
; %bb.242:
	global_load_dword v0, v[0:1], off offset:24
	v_mov_b32_e32 v1, 0
	s_waitcnt vmcnt(0)
	v_readfirstlane_b32 s14, v0
	s_and_b32 m0, s14, 0xffffff
	global_store_dwordx2 v[2:3], v[0:1], off
	s_sendmsg sendmsg(MSG_INTERRUPT)
.LBB1_243:
	s_or_b64 exec, exec, s[12:13]
	s_branch .LBB1_247
.LBB1_244:                              ;   in Loop: Header=BB1_247 Depth=1
	s_or_b64 exec, exec, s[12:13]
	v_readfirstlane_b32 s12, v0
	s_cmp_eq_u32 s12, 0
	s_cbranch_scc1 .LBB1_246
; %bb.245:                              ;   in Loop: Header=BB1_247 Depth=1
	s_sleep 1
	s_cbranch_execnz .LBB1_247
	s_branch .LBB1_249
.LBB1_246:
	s_branch .LBB1_249
.LBB1_247:                              ; =>This Inner Loop Header: Depth=1
	v_mov_b32_e32 v0, 1
	s_and_saveexec_b64 s[12:13], s[4:5]
	s_cbranch_execz .LBB1_244
; %bb.248:                              ;   in Loop: Header=BB1_247 Depth=1
	global_load_dword v0, v[10:11], off offset:20 glc
	s_waitcnt vmcnt(0)
	buffer_wbinvl1_vol
	v_and_b32_e32 v0, 1, v0
	s_branch .LBB1_244
.LBB1_249:
	global_load_dwordx2 v[6:7], v[8:9], off
	s_and_saveexec_b64 s[12:13], s[4:5]
	s_cbranch_execz .LBB1_252
; %bb.250:
	v_mov_b32_e32 v10, 0
	global_load_dwordx2 v[0:1], v10, s[10:11] offset:40
	global_load_dwordx2 v[13:14], v10, s[10:11] offset:24 glc
	global_load_dwordx2 v[2:3], v10, s[10:11]
	s_waitcnt vmcnt(2)
	v_readfirstlane_b32 s14, v0
	v_readfirstlane_b32 s15, v1
	s_add_u32 s16, s14, 1
	s_addc_u32 s17, s15, 0
	s_add_u32 s4, s16, s6
	s_addc_u32 s5, s17, s7
	s_cmp_eq_u64 s[4:5], 0
	s_cselect_b32 s5, s17, s5
	s_cselect_b32 s4, s16, s4
	s_and_b64 s[6:7], s[4:5], s[14:15]
	s_mul_i32 s7, s7, 24
	s_mul_hi_u32 s14, s6, 24
	s_mul_i32 s6, s6, 24
	s_add_i32 s7, s14, s7
	v_mov_b32_e32 v0, s7
	s_waitcnt vmcnt(0)
	v_add_co_u32_e32 v8, vcc, s6, v2
	v_addc_co_u32_e32 v9, vcc, v3, v0, vcc
	v_mov_b32_e32 v11, s4
	global_store_dwordx2 v[8:9], v[13:14], off
	v_mov_b32_e32 v12, s5
	s_waitcnt vmcnt(0)
	global_atomic_cmpswap_x2 v[2:3], v10, v[11:14], s[10:11] offset:24 glc
	s_mov_b64 s[6:7], 0
	s_waitcnt vmcnt(0)
	v_cmp_ne_u64_e32 vcc, v[2:3], v[13:14]
	s_and_b64 exec, exec, vcc
	s_cbranch_execz .LBB1_252
.LBB1_251:                              ; =>This Inner Loop Header: Depth=1
	s_sleep 1
	global_store_dwordx2 v[8:9], v[2:3], off
	v_mov_b32_e32 v0, s4
	v_mov_b32_e32 v1, s5
	s_waitcnt vmcnt(0)
	global_atomic_cmpswap_x2 v[0:1], v10, v[0:3], s[10:11] offset:24 glc
	s_waitcnt vmcnt(0)
	v_cmp_eq_u64_e32 vcc, v[0:1], v[2:3]
	v_mov_b32_e32 v3, v1
	s_or_b64 s[6:7], vcc, s[6:7]
	v_mov_b32_e32 v2, v0
	s_andn2_b64 exec, exec, s[6:7]
	s_cbranch_execnz .LBB1_251
.LBB1_252:
	s_or_b64 exec, exec, s[12:13]
.LBB1_253:
	v_readfirstlane_b32 s4, v34
	v_mov_b32_e32 v10, 0
	v_mov_b32_e32 v11, 0
	v_cmp_eq_u32_e64 s[4:5], s4, v34
	s_and_saveexec_b64 s[6:7], s[4:5]
	s_cbranch_execz .LBB1_259
; %bb.254:
	s_waitcnt vmcnt(0)
	v_mov_b32_e32 v0, 0
	global_load_dwordx2 v[12:13], v0, s[10:11] offset:24 glc
	s_waitcnt vmcnt(0)
	buffer_wbinvl1_vol
	global_load_dwordx2 v[1:2], v0, s[10:11] offset:40
	global_load_dwordx2 v[8:9], v0, s[10:11]
	s_waitcnt vmcnt(1)
	v_and_b32_e32 v1, v1, v12
	v_and_b32_e32 v2, v2, v13
	v_mul_lo_u32 v2, v2, 24
	v_mul_hi_u32 v3, v1, 24
	v_mul_lo_u32 v1, v1, 24
	v_add_u32_e32 v2, v3, v2
	s_waitcnt vmcnt(0)
	v_add_co_u32_e32 v1, vcc, v8, v1
	v_addc_co_u32_e32 v2, vcc, v9, v2, vcc
	global_load_dwordx2 v[10:11], v[1:2], off glc
	s_waitcnt vmcnt(0)
	global_atomic_cmpswap_x2 v[10:11], v0, v[10:13], s[10:11] offset:24 glc
	s_waitcnt vmcnt(0)
	buffer_wbinvl1_vol
	v_cmp_ne_u64_e32 vcc, v[10:11], v[12:13]
	s_and_saveexec_b64 s[12:13], vcc
	s_cbranch_execz .LBB1_258
; %bb.255:
	s_mov_b64 s[14:15], 0
.LBB1_256:                              ; =>This Inner Loop Header: Depth=1
	s_sleep 1
	global_load_dwordx2 v[1:2], v0, s[10:11] offset:40
	global_load_dwordx2 v[8:9], v0, s[10:11]
	v_mov_b32_e32 v13, v11
	v_mov_b32_e32 v12, v10
	s_waitcnt vmcnt(1)
	v_and_b32_e32 v1, v1, v12
	s_waitcnt vmcnt(0)
	v_mad_u64_u32 v[8:9], s[16:17], v1, 24, v[8:9]
	v_and_b32_e32 v2, v2, v13
	v_mov_b32_e32 v1, v9
	v_mad_u64_u32 v[1:2], s[16:17], v2, 24, v[1:2]
	v_mov_b32_e32 v9, v1
	global_load_dwordx2 v[10:11], v[8:9], off glc
	s_waitcnt vmcnt(0)
	global_atomic_cmpswap_x2 v[10:11], v0, v[10:13], s[10:11] offset:24 glc
	s_waitcnt vmcnt(0)
	buffer_wbinvl1_vol
	v_cmp_eq_u64_e32 vcc, v[10:11], v[12:13]
	s_or_b64 s[14:15], vcc, s[14:15]
	s_andn2_b64 exec, exec, s[14:15]
	s_cbranch_execnz .LBB1_256
; %bb.257:
	s_or_b64 exec, exec, s[14:15]
.LBB1_258:
	s_or_b64 exec, exec, s[12:13]
.LBB1_259:
	s_or_b64 exec, exec, s[6:7]
	v_mov_b32_e32 v9, 0
	global_load_dwordx2 v[12:13], v9, s[10:11] offset:40
	global_load_dwordx4 v[0:3], v9, s[10:11]
	v_readfirstlane_b32 s7, v11
	v_readfirstlane_b32 s6, v10
	s_mov_b64 s[12:13], exec
	s_waitcnt vmcnt(1)
	v_readfirstlane_b32 s14, v12
	v_readfirstlane_b32 s15, v13
	s_and_b64 s[14:15], s[14:15], s[6:7]
	s_mul_i32 s16, s15, 24
	s_mul_hi_u32 s17, s14, 24
	s_mul_i32 s18, s14, 24
	s_add_i32 s16, s17, s16
	v_mov_b32_e32 v8, s16
	s_waitcnt vmcnt(0)
	v_add_co_u32_e32 v10, vcc, s18, v0
	v_addc_co_u32_e32 v11, vcc, v1, v8, vcc
	s_and_saveexec_b64 s[16:17], s[4:5]
	s_cbranch_execz .LBB1_261
; %bb.260:
	v_mov_b32_e32 v12, s12
	v_mov_b32_e32 v13, s13
	v_mov_b32_e32 v14, 2
	v_mov_b32_e32 v15, 1
	global_store_dwordx4 v[10:11], v[12:15], off offset:8
.LBB1_261:
	s_or_b64 exec, exec, s[16:17]
	s_lshl_b64 s[12:13], s[14:15], 12
	v_mov_b32_e32 v8, s13
	v_add_co_u32_e32 v2, vcc, s12, v2
	v_addc_co_u32_e32 v3, vcc, v3, v8, vcc
	s_movk_i32 s12, 0xff1f
	v_and_or_b32 v6, v6, s12, 32
	s_mov_b32 s12, 0
	v_mov_b32_e32 v8, 0x331
	v_readfirstlane_b32 s16, v2
	v_readfirstlane_b32 s17, v3
	v_add_co_u32_e32 v12, vcc, v2, v35
	s_mov_b32 s13, s12
	s_mov_b32 s14, s12
	;; [unrolled: 1-line block ×3, first 2 shown]
	s_nop 0
	global_store_dwordx4 v35, v[6:9], s[16:17]
	v_addc_co_u32_e32 v13, vcc, 0, v3, vcc
	v_mov_b32_e32 v6, s12
	v_mov_b32_e32 v7, s13
	;; [unrolled: 1-line block ×4, first 2 shown]
	global_store_dwordx4 v35, v[6:9], s[16:17] offset:16
	global_store_dwordx4 v35, v[6:9], s[16:17] offset:32
	;; [unrolled: 1-line block ×3, first 2 shown]
	s_and_saveexec_b64 s[12:13], s[4:5]
	s_cbranch_execz .LBB1_269
; %bb.262:
	v_mov_b32_e32 v8, 0
	global_load_dwordx2 v[16:17], v8, s[10:11] offset:32 glc
	global_load_dwordx2 v[2:3], v8, s[10:11] offset:40
	v_mov_b32_e32 v14, s6
	v_mov_b32_e32 v15, s7
	s_waitcnt vmcnt(0)
	v_readfirstlane_b32 s14, v2
	v_readfirstlane_b32 s15, v3
	s_and_b64 s[14:15], s[14:15], s[6:7]
	s_mul_i32 s15, s15, 24
	s_mul_hi_u32 s16, s14, 24
	s_mul_i32 s14, s14, 24
	s_add_i32 s15, s16, s15
	v_mov_b32_e32 v2, s15
	v_add_co_u32_e32 v6, vcc, s14, v0
	v_addc_co_u32_e32 v7, vcc, v1, v2, vcc
	global_store_dwordx2 v[6:7], v[16:17], off
	s_waitcnt vmcnt(0)
	global_atomic_cmpswap_x2 v[2:3], v8, v[14:17], s[10:11] offset:32 glc
	s_waitcnt vmcnt(0)
	v_cmp_ne_u64_e32 vcc, v[2:3], v[16:17]
	s_and_saveexec_b64 s[14:15], vcc
	s_cbranch_execz .LBB1_265
; %bb.263:
	s_mov_b64 s[16:17], 0
.LBB1_264:                              ; =>This Inner Loop Header: Depth=1
	s_sleep 1
	global_store_dwordx2 v[6:7], v[2:3], off
	v_mov_b32_e32 v0, s6
	v_mov_b32_e32 v1, s7
	s_waitcnt vmcnt(0)
	global_atomic_cmpswap_x2 v[0:1], v8, v[0:3], s[10:11] offset:32 glc
	s_waitcnt vmcnt(0)
	v_cmp_eq_u64_e32 vcc, v[0:1], v[2:3]
	v_mov_b32_e32 v3, v1
	s_or_b64 s[16:17], vcc, s[16:17]
	v_mov_b32_e32 v2, v0
	s_andn2_b64 exec, exec, s[16:17]
	s_cbranch_execnz .LBB1_264
.LBB1_265:
	s_or_b64 exec, exec, s[14:15]
	v_mov_b32_e32 v3, 0
	global_load_dwordx2 v[0:1], v3, s[10:11] offset:16
	s_mov_b64 s[14:15], exec
	v_mbcnt_lo_u32_b32 v2, s14, 0
	v_mbcnt_hi_u32_b32 v2, s15, v2
	v_cmp_eq_u32_e32 vcc, 0, v2
	s_and_saveexec_b64 s[16:17], vcc
	s_cbranch_execz .LBB1_267
; %bb.266:
	s_bcnt1_i32_b64 s14, s[14:15]
	v_mov_b32_e32 v2, s14
	s_waitcnt vmcnt(0)
	global_atomic_add_x2 v[0:1], v[2:3], off offset:8
.LBB1_267:
	s_or_b64 exec, exec, s[16:17]
	s_waitcnt vmcnt(0)
	global_load_dwordx2 v[2:3], v[0:1], off offset:16
	s_waitcnt vmcnt(0)
	v_cmp_eq_u64_e32 vcc, 0, v[2:3]
	s_cbranch_vccnz .LBB1_269
; %bb.268:
	global_load_dword v0, v[0:1], off offset:24
	v_mov_b32_e32 v1, 0
	s_waitcnt vmcnt(0)
	v_readfirstlane_b32 s14, v0
	s_and_b32 m0, s14, 0xffffff
	global_store_dwordx2 v[2:3], v[0:1], off
	s_sendmsg sendmsg(MSG_INTERRUPT)
.LBB1_269:
	s_or_b64 exec, exec, s[12:13]
	s_branch .LBB1_273
.LBB1_270:                              ;   in Loop: Header=BB1_273 Depth=1
	s_or_b64 exec, exec, s[12:13]
	v_readfirstlane_b32 s12, v0
	s_cmp_eq_u32 s12, 0
	s_cbranch_scc1 .LBB1_272
; %bb.271:                              ;   in Loop: Header=BB1_273 Depth=1
	s_sleep 1
	s_cbranch_execnz .LBB1_273
	s_branch .LBB1_275
.LBB1_272:
	s_branch .LBB1_275
.LBB1_273:                              ; =>This Inner Loop Header: Depth=1
	v_mov_b32_e32 v0, 1
	s_and_saveexec_b64 s[12:13], s[4:5]
	s_cbranch_execz .LBB1_270
; %bb.274:                              ;   in Loop: Header=BB1_273 Depth=1
	global_load_dword v0, v[10:11], off offset:20 glc
	s_waitcnt vmcnt(0)
	buffer_wbinvl1_vol
	v_and_b32_e32 v0, 1, v0
	s_branch .LBB1_270
.LBB1_275:
	global_load_dwordx2 v[0:1], v[12:13], off
	s_and_saveexec_b64 s[12:13], s[4:5]
	s_cbranch_execz .LBB1_278
; %bb.276:
	v_mov_b32_e32 v10, 0
	global_load_dwordx2 v[2:3], v10, s[10:11] offset:40
	global_load_dwordx2 v[13:14], v10, s[10:11] offset:24 glc
	global_load_dwordx2 v[6:7], v10, s[10:11]
	s_waitcnt vmcnt(2)
	v_readfirstlane_b32 s14, v2
	v_readfirstlane_b32 s15, v3
	s_add_u32 s16, s14, 1
	s_addc_u32 s17, s15, 0
	s_add_u32 s4, s16, s6
	s_addc_u32 s5, s17, s7
	s_cmp_eq_u64 s[4:5], 0
	s_cselect_b32 s5, s17, s5
	s_cselect_b32 s4, s16, s4
	s_and_b64 s[6:7], s[4:5], s[14:15]
	s_mul_i32 s7, s7, 24
	s_mul_hi_u32 s14, s6, 24
	s_mul_i32 s6, s6, 24
	s_add_i32 s7, s14, s7
	v_mov_b32_e32 v3, s7
	s_waitcnt vmcnt(0)
	v_add_co_u32_e32 v2, vcc, s6, v6
	v_addc_co_u32_e32 v3, vcc, v7, v3, vcc
	v_mov_b32_e32 v11, s4
	global_store_dwordx2 v[2:3], v[13:14], off
	v_mov_b32_e32 v12, s5
	s_waitcnt vmcnt(0)
	global_atomic_cmpswap_x2 v[8:9], v10, v[11:14], s[10:11] offset:24 glc
	s_mov_b64 s[6:7], 0
	s_waitcnt vmcnt(0)
	v_cmp_ne_u64_e32 vcc, v[8:9], v[13:14]
	s_and_b64 exec, exec, vcc
	s_cbranch_execz .LBB1_278
.LBB1_277:                              ; =>This Inner Loop Header: Depth=1
	s_sleep 1
	global_store_dwordx2 v[2:3], v[8:9], off
	v_mov_b32_e32 v6, s4
	v_mov_b32_e32 v7, s5
	s_waitcnt vmcnt(0)
	global_atomic_cmpswap_x2 v[6:7], v10, v[6:9], s[10:11] offset:24 glc
	s_waitcnt vmcnt(0)
	v_cmp_eq_u64_e32 vcc, v[6:7], v[8:9]
	v_mov_b32_e32 v9, v7
	s_or_b64 s[6:7], vcc, s[6:7]
	v_mov_b32_e32 v8, v6
	s_andn2_b64 exec, exec, s[6:7]
	s_cbranch_execnz .LBB1_277
.LBB1_278:
	s_or_b64 exec, exec, s[12:13]
	v_mov_b32_e32 v7, v5
	s_mov_b64 s[4:5], 0
	v_mov_b32_e32 v6, v4
.LBB1_279:                              ; =>This Inner Loop Header: Depth=1
	global_load_ubyte v8, v[6:7], off
	v_add_co_u32_e32 v2, vcc, 1, v6
	v_addc_co_u32_e32 v3, vcc, 0, v7, vcc
	v_mov_b32_e32 v7, v3
	v_mov_b32_e32 v6, v2
	s_waitcnt vmcnt(0)
	v_cmp_eq_u16_e32 vcc, 0, v8
	s_or_b64 s[4:5], vcc, s[4:5]
	s_andn2_b64 exec, exec, s[4:5]
	s_cbranch_execnz .LBB1_279
; %bb.280:
	s_or_b64 exec, exec, s[4:5]
	v_cmp_ne_u64_e32 vcc, 0, v[4:5]
	s_mov_b64 s[12:13], 0
	s_and_saveexec_b64 s[4:5], vcc
	s_xor_b64 s[6:7], exec, s[4:5]
	s_cbranch_execz .LBB1_366
; %bb.281:
	v_sub_u32_e32 v26, v2, v4
	v_ashrrev_i32_e32 v27, 31, v26
	v_and_b32_e32 v36, 2, v0
	v_mov_b32_e32 v29, 0
	v_and_b32_e32 v0, -3, v0
	s_mov_b32 s22, 0
	s_movk_i32 s23, 0x1e0
	v_mov_b32_e32 v8, 2
	v_mov_b32_e32 v9, 1
	s_branch .LBB1_283
.LBB1_282:                              ;   in Loop: Header=BB1_283 Depth=1
	s_or_b64 exec, exec, s[16:17]
	v_sub_co_u32_e32 v26, vcc, v26, v30
	v_subb_co_u32_e32 v27, vcc, v27, v31, vcc
	v_cmp_eq_u64_e32 vcc, 0, v[26:27]
	s_or_b64 s[12:13], vcc, s[12:13]
	v_add_co_u32_e32 v4, vcc, v4, v30
	v_addc_co_u32_e32 v5, vcc, v5, v31, vcc
	s_andn2_b64 exec, exec, s[12:13]
	s_cbranch_execz .LBB1_365
.LBB1_283:                              ; =>This Loop Header: Depth=1
                                        ;     Child Loop BB1_286 Depth 2
                                        ;     Child Loop BB1_294 Depth 2
	;; [unrolled: 1-line block ×11, first 2 shown]
	v_cmp_gt_u64_e32 vcc, 56, v[26:27]
	v_add_co_u32_e64 v12, s[4:5], 8, v4
	v_cndmask_b32_e32 v31, 0, v27, vcc
	v_cndmask_b32_e32 v30, 56, v26, vcc
	v_cmp_gt_u64_e32 vcc, 8, v[26:27]
	v_addc_co_u32_e64 v13, s[4:5], 0, v5, s[4:5]
	s_and_saveexec_b64 s[4:5], vcc
	s_xor_b64 s[4:5], exec, s[4:5]
	s_cbranch_execz .LBB1_289
; %bb.284:                              ;   in Loop: Header=BB1_283 Depth=1
	v_mov_b32_e32 v2, 0
	v_cmp_ne_u64_e32 vcc, 0, v[26:27]
	v_mov_b32_e32 v3, 0
	s_and_saveexec_b64 s[14:15], vcc
	s_cbranch_execz .LBB1_288
; %bb.285:                              ;   in Loop: Header=BB1_283 Depth=1
	v_lshlrev_b64 v[6:7], 3, v[30:31]
	v_mov_b32_e32 v2, 0
	v_mov_b32_e32 v11, v5
	s_mov_b64 s[16:17], 0
	v_mov_b32_e32 v3, 0
	v_mov_b32_e32 v10, v4
	s_mov_b64 s[18:19], 0
.LBB1_286:                              ;   Parent Loop BB1_283 Depth=1
                                        ; =>  This Inner Loop Header: Depth=2
	global_load_ubyte v7, v[10:11], off
	v_mov_b32_e32 v13, s22
	v_add_co_u32_e32 v10, vcc, 1, v10
	v_addc_co_u32_e32 v11, vcc, 0, v11, vcc
	s_waitcnt vmcnt(0)
	v_and_b32_e32 v12, 0xffff, v7
	v_lshlrev_b64 v[12:13], s18, v[12:13]
	s_add_u32 s18, s18, 8
	s_addc_u32 s19, s19, 0
	v_cmp_eq_u32_e32 vcc, s18, v6
	v_or_b32_e32 v3, v13, v3
	s_or_b64 s[16:17], vcc, s[16:17]
	v_or_b32_e32 v2, v12, v2
	s_andn2_b64 exec, exec, s[16:17]
	s_cbranch_execnz .LBB1_286
; %bb.287:                              ;   in Loop: Header=BB1_283 Depth=1
	s_or_b64 exec, exec, s[16:17]
.LBB1_288:                              ;   in Loop: Header=BB1_283 Depth=1
	s_or_b64 exec, exec, s[14:15]
	v_mov_b32_e32 v13, v5
	v_mov_b32_e32 v12, v4
.LBB1_289:                              ;   in Loop: Header=BB1_283 Depth=1
	s_or_saveexec_b64 s[4:5], s[4:5]
	v_mov_b32_e32 v14, 0
	s_xor_b64 exec, exec, s[4:5]
	s_cbranch_execz .LBB1_291
; %bb.290:                              ;   in Loop: Header=BB1_283 Depth=1
	global_load_dwordx2 v[2:3], v[4:5], off
	v_add_u32_e32 v14, -8, v30
.LBB1_291:                              ;   in Loop: Header=BB1_283 Depth=1
	s_or_b64 exec, exec, s[4:5]
	v_add_co_u32_e64 v6, s[4:5], 8, v12
	v_cmp_gt_u32_e32 vcc, 8, v14
	v_addc_co_u32_e64 v7, s[4:5], 0, v13, s[4:5]
                                        ; implicit-def: $vgpr10_vgpr11
	s_and_saveexec_b64 s[4:5], vcc
	s_xor_b64 s[4:5], exec, s[4:5]
	s_cbranch_execz .LBB1_297
; %bb.292:                              ;   in Loop: Header=BB1_283 Depth=1
	v_mov_b32_e32 v10, 0
	v_mov_b32_e32 v11, 0
	v_cmp_ne_u32_e32 vcc, 0, v14
	s_and_saveexec_b64 s[14:15], vcc
	s_cbranch_execz .LBB1_296
; %bb.293:                              ;   in Loop: Header=BB1_283 Depth=1
	v_mov_b32_e32 v10, 0
	s_mov_b64 s[16:17], 0
	v_mov_b32_e32 v11, 0
	s_mov_b64 s[18:19], 0
	s_mov_b64 s[20:21], 0
.LBB1_294:                              ;   Parent Loop BB1_283 Depth=1
                                        ; =>  This Inner Loop Header: Depth=2
	v_mov_b32_e32 v7, s21
	v_add_co_u32_e32 v6, vcc, s20, v12
	v_addc_co_u32_e32 v7, vcc, v13, v7, vcc
	global_load_ubyte v6, v[6:7], off
	s_add_u32 s20, s20, 1
	v_mov_b32_e32 v7, s22
	s_addc_u32 s21, s21, 0
	v_cmp_eq_u32_e32 vcc, s20, v14
	s_waitcnt vmcnt(0)
	v_and_b32_e32 v6, 0xffff, v6
	v_lshlrev_b64 v[6:7], s18, v[6:7]
	s_add_u32 s18, s18, 8
	s_addc_u32 s19, s19, 0
	v_or_b32_e32 v11, v7, v11
	s_or_b64 s[16:17], vcc, s[16:17]
	v_or_b32_e32 v10, v6, v10
	s_andn2_b64 exec, exec, s[16:17]
	s_cbranch_execnz .LBB1_294
; %bb.295:                              ;   in Loop: Header=BB1_283 Depth=1
	s_or_b64 exec, exec, s[16:17]
.LBB1_296:                              ;   in Loop: Header=BB1_283 Depth=1
	s_or_b64 exec, exec, s[14:15]
	v_mov_b32_e32 v6, v12
	v_mov_b32_e32 v7, v13
                                        ; implicit-def: $vgpr14
.LBB1_297:                              ;   in Loop: Header=BB1_283 Depth=1
	s_or_saveexec_b64 s[4:5], s[4:5]
	v_mov_b32_e32 v15, 0
	s_xor_b64 exec, exec, s[4:5]
	s_cbranch_execz .LBB1_299
; %bb.298:                              ;   in Loop: Header=BB1_283 Depth=1
	global_load_dwordx2 v[10:11], v[12:13], off
	v_add_u32_e32 v15, -8, v14
.LBB1_299:                              ;   in Loop: Header=BB1_283 Depth=1
	s_or_b64 exec, exec, s[4:5]
	v_add_co_u32_e64 v16, s[4:5], 8, v6
	v_cmp_gt_u32_e32 vcc, 8, v15
	v_addc_co_u32_e64 v17, s[4:5], 0, v7, s[4:5]
	s_and_saveexec_b64 s[4:5], vcc
	s_xor_b64 s[4:5], exec, s[4:5]
	s_cbranch_execz .LBB1_305
; %bb.300:                              ;   in Loop: Header=BB1_283 Depth=1
	v_mov_b32_e32 v12, 0
	v_mov_b32_e32 v13, 0
	v_cmp_ne_u32_e32 vcc, 0, v15
	s_and_saveexec_b64 s[14:15], vcc
	s_cbranch_execz .LBB1_304
; %bb.301:                              ;   in Loop: Header=BB1_283 Depth=1
	v_mov_b32_e32 v12, 0
	s_mov_b64 s[16:17], 0
	v_mov_b32_e32 v13, 0
	s_mov_b64 s[18:19], 0
	s_mov_b64 s[20:21], 0
.LBB1_302:                              ;   Parent Loop BB1_283 Depth=1
                                        ; =>  This Inner Loop Header: Depth=2
	v_mov_b32_e32 v14, s21
	v_add_co_u32_e32 v16, vcc, s20, v6
	v_addc_co_u32_e32 v17, vcc, v7, v14, vcc
	global_load_ubyte v14, v[16:17], off
	s_add_u32 s20, s20, 1
	v_mov_b32_e32 v17, s22
	s_addc_u32 s21, s21, 0
	v_cmp_eq_u32_e32 vcc, s20, v15
	s_waitcnt vmcnt(0)
	v_and_b32_e32 v16, 0xffff, v14
	v_lshlrev_b64 v[16:17], s18, v[16:17]
	s_add_u32 s18, s18, 8
	s_addc_u32 s19, s19, 0
	v_or_b32_e32 v13, v17, v13
	s_or_b64 s[16:17], vcc, s[16:17]
	v_or_b32_e32 v12, v16, v12
	s_andn2_b64 exec, exec, s[16:17]
	s_cbranch_execnz .LBB1_302
; %bb.303:                              ;   in Loop: Header=BB1_283 Depth=1
	s_or_b64 exec, exec, s[16:17]
.LBB1_304:                              ;   in Loop: Header=BB1_283 Depth=1
	s_or_b64 exec, exec, s[14:15]
	v_mov_b32_e32 v17, v7
	v_mov_b32_e32 v16, v6
                                        ; implicit-def: $vgpr15
.LBB1_305:                              ;   in Loop: Header=BB1_283 Depth=1
	s_or_saveexec_b64 s[4:5], s[4:5]
	v_mov_b32_e32 v18, 0
	s_xor_b64 exec, exec, s[4:5]
	s_cbranch_execz .LBB1_307
; %bb.306:                              ;   in Loop: Header=BB1_283 Depth=1
	global_load_dwordx2 v[12:13], v[6:7], off
	v_add_u32_e32 v18, -8, v15
.LBB1_307:                              ;   in Loop: Header=BB1_283 Depth=1
	s_or_b64 exec, exec, s[4:5]
	v_add_co_u32_e64 v6, s[4:5], 8, v16
	v_cmp_gt_u32_e32 vcc, 8, v18
	v_addc_co_u32_e64 v7, s[4:5], 0, v17, s[4:5]
                                        ; implicit-def: $vgpr14_vgpr15
	s_and_saveexec_b64 s[4:5], vcc
	s_xor_b64 s[4:5], exec, s[4:5]
	s_cbranch_execz .LBB1_313
; %bb.308:                              ;   in Loop: Header=BB1_283 Depth=1
	v_mov_b32_e32 v14, 0
	v_mov_b32_e32 v15, 0
	v_cmp_ne_u32_e32 vcc, 0, v18
	s_and_saveexec_b64 s[14:15], vcc
	s_cbranch_execz .LBB1_312
; %bb.309:                              ;   in Loop: Header=BB1_283 Depth=1
	v_mov_b32_e32 v14, 0
	s_mov_b64 s[16:17], 0
	v_mov_b32_e32 v15, 0
	s_mov_b64 s[18:19], 0
	s_mov_b64 s[20:21], 0
.LBB1_310:                              ;   Parent Loop BB1_283 Depth=1
                                        ; =>  This Inner Loop Header: Depth=2
	v_mov_b32_e32 v7, s21
	v_add_co_u32_e32 v6, vcc, s20, v16
	v_addc_co_u32_e32 v7, vcc, v17, v7, vcc
	global_load_ubyte v6, v[6:7], off
	s_add_u32 s20, s20, 1
	v_mov_b32_e32 v7, s22
	s_addc_u32 s21, s21, 0
	v_cmp_eq_u32_e32 vcc, s20, v18
	s_waitcnt vmcnt(0)
	v_and_b32_e32 v6, 0xffff, v6
	v_lshlrev_b64 v[6:7], s18, v[6:7]
	s_add_u32 s18, s18, 8
	s_addc_u32 s19, s19, 0
	v_or_b32_e32 v15, v7, v15
	s_or_b64 s[16:17], vcc, s[16:17]
	v_or_b32_e32 v14, v6, v14
	s_andn2_b64 exec, exec, s[16:17]
	s_cbranch_execnz .LBB1_310
; %bb.311:                              ;   in Loop: Header=BB1_283 Depth=1
	s_or_b64 exec, exec, s[16:17]
.LBB1_312:                              ;   in Loop: Header=BB1_283 Depth=1
	s_or_b64 exec, exec, s[14:15]
	v_mov_b32_e32 v6, v16
	v_mov_b32_e32 v7, v17
                                        ; implicit-def: $vgpr18
.LBB1_313:                              ;   in Loop: Header=BB1_283 Depth=1
	s_or_saveexec_b64 s[4:5], s[4:5]
	v_mov_b32_e32 v19, 0
	s_xor_b64 exec, exec, s[4:5]
	s_cbranch_execz .LBB1_315
; %bb.314:                              ;   in Loop: Header=BB1_283 Depth=1
	global_load_dwordx2 v[14:15], v[16:17], off
	v_add_u32_e32 v19, -8, v18
.LBB1_315:                              ;   in Loop: Header=BB1_283 Depth=1
	s_or_b64 exec, exec, s[4:5]
	v_add_co_u32_e64 v20, s[4:5], 8, v6
	v_cmp_gt_u32_e32 vcc, 8, v19
	v_addc_co_u32_e64 v21, s[4:5], 0, v7, s[4:5]
	s_and_saveexec_b64 s[4:5], vcc
	s_xor_b64 s[4:5], exec, s[4:5]
	s_cbranch_execz .LBB1_321
; %bb.316:                              ;   in Loop: Header=BB1_283 Depth=1
	v_mov_b32_e32 v16, 0
	v_mov_b32_e32 v17, 0
	v_cmp_ne_u32_e32 vcc, 0, v19
	s_and_saveexec_b64 s[14:15], vcc
	s_cbranch_execz .LBB1_320
; %bb.317:                              ;   in Loop: Header=BB1_283 Depth=1
	v_mov_b32_e32 v16, 0
	s_mov_b64 s[16:17], 0
	v_mov_b32_e32 v17, 0
	s_mov_b64 s[18:19], 0
	s_mov_b64 s[20:21], 0
.LBB1_318:                              ;   Parent Loop BB1_283 Depth=1
                                        ; =>  This Inner Loop Header: Depth=2
	v_mov_b32_e32 v18, s21
	v_add_co_u32_e32 v20, vcc, s20, v6
	v_addc_co_u32_e32 v21, vcc, v7, v18, vcc
	global_load_ubyte v18, v[20:21], off
	s_add_u32 s20, s20, 1
	v_mov_b32_e32 v21, s22
	s_addc_u32 s21, s21, 0
	v_cmp_eq_u32_e32 vcc, s20, v19
	s_waitcnt vmcnt(0)
	v_and_b32_e32 v20, 0xffff, v18
	v_lshlrev_b64 v[20:21], s18, v[20:21]
	s_add_u32 s18, s18, 8
	s_addc_u32 s19, s19, 0
	v_or_b32_e32 v17, v21, v17
	s_or_b64 s[16:17], vcc, s[16:17]
	v_or_b32_e32 v16, v20, v16
	s_andn2_b64 exec, exec, s[16:17]
	s_cbranch_execnz .LBB1_318
; %bb.319:                              ;   in Loop: Header=BB1_283 Depth=1
	s_or_b64 exec, exec, s[16:17]
.LBB1_320:                              ;   in Loop: Header=BB1_283 Depth=1
	s_or_b64 exec, exec, s[14:15]
	v_mov_b32_e32 v21, v7
	v_mov_b32_e32 v20, v6
                                        ; implicit-def: $vgpr19
.LBB1_321:                              ;   in Loop: Header=BB1_283 Depth=1
	s_or_saveexec_b64 s[4:5], s[4:5]
	v_mov_b32_e32 v22, 0
	s_xor_b64 exec, exec, s[4:5]
	s_cbranch_execz .LBB1_323
; %bb.322:                              ;   in Loop: Header=BB1_283 Depth=1
	global_load_dwordx2 v[16:17], v[6:7], off
	v_add_u32_e32 v22, -8, v19
.LBB1_323:                              ;   in Loop: Header=BB1_283 Depth=1
	s_or_b64 exec, exec, s[4:5]
	v_add_co_u32_e64 v6, s[4:5], 8, v20
	v_cmp_gt_u32_e32 vcc, 8, v22
	v_addc_co_u32_e64 v7, s[4:5], 0, v21, s[4:5]
                                        ; implicit-def: $vgpr18_vgpr19
	s_and_saveexec_b64 s[4:5], vcc
	s_xor_b64 s[4:5], exec, s[4:5]
	s_cbranch_execz .LBB1_329
; %bb.324:                              ;   in Loop: Header=BB1_283 Depth=1
	v_mov_b32_e32 v18, 0
	v_mov_b32_e32 v19, 0
	v_cmp_ne_u32_e32 vcc, 0, v22
	s_and_saveexec_b64 s[14:15], vcc
	s_cbranch_execz .LBB1_328
; %bb.325:                              ;   in Loop: Header=BB1_283 Depth=1
	v_mov_b32_e32 v18, 0
	s_mov_b64 s[16:17], 0
	v_mov_b32_e32 v19, 0
	s_mov_b64 s[18:19], 0
	s_mov_b64 s[20:21], 0
.LBB1_326:                              ;   Parent Loop BB1_283 Depth=1
                                        ; =>  This Inner Loop Header: Depth=2
	v_mov_b32_e32 v7, s21
	v_add_co_u32_e32 v6, vcc, s20, v20
	v_addc_co_u32_e32 v7, vcc, v21, v7, vcc
	global_load_ubyte v6, v[6:7], off
	s_add_u32 s20, s20, 1
	v_mov_b32_e32 v7, s22
	s_addc_u32 s21, s21, 0
	v_cmp_eq_u32_e32 vcc, s20, v22
	s_waitcnt vmcnt(0)
	v_and_b32_e32 v6, 0xffff, v6
	v_lshlrev_b64 v[6:7], s18, v[6:7]
	s_add_u32 s18, s18, 8
	s_addc_u32 s19, s19, 0
	v_or_b32_e32 v19, v7, v19
	s_or_b64 s[16:17], vcc, s[16:17]
	v_or_b32_e32 v18, v6, v18
	s_andn2_b64 exec, exec, s[16:17]
	s_cbranch_execnz .LBB1_326
; %bb.327:                              ;   in Loop: Header=BB1_283 Depth=1
	s_or_b64 exec, exec, s[16:17]
.LBB1_328:                              ;   in Loop: Header=BB1_283 Depth=1
	s_or_b64 exec, exec, s[14:15]
	v_mov_b32_e32 v6, v20
	v_mov_b32_e32 v7, v21
                                        ; implicit-def: $vgpr22
.LBB1_329:                              ;   in Loop: Header=BB1_283 Depth=1
	s_or_saveexec_b64 s[4:5], s[4:5]
	v_mov_b32_e32 v23, 0
	s_xor_b64 exec, exec, s[4:5]
	s_cbranch_execz .LBB1_331
; %bb.330:                              ;   in Loop: Header=BB1_283 Depth=1
	global_load_dwordx2 v[18:19], v[20:21], off
	v_add_u32_e32 v23, -8, v22
.LBB1_331:                              ;   in Loop: Header=BB1_283 Depth=1
	s_or_b64 exec, exec, s[4:5]
	v_cmp_gt_u32_e32 vcc, 8, v23
	s_and_saveexec_b64 s[4:5], vcc
	s_xor_b64 s[4:5], exec, s[4:5]
	s_cbranch_execz .LBB1_337
; %bb.332:                              ;   in Loop: Header=BB1_283 Depth=1
	v_mov_b32_e32 v20, 0
	v_mov_b32_e32 v21, 0
	v_cmp_ne_u32_e32 vcc, 0, v23
	s_and_saveexec_b64 s[14:15], vcc
	s_cbranch_execz .LBB1_336
; %bb.333:                              ;   in Loop: Header=BB1_283 Depth=1
	v_mov_b32_e32 v20, 0
	s_mov_b64 s[16:17], 0
	v_mov_b32_e32 v21, 0
	s_mov_b64 s[18:19], 0
.LBB1_334:                              ;   Parent Loop BB1_283 Depth=1
                                        ; =>  This Inner Loop Header: Depth=2
	global_load_ubyte v22, v[6:7], off
	v_mov_b32_e32 v25, s22
	v_add_co_u32_e32 v6, vcc, 1, v6
	v_add_u32_e32 v23, -1, v23
	v_addc_co_u32_e32 v7, vcc, 0, v7, vcc
	v_cmp_eq_u32_e32 vcc, 0, v23
	s_waitcnt vmcnt(0)
	v_and_b32_e32 v24, 0xffff, v22
	v_lshlrev_b64 v[24:25], s18, v[24:25]
	s_add_u32 s18, s18, 8
	s_addc_u32 s19, s19, 0
	v_or_b32_e32 v21, v25, v21
	s_or_b64 s[16:17], vcc, s[16:17]
	v_or_b32_e32 v20, v24, v20
	s_andn2_b64 exec, exec, s[16:17]
	s_cbranch_execnz .LBB1_334
; %bb.335:                              ;   in Loop: Header=BB1_283 Depth=1
	s_or_b64 exec, exec, s[16:17]
.LBB1_336:                              ;   in Loop: Header=BB1_283 Depth=1
	s_or_b64 exec, exec, s[14:15]
                                        ; implicit-def: $vgpr6_vgpr7
.LBB1_337:                              ;   in Loop: Header=BB1_283 Depth=1
	s_andn2_saveexec_b64 s[4:5], s[4:5]
	s_cbranch_execz .LBB1_339
; %bb.338:                              ;   in Loop: Header=BB1_283 Depth=1
	global_load_dwordx2 v[20:21], v[6:7], off
.LBB1_339:                              ;   in Loop: Header=BB1_283 Depth=1
	s_or_b64 exec, exec, s[4:5]
	v_readfirstlane_b32 s4, v34
	v_mov_b32_e32 v6, 0
	v_mov_b32_e32 v7, 0
	v_cmp_eq_u32_e64 s[4:5], s4, v34
	s_and_saveexec_b64 s[14:15], s[4:5]
	s_cbranch_execz .LBB1_345
; %bb.340:                              ;   in Loop: Header=BB1_283 Depth=1
	global_load_dwordx2 v[24:25], v29, s[10:11] offset:24 glc
	s_waitcnt vmcnt(0)
	buffer_wbinvl1_vol
	global_load_dwordx2 v[6:7], v29, s[10:11] offset:40
	global_load_dwordx2 v[22:23], v29, s[10:11]
	s_waitcnt vmcnt(1)
	v_and_b32_e32 v6, v6, v24
	v_and_b32_e32 v7, v7, v25
	v_mul_lo_u32 v7, v7, 24
	v_mul_hi_u32 v28, v6, 24
	v_mul_lo_u32 v6, v6, 24
	v_add_u32_e32 v7, v28, v7
	s_waitcnt vmcnt(0)
	v_add_co_u32_e32 v6, vcc, v22, v6
	v_addc_co_u32_e32 v7, vcc, v23, v7, vcc
	global_load_dwordx2 v[22:23], v[6:7], off glc
	s_waitcnt vmcnt(0)
	global_atomic_cmpswap_x2 v[6:7], v29, v[22:25], s[10:11] offset:24 glc
	s_waitcnt vmcnt(0)
	buffer_wbinvl1_vol
	v_cmp_ne_u64_e32 vcc, v[6:7], v[24:25]
	s_and_saveexec_b64 s[16:17], vcc
	s_cbranch_execz .LBB1_344
; %bb.341:                              ;   in Loop: Header=BB1_283 Depth=1
	s_mov_b64 s[18:19], 0
.LBB1_342:                              ;   Parent Loop BB1_283 Depth=1
                                        ; =>  This Inner Loop Header: Depth=2
	s_sleep 1
	global_load_dwordx2 v[22:23], v29, s[10:11] offset:40
	global_load_dwordx2 v[32:33], v29, s[10:11]
	v_mov_b32_e32 v25, v7
	v_mov_b32_e32 v24, v6
	s_waitcnt vmcnt(1)
	v_and_b32_e32 v6, v22, v24
	s_waitcnt vmcnt(0)
	v_mad_u64_u32 v[6:7], s[20:21], v6, 24, v[32:33]
	v_and_b32_e32 v22, v23, v25
	v_mad_u64_u32 v[22:23], s[20:21], v22, 24, v[7:8]
	v_mov_b32_e32 v7, v22
	global_load_dwordx2 v[22:23], v[6:7], off glc
	s_waitcnt vmcnt(0)
	global_atomic_cmpswap_x2 v[6:7], v29, v[22:25], s[10:11] offset:24 glc
	s_waitcnt vmcnt(0)
	buffer_wbinvl1_vol
	v_cmp_eq_u64_e32 vcc, v[6:7], v[24:25]
	s_or_b64 s[18:19], vcc, s[18:19]
	s_andn2_b64 exec, exec, s[18:19]
	s_cbranch_execnz .LBB1_342
; %bb.343:                              ;   in Loop: Header=BB1_283 Depth=1
	s_or_b64 exec, exec, s[18:19]
.LBB1_344:                              ;   in Loop: Header=BB1_283 Depth=1
	s_or_b64 exec, exec, s[16:17]
.LBB1_345:                              ;   in Loop: Header=BB1_283 Depth=1
	s_or_b64 exec, exec, s[14:15]
	global_load_dwordx2 v[32:33], v29, s[10:11] offset:40
	global_load_dwordx4 v[22:25], v29, s[10:11]
	v_readfirstlane_b32 s15, v7
	v_readfirstlane_b32 s14, v6
	s_mov_b64 s[16:17], exec
	s_waitcnt vmcnt(1)
	v_readfirstlane_b32 s18, v32
	v_readfirstlane_b32 s19, v33
	s_and_b64 s[18:19], s[18:19], s[14:15]
	s_mul_i32 s20, s19, 24
	s_mul_hi_u32 s21, s18, 24
	s_mul_i32 s24, s18, 24
	s_add_i32 s20, s21, s20
	v_mov_b32_e32 v6, s20
	s_waitcnt vmcnt(0)
	v_add_co_u32_e32 v32, vcc, s24, v22
	v_addc_co_u32_e32 v33, vcc, v23, v6, vcc
	s_and_saveexec_b64 s[20:21], s[4:5]
	s_cbranch_execz .LBB1_347
; %bb.346:                              ;   in Loop: Header=BB1_283 Depth=1
	v_mov_b32_e32 v6, s16
	v_mov_b32_e32 v7, s17
	global_store_dwordx4 v[32:33], v[6:9], off offset:8
.LBB1_347:                              ;   in Loop: Header=BB1_283 Depth=1
	s_or_b64 exec, exec, s[20:21]
	s_lshl_b64 s[16:17], s[18:19], 12
	v_mov_b32_e32 v6, s17
	v_add_co_u32_e32 v24, vcc, s16, v24
	v_addc_co_u32_e32 v25, vcc, v25, v6, vcc
	v_cmp_gt_u64_e32 vcc, 57, v[26:27]
	v_and_b32_e32 v0, 0xffffff1f, v0
	v_cndmask_b32_e32 v6, 0, v36, vcc
	v_lshl_add_u32 v7, v30, 2, 28
	v_or_b32_e32 v0, v0, v6
	v_and_or_b32 v0, v7, s23, v0
	v_readfirstlane_b32 s16, v24
	v_readfirstlane_b32 s17, v25
	s_nop 4
	global_store_dwordx4 v35, v[0:3], s[16:17]
	global_store_dwordx4 v35, v[10:13], s[16:17] offset:16
	global_store_dwordx4 v35, v[14:17], s[16:17] offset:32
	;; [unrolled: 1-line block ×3, first 2 shown]
	s_and_saveexec_b64 s[16:17], s[4:5]
	s_cbranch_execz .LBB1_355
; %bb.348:                              ;   in Loop: Header=BB1_283 Depth=1
	global_load_dwordx2 v[12:13], v29, s[10:11] offset:32 glc
	global_load_dwordx2 v[0:1], v29, s[10:11] offset:40
	v_mov_b32_e32 v10, s14
	v_mov_b32_e32 v11, s15
	s_waitcnt vmcnt(0)
	v_readfirstlane_b32 s18, v0
	v_readfirstlane_b32 s19, v1
	s_and_b64 s[18:19], s[18:19], s[14:15]
	s_mul_i32 s19, s19, 24
	s_mul_hi_u32 s20, s18, 24
	s_mul_i32 s18, s18, 24
	s_add_i32 s19, s20, s19
	v_mov_b32_e32 v0, s19
	v_add_co_u32_e32 v6, vcc, s18, v22
	v_addc_co_u32_e32 v7, vcc, v23, v0, vcc
	global_store_dwordx2 v[6:7], v[12:13], off
	s_waitcnt vmcnt(0)
	global_atomic_cmpswap_x2 v[2:3], v29, v[10:13], s[10:11] offset:32 glc
	s_waitcnt vmcnt(0)
	v_cmp_ne_u64_e32 vcc, v[2:3], v[12:13]
	s_and_saveexec_b64 s[18:19], vcc
	s_cbranch_execz .LBB1_351
; %bb.349:                              ;   in Loop: Header=BB1_283 Depth=1
	s_mov_b64 s[20:21], 0
.LBB1_350:                              ;   Parent Loop BB1_283 Depth=1
                                        ; =>  This Inner Loop Header: Depth=2
	s_sleep 1
	global_store_dwordx2 v[6:7], v[2:3], off
	v_mov_b32_e32 v0, s14
	v_mov_b32_e32 v1, s15
	s_waitcnt vmcnt(0)
	global_atomic_cmpswap_x2 v[0:1], v29, v[0:3], s[10:11] offset:32 glc
	s_waitcnt vmcnt(0)
	v_cmp_eq_u64_e32 vcc, v[0:1], v[2:3]
	v_mov_b32_e32 v3, v1
	s_or_b64 s[20:21], vcc, s[20:21]
	v_mov_b32_e32 v2, v0
	s_andn2_b64 exec, exec, s[20:21]
	s_cbranch_execnz .LBB1_350
.LBB1_351:                              ;   in Loop: Header=BB1_283 Depth=1
	s_or_b64 exec, exec, s[18:19]
	global_load_dwordx2 v[0:1], v29, s[10:11] offset:16
	s_mov_b64 s[20:21], exec
	v_mbcnt_lo_u32_b32 v2, s20, 0
	v_mbcnt_hi_u32_b32 v2, s21, v2
	v_cmp_eq_u32_e32 vcc, 0, v2
	s_and_saveexec_b64 s[18:19], vcc
	s_cbranch_execz .LBB1_353
; %bb.352:                              ;   in Loop: Header=BB1_283 Depth=1
	s_bcnt1_i32_b64 s20, s[20:21]
	v_mov_b32_e32 v28, s20
	s_waitcnt vmcnt(0)
	global_atomic_add_x2 v[0:1], v[28:29], off offset:8
.LBB1_353:                              ;   in Loop: Header=BB1_283 Depth=1
	s_or_b64 exec, exec, s[18:19]
	s_waitcnt vmcnt(0)
	global_load_dwordx2 v[2:3], v[0:1], off offset:16
	s_waitcnt vmcnt(0)
	v_cmp_eq_u64_e32 vcc, 0, v[2:3]
	s_cbranch_vccnz .LBB1_355
; %bb.354:                              ;   in Loop: Header=BB1_283 Depth=1
	global_load_dword v28, v[0:1], off offset:24
	s_waitcnt vmcnt(0)
	v_readfirstlane_b32 s18, v28
	s_and_b32 m0, s18, 0xffffff
	global_store_dwordx2 v[2:3], v[28:29], off
	s_sendmsg sendmsg(MSG_INTERRUPT)
.LBB1_355:                              ;   in Loop: Header=BB1_283 Depth=1
	s_or_b64 exec, exec, s[16:17]
	v_add_co_u32_e32 v0, vcc, v24, v35
	v_addc_co_u32_e32 v1, vcc, 0, v25, vcc
	s_branch .LBB1_359
.LBB1_356:                              ;   in Loop: Header=BB1_359 Depth=2
	s_or_b64 exec, exec, s[16:17]
	v_readfirstlane_b32 s16, v2
	s_cmp_eq_u32 s16, 0
	s_cbranch_scc1 .LBB1_358
; %bb.357:                              ;   in Loop: Header=BB1_359 Depth=2
	s_sleep 1
	s_cbranch_execnz .LBB1_359
	s_branch .LBB1_361
.LBB1_358:                              ;   in Loop: Header=BB1_283 Depth=1
	s_branch .LBB1_361
.LBB1_359:                              ;   Parent Loop BB1_283 Depth=1
                                        ; =>  This Inner Loop Header: Depth=2
	v_mov_b32_e32 v2, 1
	s_and_saveexec_b64 s[16:17], s[4:5]
	s_cbranch_execz .LBB1_356
; %bb.360:                              ;   in Loop: Header=BB1_359 Depth=2
	global_load_dword v2, v[32:33], off offset:20 glc
	s_waitcnt vmcnt(0)
	buffer_wbinvl1_vol
	v_and_b32_e32 v2, 1, v2
	s_branch .LBB1_356
.LBB1_361:                              ;   in Loop: Header=BB1_283 Depth=1
	global_load_dwordx2 v[0:1], v[0:1], off
	s_and_saveexec_b64 s[16:17], s[4:5]
	s_cbranch_execz .LBB1_282
; %bb.362:                              ;   in Loop: Header=BB1_283 Depth=1
	global_load_dwordx2 v[2:3], v29, s[10:11] offset:40
	global_load_dwordx2 v[14:15], v29, s[10:11] offset:24 glc
	global_load_dwordx2 v[6:7], v29, s[10:11]
	s_waitcnt vmcnt(2)
	v_readfirstlane_b32 s18, v2
	v_readfirstlane_b32 s19, v3
	s_add_u32 s20, s18, 1
	s_addc_u32 s21, s19, 0
	s_add_u32 s4, s20, s14
	s_addc_u32 s5, s21, s15
	s_cmp_eq_u64 s[4:5], 0
	s_cselect_b32 s5, s21, s5
	s_cselect_b32 s4, s20, s4
	s_and_b64 s[14:15], s[4:5], s[18:19]
	s_mul_i32 s15, s15, 24
	s_mul_hi_u32 s18, s14, 24
	s_mul_i32 s14, s14, 24
	s_add_i32 s15, s18, s15
	v_mov_b32_e32 v3, s15
	s_waitcnt vmcnt(0)
	v_add_co_u32_e32 v2, vcc, s14, v6
	v_addc_co_u32_e32 v3, vcc, v7, v3, vcc
	v_mov_b32_e32 v12, s4
	global_store_dwordx2 v[2:3], v[14:15], off
	v_mov_b32_e32 v13, s5
	s_waitcnt vmcnt(0)
	global_atomic_cmpswap_x2 v[12:13], v29, v[12:15], s[10:11] offset:24 glc
	s_waitcnt vmcnt(0)
	v_cmp_ne_u64_e32 vcc, v[12:13], v[14:15]
	s_and_b64 exec, exec, vcc
	s_cbranch_execz .LBB1_282
; %bb.363:                              ;   in Loop: Header=BB1_283 Depth=1
	s_mov_b64 s[14:15], 0
.LBB1_364:                              ;   Parent Loop BB1_283 Depth=1
                                        ; =>  This Inner Loop Header: Depth=2
	s_sleep 1
	global_store_dwordx2 v[2:3], v[12:13], off
	v_mov_b32_e32 v10, s4
	v_mov_b32_e32 v11, s5
	s_waitcnt vmcnt(0)
	global_atomic_cmpswap_x2 v[6:7], v29, v[10:13], s[10:11] offset:24 glc
	s_waitcnt vmcnt(0)
	v_cmp_eq_u64_e32 vcc, v[6:7], v[12:13]
	v_mov_b32_e32 v13, v7
	s_or_b64 s[14:15], vcc, s[14:15]
	v_mov_b32_e32 v12, v6
	s_andn2_b64 exec, exec, s[14:15]
	s_cbranch_execnz .LBB1_364
	s_branch .LBB1_282
.LBB1_365:
	s_or_b64 exec, exec, s[12:13]
                                        ; implicit-def: $vgpr35
                                        ; implicit-def: $vgpr34
.LBB1_366:
	s_andn2_saveexec_b64 s[6:7], s[6:7]
	s_cbranch_execz .LBB1_393
; %bb.367:
	v_readfirstlane_b32 s4, v34
	v_mov_b32_e32 v8, 0
	v_mov_b32_e32 v9, 0
	v_cmp_eq_u32_e64 s[4:5], s4, v34
	s_and_saveexec_b64 s[12:13], s[4:5]
	s_cbranch_execz .LBB1_373
; %bb.368:
	v_mov_b32_e32 v2, 0
	global_load_dwordx2 v[5:6], v2, s[10:11] offset:24 glc
	s_waitcnt vmcnt(0)
	buffer_wbinvl1_vol
	global_load_dwordx2 v[3:4], v2, s[10:11] offset:40
	global_load_dwordx2 v[7:8], v2, s[10:11]
	s_waitcnt vmcnt(1)
	v_and_b32_e32 v3, v3, v5
	v_and_b32_e32 v4, v4, v6
	v_mul_lo_u32 v4, v4, 24
	v_mul_hi_u32 v9, v3, 24
	v_mul_lo_u32 v3, v3, 24
	v_add_u32_e32 v4, v9, v4
	s_waitcnt vmcnt(0)
	v_add_co_u32_e32 v3, vcc, v7, v3
	v_addc_co_u32_e32 v4, vcc, v8, v4, vcc
	global_load_dwordx2 v[3:4], v[3:4], off glc
	s_waitcnt vmcnt(0)
	global_atomic_cmpswap_x2 v[8:9], v2, v[3:6], s[10:11] offset:24 glc
	s_waitcnt vmcnt(0)
	buffer_wbinvl1_vol
	v_cmp_ne_u64_e32 vcc, v[8:9], v[5:6]
	s_and_saveexec_b64 s[14:15], vcc
	s_cbranch_execz .LBB1_372
; %bb.369:
	s_mov_b64 s[16:17], 0
.LBB1_370:                              ; =>This Inner Loop Header: Depth=1
	s_sleep 1
	global_load_dwordx2 v[3:4], v2, s[10:11] offset:40
	global_load_dwordx2 v[10:11], v2, s[10:11]
	v_mov_b32_e32 v5, v8
	v_mov_b32_e32 v6, v9
	s_waitcnt vmcnt(1)
	v_and_b32_e32 v3, v3, v5
	s_waitcnt vmcnt(0)
	v_mad_u64_u32 v[7:8], s[18:19], v3, 24, v[10:11]
	v_and_b32_e32 v4, v4, v6
	v_mov_b32_e32 v3, v8
	v_mad_u64_u32 v[3:4], s[18:19], v4, 24, v[3:4]
	v_mov_b32_e32 v8, v3
	global_load_dwordx2 v[3:4], v[7:8], off glc
	s_waitcnt vmcnt(0)
	global_atomic_cmpswap_x2 v[8:9], v2, v[3:6], s[10:11] offset:24 glc
	s_waitcnt vmcnt(0)
	buffer_wbinvl1_vol
	v_cmp_eq_u64_e32 vcc, v[8:9], v[5:6]
	s_or_b64 s[16:17], vcc, s[16:17]
	s_andn2_b64 exec, exec, s[16:17]
	s_cbranch_execnz .LBB1_370
; %bb.371:
	s_or_b64 exec, exec, s[16:17]
.LBB1_372:
	s_or_b64 exec, exec, s[14:15]
.LBB1_373:
	s_or_b64 exec, exec, s[12:13]
	v_mov_b32_e32 v2, 0
	global_load_dwordx2 v[10:11], v2, s[10:11] offset:40
	global_load_dwordx4 v[4:7], v2, s[10:11]
	v_readfirstlane_b32 s13, v9
	v_readfirstlane_b32 s12, v8
	s_mov_b64 s[14:15], exec
	s_waitcnt vmcnt(1)
	v_readfirstlane_b32 s16, v10
	v_readfirstlane_b32 s17, v11
	s_and_b64 s[16:17], s[16:17], s[12:13]
	s_mul_i32 s18, s17, 24
	s_mul_hi_u32 s19, s16, 24
	s_mul_i32 s20, s16, 24
	s_add_i32 s18, s19, s18
	v_mov_b32_e32 v3, s18
	s_waitcnt vmcnt(0)
	v_add_co_u32_e32 v8, vcc, s20, v4
	v_addc_co_u32_e32 v9, vcc, v5, v3, vcc
	s_and_saveexec_b64 s[18:19], s[4:5]
	s_cbranch_execz .LBB1_375
; %bb.374:
	v_mov_b32_e32 v10, s14
	v_mov_b32_e32 v11, s15
	;; [unrolled: 1-line block ×4, first 2 shown]
	global_store_dwordx4 v[8:9], v[10:13], off offset:8
.LBB1_375:
	s_or_b64 exec, exec, s[18:19]
	s_lshl_b64 s[14:15], s[16:17], 12
	v_mov_b32_e32 v3, s15
	v_add_co_u32_e32 v10, vcc, s14, v6
	v_addc_co_u32_e32 v11, vcc, v7, v3, vcc
	s_movk_i32 s14, 0xff1f
	v_and_or_b32 v0, v0, s14, 32
	s_mov_b32 s16, 0
	v_mov_b32_e32 v3, v2
	v_readfirstlane_b32 s14, v10
	v_readfirstlane_b32 s15, v11
	v_add_co_u32_e32 v6, vcc, v10, v35
	s_mov_b32 s17, s16
	s_mov_b32 s18, s16
	s_mov_b32 s19, s16
	s_nop 0
	global_store_dwordx4 v35, v[0:3], s[14:15]
	v_addc_co_u32_e32 v7, vcc, 0, v11, vcc
	v_mov_b32_e32 v0, s16
	v_mov_b32_e32 v1, s17
	;; [unrolled: 1-line block ×4, first 2 shown]
	global_store_dwordx4 v35, v[0:3], s[14:15] offset:16
	global_store_dwordx4 v35, v[0:3], s[14:15] offset:32
	;; [unrolled: 1-line block ×3, first 2 shown]
	s_and_saveexec_b64 s[14:15], s[4:5]
	s_cbranch_execz .LBB1_383
; %bb.376:
	v_mov_b32_e32 v10, 0
	global_load_dwordx2 v[13:14], v10, s[10:11] offset:32 glc
	global_load_dwordx2 v[0:1], v10, s[10:11] offset:40
	v_mov_b32_e32 v11, s12
	v_mov_b32_e32 v12, s13
	s_waitcnt vmcnt(0)
	v_readfirstlane_b32 s16, v0
	v_readfirstlane_b32 s17, v1
	s_and_b64 s[16:17], s[16:17], s[12:13]
	s_mul_i32 s17, s17, 24
	s_mul_hi_u32 s18, s16, 24
	s_mul_i32 s16, s16, 24
	s_add_i32 s17, s18, s17
	v_mov_b32_e32 v0, s17
	v_add_co_u32_e32 v4, vcc, s16, v4
	v_addc_co_u32_e32 v5, vcc, v5, v0, vcc
	global_store_dwordx2 v[4:5], v[13:14], off
	s_waitcnt vmcnt(0)
	global_atomic_cmpswap_x2 v[2:3], v10, v[11:14], s[10:11] offset:32 glc
	s_waitcnt vmcnt(0)
	v_cmp_ne_u64_e32 vcc, v[2:3], v[13:14]
	s_and_saveexec_b64 s[16:17], vcc
	s_cbranch_execz .LBB1_379
; %bb.377:
	s_mov_b64 s[18:19], 0
.LBB1_378:                              ; =>This Inner Loop Header: Depth=1
	s_sleep 1
	global_store_dwordx2 v[4:5], v[2:3], off
	v_mov_b32_e32 v0, s12
	v_mov_b32_e32 v1, s13
	s_waitcnt vmcnt(0)
	global_atomic_cmpswap_x2 v[0:1], v10, v[0:3], s[10:11] offset:32 glc
	s_waitcnt vmcnt(0)
	v_cmp_eq_u64_e32 vcc, v[0:1], v[2:3]
	v_mov_b32_e32 v3, v1
	s_or_b64 s[18:19], vcc, s[18:19]
	v_mov_b32_e32 v2, v0
	s_andn2_b64 exec, exec, s[18:19]
	s_cbranch_execnz .LBB1_378
.LBB1_379:
	s_or_b64 exec, exec, s[16:17]
	v_mov_b32_e32 v3, 0
	global_load_dwordx2 v[0:1], v3, s[10:11] offset:16
	s_mov_b64 s[16:17], exec
	v_mbcnt_lo_u32_b32 v2, s16, 0
	v_mbcnt_hi_u32_b32 v2, s17, v2
	v_cmp_eq_u32_e32 vcc, 0, v2
	s_and_saveexec_b64 s[18:19], vcc
	s_cbranch_execz .LBB1_381
; %bb.380:
	s_bcnt1_i32_b64 s16, s[16:17]
	v_mov_b32_e32 v2, s16
	s_waitcnt vmcnt(0)
	global_atomic_add_x2 v[0:1], v[2:3], off offset:8
.LBB1_381:
	s_or_b64 exec, exec, s[18:19]
	s_waitcnt vmcnt(0)
	global_load_dwordx2 v[2:3], v[0:1], off offset:16
	s_waitcnt vmcnt(0)
	v_cmp_eq_u64_e32 vcc, 0, v[2:3]
	s_cbranch_vccnz .LBB1_383
; %bb.382:
	global_load_dword v0, v[0:1], off offset:24
	v_mov_b32_e32 v1, 0
	s_waitcnt vmcnt(0)
	v_readfirstlane_b32 s16, v0
	s_and_b32 m0, s16, 0xffffff
	global_store_dwordx2 v[2:3], v[0:1], off
	s_sendmsg sendmsg(MSG_INTERRUPT)
.LBB1_383:
	s_or_b64 exec, exec, s[14:15]
	s_branch .LBB1_387
.LBB1_384:                              ;   in Loop: Header=BB1_387 Depth=1
	s_or_b64 exec, exec, s[14:15]
	v_readfirstlane_b32 s14, v0
	s_cmp_eq_u32 s14, 0
	s_cbranch_scc1 .LBB1_386
; %bb.385:                              ;   in Loop: Header=BB1_387 Depth=1
	s_sleep 1
	s_cbranch_execnz .LBB1_387
	s_branch .LBB1_389
.LBB1_386:
	s_branch .LBB1_389
.LBB1_387:                              ; =>This Inner Loop Header: Depth=1
	v_mov_b32_e32 v0, 1
	s_and_saveexec_b64 s[14:15], s[4:5]
	s_cbranch_execz .LBB1_384
; %bb.388:                              ;   in Loop: Header=BB1_387 Depth=1
	global_load_dword v0, v[8:9], off offset:20 glc
	s_waitcnt vmcnt(0)
	buffer_wbinvl1_vol
	v_and_b32_e32 v0, 1, v0
	s_branch .LBB1_384
.LBB1_389:
	global_load_dwordx2 v[0:1], v[6:7], off
	s_and_saveexec_b64 s[14:15], s[4:5]
	s_cbranch_execz .LBB1_392
; %bb.390:
	v_mov_b32_e32 v8, 0
	global_load_dwordx2 v[2:3], v8, s[10:11] offset:40
	global_load_dwordx2 v[11:12], v8, s[10:11] offset:24 glc
	global_load_dwordx2 v[4:5], v8, s[10:11]
	s_waitcnt vmcnt(2)
	v_readfirstlane_b32 s16, v2
	v_readfirstlane_b32 s17, v3
	s_add_u32 s18, s16, 1
	s_addc_u32 s19, s17, 0
	s_add_u32 s4, s18, s12
	s_addc_u32 s5, s19, s13
	s_cmp_eq_u64 s[4:5], 0
	s_cselect_b32 s5, s19, s5
	s_cselect_b32 s4, s18, s4
	s_and_b64 s[12:13], s[4:5], s[16:17]
	s_mul_i32 s13, s13, 24
	s_mul_hi_u32 s16, s12, 24
	s_mul_i32 s12, s12, 24
	s_add_i32 s13, s16, s13
	v_mov_b32_e32 v2, s13
	s_waitcnt vmcnt(0)
	v_add_co_u32_e32 v6, vcc, s12, v4
	v_addc_co_u32_e32 v7, vcc, v5, v2, vcc
	v_mov_b32_e32 v9, s4
	global_store_dwordx2 v[6:7], v[11:12], off
	v_mov_b32_e32 v10, s5
	s_waitcnt vmcnt(0)
	global_atomic_cmpswap_x2 v[4:5], v8, v[9:12], s[10:11] offset:24 glc
	s_mov_b64 s[12:13], 0
	s_waitcnt vmcnt(0)
	v_cmp_ne_u64_e32 vcc, v[4:5], v[11:12]
	s_and_b64 exec, exec, vcc
	s_cbranch_execz .LBB1_392
.LBB1_391:                              ; =>This Inner Loop Header: Depth=1
	s_sleep 1
	global_store_dwordx2 v[6:7], v[4:5], off
	v_mov_b32_e32 v2, s4
	v_mov_b32_e32 v3, s5
	s_waitcnt vmcnt(0)
	global_atomic_cmpswap_x2 v[2:3], v8, v[2:5], s[10:11] offset:24 glc
	s_waitcnt vmcnt(0)
	v_cmp_eq_u64_e32 vcc, v[2:3], v[4:5]
	v_mov_b32_e32 v5, v3
	s_or_b64 s[12:13], vcc, s[12:13]
	v_mov_b32_e32 v4, v2
	s_andn2_b64 exec, exec, s[12:13]
	s_cbranch_execnz .LBB1_391
.LBB1_392:
	s_or_b64 exec, exec, s[14:15]
.LBB1_393:
	s_or_b64 exec, exec, s[6:7]
	s_getpc_b64 s[4:5]
	s_add_u32 s4, s4, .str.3@rel32@lo+4
	s_addc_u32 s5, s5, .str.3@rel32@hi+12
	s_getpc_b64 s[6:7]
	s_add_u32 s6, s6, .str.3@rel32@lo+32
	s_addc_u32 s7, s7, .str.3@rel32@hi+40
	s_sub_i32 s10, s6, s4
	s_ashr_i32 s11, s10, 31
	s_getpc_b64 s[6:7]
	s_add_u32 s6, s6, __ockl_fprintf_append_string_n@rel32@lo+4
	s_addc_u32 s7, s7, __ockl_fprintf_append_string_n@rel32@hi+12
	v_mov_b32_e32 v2, s4
	v_mov_b32_e32 v3, s5
	;; [unrolled: 1-line block ×5, first 2 shown]
	s_swappc_b64 s[30:31], s[6:7]
	s_trap 2
.Lfunc_end1:
	.size	__assert_fail, .Lfunc_end1-__assert_fail
                                        ; -- End function
	.set .L__assert_fail.num_vgpr, max(41, .L__ockl_fprintf_append_string_n.num_vgpr)
	.set .L__assert_fail.num_agpr, max(0, .L__ockl_fprintf_append_string_n.num_agpr)
	.set .L__assert_fail.numbered_sgpr, max(34, .L__ockl_fprintf_append_string_n.numbered_sgpr)
	.set .L__assert_fail.num_named_barrier, max(0, .L__ockl_fprintf_append_string_n.num_named_barrier)
	.set .L__assert_fail.private_seg_size, 64+max(.L__ockl_fprintf_append_string_n.private_seg_size)
	.set .L__assert_fail.uses_vcc, or(1, .L__ockl_fprintf_append_string_n.uses_vcc)
	.set .L__assert_fail.uses_flat_scratch, or(0, .L__ockl_fprintf_append_string_n.uses_flat_scratch)
	.set .L__assert_fail.has_dyn_sized_stack, or(0, .L__ockl_fprintf_append_string_n.has_dyn_sized_stack)
	.set .L__assert_fail.has_recursion, or(0, .L__ockl_fprintf_append_string_n.has_recursion)
	.set .L__assert_fail.has_indirect_call, or(0, .L__ockl_fprintf_append_string_n.has_indirect_call)
	.section	.AMDGPU.csdata,"",@progbits
; Function info:
; codeLenInByte = 13844
; TotalNumSgprs: 38
; NumVgprs: 41
; ScratchSize: 64
; MemoryBound: 0
	.text
	.p2align	2                               ; -- Begin function _ZN12_GLOBAL__N_17runRingI14__hip_fp8_e5m28FuncProdIS1_E11ProtoSimpleILi2ELi2ELi0ELi1ELi0ELi0EELi0ELi0ELi1ELi0EEEviiP15ncclDevWorkColl
	.type	_ZN12_GLOBAL__N_17runRingI14__hip_fp8_e5m28FuncProdIS1_E11ProtoSimpleILi2ELi2ELi0ELi1ELi0ELi0EELi0ELi0ELi1ELi0EEEviiP15ncclDevWorkColl,@function
_ZN12_GLOBAL__N_17runRingI14__hip_fp8_e5m28FuncProdIS1_E11ProtoSimpleILi2ELi2ELi0ELi1ELi0ELi0EELi0ELi0ELi1ELi0EEEviiP15ncclDevWorkColl: ; @_ZN12_GLOBAL__N_17runRingI14__hip_fp8_e5m28FuncProdIS1_E11ProtoSimpleILi2ELi2ELi0ELi1ELi0ELi0EELi0ELi0ELi1ELi0EEEviiP15ncclDevWorkColl
; %bb.0:
	s_waitcnt vmcnt(0) expcnt(0) lgkmcnt(0)
	s_mov_b32 s4, s33
	s_mov_b32 s33, s32
	s_or_saveexec_b64 s[6:7], -1
	buffer_store_dword v63, off, s[0:3], s33 offset:308 ; 4-byte Folded Spill
	buffer_store_dword v62, off, s[0:3], s33 offset:312 ; 4-byte Folded Spill
	s_mov_b64 exec, s[6:7]
	v_writelane_b32 v63, s4, 34
	s_addk_i32 s32, 0x5000
	buffer_store_dword v40, off, s[0:3], s33 offset:52 ; 4-byte Folded Spill
	buffer_store_dword v41, off, s[0:3], s33 offset:48 ; 4-byte Folded Spill
	;; [unrolled: 1-line block ×13, first 2 shown]
	buffer_store_dword v61, off, s[0:3], s33 ; 4-byte Folded Spill
	v_writelane_b32 v63, s34, 0
	v_writelane_b32 v63, s35, 1
	;; [unrolled: 1-line block ×34, first 2 shown]
	v_mov_b32_e32 v19, v1
	s_trap 2
	flat_load_dword v1, v[2:3]
	ds_read_b32 v4, v0
	v_mov_b32_e32 v47, v0
	s_mov_b64 s[28:29], s[8:9]
                                        ; implicit-def: $vgpr14_vgpr15
                                        ; implicit-def: $vgpr5_vgpr6
                                        ; kill: killed $vgpr5_vgpr6
                                        ; implicit-def: $vgpr8_vgpr9
	s_waitcnt lgkmcnt(0)
	v_readfirstlane_b32 s66, v4
	s_waitcnt vmcnt(0)
	v_cmp_ne_u32_sdwa s[4:5], v4, v1 src0_sel:DWORD src1_sel:BYTE_0
	s_and_saveexec_b64 s[6:7], s[4:5]
	s_xor_b64 s[4:5], exec, s[6:7]
	s_cbranch_execz .LBB2_6
; %bb.1:
	v_not_b32_sdwa v0, v1 dst_sel:DWORD dst_unused:UNUSED_PAD src0_sel:BYTE_0
	v_cmp_ne_u32_sdwa s[6:7], v4, v1 src0_sel:DWORD src1_sel:BYTE_1
                                        ; implicit-def: $vgpr14_vgpr15
                                        ; implicit-def: $vgpr5_vgpr6
                                        ; kill: killed $vgpr5_vgpr6
                                        ; implicit-def: $vgpr8_vgpr9
	s_and_saveexec_b64 s[8:9], s[6:7]
	s_xor_b64 s[6:7], exec, s[8:9]
	s_cbranch_execz .LBB2_3
; %bb.2:
	flat_load_dwordx4 v[5:8], v[2:3] offset:72
	flat_load_dwordx2 v[9:10], v[2:3] offset:96
	v_add_u32_e32 v0, v4, v0
	v_ashrrev_i32_e32 v1, 31, v0
	s_waitcnt vmcnt(0) lgkmcnt(0)
	v_mul_lo_u32 v1, v7, v1
	v_mad_u64_u32 v[4:5], s[8:9], v7, v0, v[5:6]
	v_mul_lo_u32 v0, v8, v0
	v_lshrrev_b64 v[14:15], 12, v[9:10]
	v_mov_b32_e32 v9, v8
	v_mov_b32_e32 v8, v7
	v_add3_u32 v5, v0, v5, v1
	buffer_store_dword v4, off, s[0:3], s33 offset:252 ; 4-byte Folded Spill
	s_nop 0
	buffer_store_dword v5, off, s[0:3], s33 offset:256 ; 4-byte Folded Spill
                                        ; implicit-def: $vgpr1
                                        ; implicit-def: $vgpr0
.LBB2_3:
	s_andn2_saveexec_b64 s[6:7], s[6:7]
	s_cbranch_execz .LBB2_5
; %bb.4:
	flat_load_dwordx4 v[4:7], v[2:3] offset:72
	flat_load_dwordx4 v[8:11], v[2:3] offset:88
	v_add_u32_sdwa v0, v1, v0 dst_sel:DWORD dst_unused:UNUSED_PAD src0_sel:BYTE_1 src1_sel:DWORD
	v_ashrrev_i32_e32 v1, 31, v0
	s_waitcnt vmcnt(0) lgkmcnt(0)
	v_mul_lo_u32 v1, v6, v1
	v_mad_u64_u32 v[4:5], s[8:9], v6, v0, v[4:5]
	v_mul_lo_u32 v0, v7, v0
	v_lshrrev_b32_e32 v14, 1, v11
	v_add3_u32 v5, v0, v5, v1
	buffer_store_dword v4, off, s[0:3], s33 offset:252 ; 4-byte Folded Spill
	s_nop 0
	buffer_store_dword v5, off, s[0:3], s33 offset:256 ; 4-byte Folded Spill
.LBB2_5:
	s_or_b64 exec, exec, s[6:7]
.LBB2_6:
	s_andn2_saveexec_b64 s[4:5], s[4:5]
	s_cbranch_execz .LBB2_8
; %bb.7:
	flat_load_dwordx2 v[0:1], v[2:3] offset:96
	flat_load_dwordx2 v[8:9], v[2:3] offset:72
	s_waitcnt vmcnt(0) lgkmcnt(0)
	v_lshlrev_b64 v[14:15], 9, v[0:1]
	v_mov_b32_e32 v0, 0
	v_mov_b32_e32 v1, 0
	buffer_store_dword v0, off, s[0:3], s33 offset:252 ; 4-byte Folded Spill
	s_nop 0
	buffer_store_dword v1, off, s[0:3], s33 offset:256 ; 4-byte Folded Spill
.LBB2_8:
	s_or_b64 exec, exec, s[4:5]
	s_trap 2
	ds_read_b64 v[0:1], v0
	s_waitcnt lgkmcnt(0)
	v_cmp_ne_u32_e32 vcc, -1, v0
	v_cndmask_b32_e64 v0, 0, 1, vcc
	v_cmp_ne_u32_e32 vcc, -1, v1
	v_addc_co_u32_e64 v1, s[4:5], 0, v0, vcc
	v_lshlrev_b32_e32 v4, 1, v1
	v_cmp_le_u32_e64 s[4:5], v4, v19
	s_and_saveexec_b64 s[6:7], s[4:5]
	s_xor_b64 s[6:7], exec, s[6:7]
                                        ; implicit-def: $vgpr62 : SGPR spill to VGPR lane
	v_writelane_b32 v62, s6, 0
	v_writelane_b32 v62, s7, 1
	s_cbranch_execnz .LBB2_9
; %bb.5607:
	s_getpc_b64 s[98:99]
.Lpost_getpc0:
	s_add_u32 s98, s98, (.LBB2_5604-.Lpost_getpc0)&4294967295
	s_addc_u32 s99, s99, (.LBB2_5604-.Lpost_getpc0)>>32
	s_setpc_b64 s[98:99]
.LBB2_9:
	buffer_store_dword v8, off, s[0:3], s33 offset:260 ; 4-byte Folded Spill
	s_nop 0
	buffer_store_dword v9, off, s[0:3], s33 offset:264 ; 4-byte Folded Spill
	buffer_store_dword v10, off, s[0:3], s33 offset:268 ; 4-byte Folded Spill
	;; [unrolled: 1-line block ×3, first 2 shown]
	flat_load_dwordx4 v[10:13], v[2:3] offset:16
	s_nop 0
	flat_load_dwordx2 v[15:16], v[2:3] offset:104
	flat_load_ushort v7, v[2:3] offset:8
	flat_load_dword v6, v[2:3] offset:4
	s_trap 2
	s_load_dword s4, s[28:29], 0x0
	v_mov_b32_e32 v4, 0
	v_mov_b32_e32 v38, 4
	s_waitcnt lgkmcnt(0)
	s_cmp_lt_u32 s12, s4
	s_cselect_b32 s4, 12, 18
	s_add_u32 s4, s28, s4
	s_addc_u32 s5, s29, 0
	global_load_ushort v20, v4, s[4:5]
	ds_read_b32 v4, v0
	v_cmp_ge_i32_e64 s[4:5], v47, v0
	s_waitcnt lgkmcnt(0)
	v_readfirstlane_b32 s8, v4
	s_and_saveexec_b64 s[6:7], s[4:5]
	s_cbranch_execz .LBB2_19
; %bb.10:
	v_cmp_ge_u32_e64 s[4:5], v47, v1
                                        ; implicit-def: $vgpr38
	s_and_saveexec_b64 s[10:11], s[4:5]
	s_xor_b64 s[4:5], exec, s[10:11]
	s_cbranch_execz .LBB2_16
; %bb.11:
	v_cndmask_b32_e64 v4, 0, 1, vcc
	v_sub_u32_e32 v4, v19, v4
	v_cmp_ge_u32_e32 vcc, v47, v4
	s_and_saveexec_b64 s[10:11], vcc
	s_xor_b64 s[10:11], exec, s[10:11]
; %bb.12:
                                        ; implicit-def: $vgpr1
; %bb.13:
	s_or_saveexec_b64 s[10:11], s[10:11]
	v_mov_b32_e32 v38, 16
	s_xor_b64 exec, exec, s[10:11]
; %bb.14:
	v_sub_u32_e32 v1, v19, v1
	v_cmp_lt_i32_e32 vcc, v47, v1
	v_cndmask_b32_e64 v38, 32, 0, vcc
; %bb.15:
	s_or_b64 exec, exec, s[10:11]
.LBB2_16:
	s_andn2_saveexec_b64 s[4:5], s[4:5]
; %bb.17:
	v_mov_b32_e32 v38, 8
; %bb.18:
	s_or_b64 exec, exec, s[4:5]
.LBB2_19:
	s_or_b64 exec, exec, s[6:7]
	v_and_b32_e32 v1, 36, v38
	v_cmp_ne_u32_e32 vcc, 0, v1
	v_mov_b32_e32 v8, -1
	s_and_saveexec_b64 s[4:5], vcc
	s_cbranch_execz .LBB2_21
; %bb.20:
	s_trap 2
	ds_read_b32 v8, v0
.LBB2_21:
	s_or_b64 exec, exec, s[4:5]
	v_and_b32_e32 v1, 24, v38
	v_cmp_ne_u32_e64 s[4:5], 0, v1
	s_and_saveexec_b64 s[6:7], s[4:5]
	s_cbranch_execz .LBB2_23
; %bb.22:
	s_trap 2
	s_waitcnt lgkmcnt(0)
	ds_read_b32 v8, v0
.LBB2_23:
	s_or_b64 exec, exec, s[6:7]
	s_waitcnt vmcnt(0)
	v_lshrrev_b64 v[4:5], 31, v[6:7]
	v_mov_b32_e32 v5, 0
	v_mov_b32_e32 v6, 0
	buffer_store_dword v5, off, s[0:3], s33 offset:280 ; 4-byte Folded Spill
	s_nop 0
	buffer_store_dword v6, off, s[0:3], s33 offset:284 ; 4-byte Folded Spill
	v_and_b32_e32 v1, 3, v4
	v_mov_b32_e32 v4, 0
	v_mov_b32_e32 v5, 0
	s_waitcnt lgkmcnt(0)
	v_ashrrev_i32_e32 v9, 31, v8
                                        ; implicit-def: $vgpr56
                                        ; implicit-def: $vgpr50_vgpr51
                                        ; implicit-def: $vgpr32_vgpr33
                                        ; implicit-def: $vgpr22_vgpr23
	buffer_store_dword v4, off, s[0:3], s33 offset:76 ; 4-byte Folded Spill
	s_nop 0
	buffer_store_dword v5, off, s[0:3], s33 offset:80 ; 4-byte Folded Spill
	buffer_store_dword v6, off, s[0:3], s33 offset:84 ; 4-byte Folded Spill
	;; [unrolled: 1-line block ×3, first 2 shown]
                                        ; implicit-def: $vgpr4_vgpr5
                                        ; kill: killed $vgpr4_vgpr5
                                        ; implicit-def: $vgpr4_vgpr5
                                        ; kill: killed $vgpr4_vgpr5
	s_and_saveexec_b64 s[4:5], vcc
	s_cbranch_execz .LBB2_33
; %bb.24:
	s_trap 2
	ds_read_b64 v[4:5], v0
	v_lshlrev_b64 v[6:7], 3, v[8:9]
	s_movk_i32 s6, 0xa8
	s_waitcnt lgkmcnt(0)
	v_add_co_u32_e32 v4, vcc, v4, v6
	v_addc_co_u32_e32 v5, vcc, v5, v7, vcc
	flat_load_dwordx2 v[4:5], v[4:5]
	v_and_b32_e32 v6, 0xffff, v1
	s_waitcnt vmcnt(0) lgkmcnt(0)
	v_mad_u64_u32 v[17:18], s[6:7], v6, s6, v[4:5]
	flat_load_dword v4, v[17:18] offset:640
	s_waitcnt vmcnt(0) lgkmcnt(0)
	v_cmp_eq_u32_e32 vcc, 1, v4
                                        ; implicit-def: $vgpr4_vgpr5
                                        ; kill: killed $vgpr4_vgpr5
	s_and_saveexec_b64 s[6:7], vcc
	s_cbranch_execz .LBB2_26
; %bb.25:
	flat_load_dwordx2 v[6:7], v[17:18] offset:648
	v_or_b32_e32 v38, 0x2000, v38
	s_waitcnt vmcnt(0) lgkmcnt(0)
	flat_load_dwordx2 v[4:5], v[6:7]
	s_trap 2
	s_waitcnt vmcnt(0) lgkmcnt(0)
	ds_write_b64 v0, v[4:5]
	flat_load_dwordx2 v[4:5], v[6:7] offset:8
	s_waitcnt vmcnt(0) lgkmcnt(0)
	ds_write_b64 v0, v[4:5]
	buffer_store_dword v6, off, s[0:3], s33 offset:300 ; 4-byte Folded Spill
	s_nop 0
	buffer_store_dword v7, off, s[0:3], s33 offset:304 ; 4-byte Folded Spill
	flat_load_dwordx2 v[4:5], v[6:7] offset:16
	s_waitcnt vmcnt(0) lgkmcnt(0)
	ds_write_b64 v0, v[4:5]
.LBB2_26:
	s_or_b64 exec, exec, s[6:7]
	flat_load_dwordx2 v[4:5], v[17:18] offset:608
	v_and_b32_e32 v6, 32, v38
                                        ; implicit-def: $vgpr22_vgpr23
	s_waitcnt vmcnt(0) lgkmcnt(0)
	v_add_co_u32_e32 v4, vcc, 3, v4
	v_addc_co_u32_e32 v51, vcc, 0, v5, vcc
	v_and_b32_e32 v50, -4, v4
	v_cmp_ne_u32_e32 vcc, 0, v6
	s_and_saveexec_b64 s[6:7], vcc
	s_cbranch_execz .LBB2_28
; %bb.27:
	flat_load_dwordx2 v[22:23], v[17:18] offset:560
	s_waitcnt vmcnt(0) lgkmcnt(0)
	flat_store_dwordx2 v[22:23], v[50:51]
.LBB2_28:
	s_or_b64 exec, exec, s[6:7]
	v_add_co_u32_e32 v4, vcc, 0x1f8, v17
	v_addc_co_u32_e32 v5, vcc, 0, v18, vcc
	buffer_store_dword v4, off, s[0:3], s33 offset:280 ; 4-byte Folded Spill
	s_nop 0
	buffer_store_dword v5, off, s[0:3], s33 offset:284 ; 4-byte Folded Spill
	v_mov_b32_e32 v5, 0
	v_and_b32_e32 v4, 4, v38
	v_mov_b32_e32 v6, 0
	buffer_store_dword v5, off, s[0:3], s33 offset:76 ; 4-byte Folded Spill
	s_nop 0
	buffer_store_dword v6, off, s[0:3], s33 offset:80 ; 4-byte Folded Spill
	buffer_store_dword v7, off, s[0:3], s33 offset:84 ; 4-byte Folded Spill
	;; [unrolled: 1-line block ×3, first 2 shown]
	v_cmp_ne_u32_e32 vcc, 0, v4
                                        ; implicit-def: $vgpr56
                                        ; implicit-def: $vgpr4_vgpr5
                                        ; kill: killed $vgpr4_vgpr5
                                        ; implicit-def: $vgpr32_vgpr33
	s_and_saveexec_b64 s[6:7], vcc
	s_cbranch_execz .LBB2_32
; %bb.29:
	v_and_b32_e32 v4, 0x800, v38
	v_cmp_eq_u32_e32 vcc, 0, v4
	s_and_saveexec_b64 s[10:11], vcc
	s_cbranch_execz .LBB2_31
; %bb.30:
	s_trap 2
	buffer_load_dword v4, off, s[0:3], s33 offset:280 ; 4-byte Folded Reload
	buffer_load_dword v5, off, s[0:3], s33 offset:284 ; 4-byte Folded Reload
	s_waitcnt vmcnt(0)
	ds_write_b64 v0, v[4:5]
.LBB2_31:
	s_or_b64 exec, exec, s[10:11]
	flat_load_dwordx2 v[22:23], v[17:18] offset:552
	s_waitcnt vmcnt(0) lgkmcnt(0)
	flat_load_dwordx2 v[32:33], v[22:23] glc
	flat_load_dwordx2 v[24:25], v[17:18] offset:600
	flat_load_dword v56, v[17:18] offset:576
	flat_load_dwordx2 v[4:5], v[17:18] offset:520
	s_waitcnt vmcnt(0) lgkmcnt(0)
	buffer_store_dword v4, off, s[0:3], s33 offset:68 ; 4-byte Folded Spill
	s_nop 0
	buffer_store_dword v5, off, s[0:3], s33 offset:72 ; 4-byte Folded Spill
	v_cmp_eq_u64_e32 vcc, 0, v[24:25]
	v_or_b32_e32 v4, 0x100, v38
	v_mov_b32_e32 v5, v24
	v_mov_b32_e32 v6, v25
	v_cndmask_b32_e32 v38, v4, v38, vcc
	buffer_store_dword v5, off, s[0:3], s33 offset:76 ; 4-byte Folded Spill
	s_nop 0
	buffer_store_dword v6, off, s[0:3], s33 offset:80 ; 4-byte Folded Spill
	buffer_store_dword v7, off, s[0:3], s33 offset:84 ; 4-byte Folded Spill
	;; [unrolled: 1-line block ×3, first 2 shown]
.LBB2_32:
	s_or_b64 exec, exec, s[6:7]
.LBB2_33:
	s_or_b64 exec, exec, s[4:5]
	v_and_b32_e32 v4, 24, v38
	v_cmp_ne_u32_e32 vcc, 0, v4
                                        ; implicit-def: $vgpr4_vgpr5
                                        ; kill: killed $vgpr4_vgpr5
	s_and_saveexec_b64 s[4:5], vcc
	s_cbranch_execz .LBB2_41
; %bb.34:
	s_trap 2
	ds_read_b64 v[4:5], v0
	v_lshlrev_b64 v[6:7], 3, v[8:9]
	v_and_b32_e32 v1, 0xffff, v1
	s_movk_i32 s6, 0xa8
	s_waitcnt lgkmcnt(0)
	v_add_co_u32_e32 v4, vcc, v4, v6
	v_addc_co_u32_e32 v5, vcc, v5, v7, vcc
	flat_load_dwordx2 v[4:5], v[4:5]
	s_waitcnt vmcnt(0) lgkmcnt(0)
	v_mad_u64_u32 v[4:5], s[6:7], v1, s6, v[4:5]
	buffer_store_dword v4, off, s[0:3], s33 offset:280 ; 4-byte Folded Spill
	s_nop 0
	buffer_store_dword v5, off, s[0:3], s33 offset:284 ; 4-byte Folded Spill
	v_or_b32_e32 v1, 0x100, v38
	flat_load_dwordx4 v[4:7], v[4:5] offset:96
	s_waitcnt vmcnt(0) lgkmcnt(0)
	buffer_store_dword v4, off, s[0:3], s33 offset:76 ; 4-byte Folded Spill
	s_nop 0
	buffer_store_dword v5, off, s[0:3], s33 offset:80 ; 4-byte Folded Spill
	buffer_store_dword v6, off, s[0:3], s33 offset:84 ; 4-byte Folded Spill
	;; [unrolled: 1-line block ×3, first 2 shown]
	v_cmp_eq_u64_e32 vcc, 0, v[4:5]
                                        ; implicit-def: $vgpr4_vgpr5
                                        ; kill: killed $vgpr4_vgpr5
	v_cndmask_b32_e32 v38, v1, v38, vcc
	v_and_b32_e32 v1, 16, v38
	v_cmp_ne_u32_e32 vcc, 0, v1
	s_and_saveexec_b64 s[6:7], vcc
	s_cbranch_execz .LBB2_36
; %bb.35:
	buffer_load_dword v4, off, s[0:3], s33 offset:280 ; 4-byte Folded Reload
	buffer_load_dword v5, off, s[0:3], s33 offset:284 ; 4-byte Folded Reload
	s_waitcnt vmcnt(0)
	flat_load_dwordx2 v[22:23], v[4:5] offset:48
	flat_load_dwordx2 v[6:7], v[4:5] offset:120
	s_waitcnt vmcnt(0) lgkmcnt(0)
	buffer_store_dword v6, off, s[0:3], s33 offset:92 ; 4-byte Folded Spill
	s_nop 0
	buffer_store_dword v7, off, s[0:3], s33 offset:96 ; 4-byte Folded Spill
	flat_load_dwordx2 v[4:5], v[4:5] offset:16
	s_waitcnt vmcnt(0) lgkmcnt(0)
	buffer_store_dword v4, off, s[0:3], s33 offset:68 ; 4-byte Folded Spill
	s_nop 0
	buffer_store_dword v5, off, s[0:3], s33 offset:72 ; 4-byte Folded Spill
.LBB2_36:
	s_or_b64 exec, exec, s[6:7]
	buffer_load_dword v4, off, s[0:3], s33 offset:76 ; 4-byte Folded Reload
	buffer_load_dword v5, off, s[0:3], s33 offset:80 ; 4-byte Folded Reload
	;; [unrolled: 1-line block ×4, first 2 shown]
	s_waitcnt vmcnt(1)
	v_add_co_u32_e32 v1, vcc, 3, v6
	s_waitcnt vmcnt(0)
	v_addc_co_u32_e32 v51, vcc, 0, v7, vcc
	v_and_b32_e32 v50, -4, v1
	v_and_b32_e32 v1, 8, v38
	v_cmp_ne_u32_e32 vcc, 0, v1
	s_and_saveexec_b64 s[6:7], vcc
	s_cbranch_execz .LBB2_40
; %bb.37:
	v_and_b32_e32 v1, 0x800, v38
	v_cmp_eq_u32_e32 vcc, 0, v1
	s_and_saveexec_b64 s[10:11], vcc
	s_cbranch_execz .LBB2_39
; %bb.38:
	s_trap 2
	buffer_load_dword v4, off, s[0:3], s33 offset:280 ; 4-byte Folded Reload
	buffer_load_dword v5, off, s[0:3], s33 offset:284 ; 4-byte Folded Reload
	s_waitcnt vmcnt(0)
	ds_write_b64 v0, v[4:5]
.LBB2_39:
	s_or_b64 exec, exec, s[10:11]
	buffer_load_dword v4, off, s[0:3], s33 offset:280 ; 4-byte Folded Reload
	buffer_load_dword v5, off, s[0:3], s33 offset:284 ; 4-byte Folded Reload
	s_waitcnt vmcnt(0)
	flat_load_dwordx2 v[22:23], v[4:5] offset:56
	s_waitcnt vmcnt(0) lgkmcnt(0)
	flat_load_dwordx2 v[32:33], v[22:23] glc
	flat_load_dword v56, v[4:5] offset:72
	s_nop 0
	flat_load_dwordx2 v[4:5], v[4:5] offset:16
	s_waitcnt vmcnt(0) lgkmcnt(0)
	buffer_store_dword v4, off, s[0:3], s33 offset:68 ; 4-byte Folded Spill
	s_nop 0
	buffer_store_dword v5, off, s[0:3], s33 offset:72 ; 4-byte Folded Spill
.LBB2_40:
	s_or_b64 exec, exec, s[6:7]
.LBB2_41:
	s_or_b64 exec, exec, s[4:5]
	v_cmp_eq_u32_e64 s[4:5], 0, v47
	s_and_saveexec_b64 s[6:7], s[4:5]
	s_cbranch_execz .LBB2_43
; %bb.42:
	flat_load_dwordx2 v[4:5], v[2:3] offset:32
	v_mov_b32_e32 v6, v12
	v_mov_b32_e32 v7, v13
	;; [unrolled: 1-line block ×4, first 2 shown]
	ds_write2_b64 v0, v[6:7], v[8:9] offset1:1
	s_trap 2
	s_waitcnt vmcnt(0) lgkmcnt(0)
	ds_write_b64 v0, v[4:5]
	ds_write_b64 v0, v[15:16]
.LBB2_43:
	s_or_b64 exec, exec, s[6:7]
	buffer_load_dword v8, off, s[0:3], s33 offset:260 ; 4-byte Folded Reload
	buffer_load_dword v9, off, s[0:3], s33 offset:264 ; 4-byte Folded Reload
	;; [unrolled: 1-line block ×4, first 2 shown]
	v_mov_b32_e32 v28, 0
	v_mov_b32_e32 v29, 0
	s_waitcnt vmcnt(0)
	v_cmp_lt_i64_e32 vcc, 0, v[8:9]
	s_mov_b64 s[6:7], exec
	v_writelane_b32 v62, s6, 2
	v_writelane_b32 v62, s7, 3
	s_and_b64 s[6:7], s[6:7], vcc
	s_mov_b64 exec, s[6:7]
	s_cbranch_execnz .LBB2_44
; %bb.5609:
	s_getpc_b64 s[98:99]
.Lpost_getpc1:
	s_add_u32 s98, s98, (.LBB2_5570-.Lpost_getpc1)&4294967295
	s_addc_u32 s99, s99, (.LBB2_5570-.Lpost_getpc1)>>32
	s_setpc_b64 s[98:99]
.LBB2_44:
	flat_load_dword v1, v[2:3] offset:4
	v_and_b32_e32 v2, 0x3ffffe00, v14
	buffer_store_dword v31, off, s[0:3], s33 offset:292 ; 4-byte Folded Spill
	s_trap 2
	buffer_store_dword v20, off, s[0:3], s33 offset:296 ; 4-byte Folded Spill
	buffer_store_dword v19, off, s[0:3], s33 offset:288 ; 4-byte Folded Spill
	buffer_load_dword v6, off, s[0:3], s33 offset:92 ; 4-byte Folded Reload
	buffer_load_dword v7, off, s[0:3], s33 offset:96 ; 4-byte Folded Reload
	v_writelane_b32 v62, s28, 4
	s_ashr_i32 s67, s66, 31
	v_mad_i64_i32 v[54:55], s[16:17], v2, s66, 0
	v_writelane_b32 v62, s29, 5
	v_and_b32_e32 v4, 63, v31
	v_ashrrev_i32_e32 v5, 31, v47
	s_add_u32 s16, s66, -1
	v_and_b32_e32 v46, 0x3fc0, v19
	v_writelane_b32 v62, s16, 6
	v_cmp_eq_u32_e64 s[16:17], 0, v4
	v_lshrrev_b32_e32 v4, 26, v5
	v_lshrrev_b32_e32 v35, 6, v19
	s_addc_u32 s18, s67, -1
	s_add_i32 s85, s66, s66
	s_not_b32 s20, s66
	v_lshlrev_b32_e32 v34, 10, v35
	v_writelane_b32 v62, s18, 7
	s_cmp_gt_i32 s66, 0
	s_movk_i32 s9, 0x400
	v_add_u32_e32 v4, v47, v4
	s_cselect_b32 s20, s20, -1
	s_ashr_i32 s21, s8, 31
	v_ashrrev_i32_e32 v10, 6, v4
	v_and_b32_e32 v4, 0xffffffc0, v4
	s_add_i32 s86, s20, s85
	s_ashr_i32 s87, s86, 31
	s_mov_b32 s56, -1
	v_cmp_ge_i32_e32 vcc, v47, v19
	v_mov_b32_e32 v36, 0
	v_mov_b32_e32 v28, 0
	;; [unrolled: 1-line block ×3, first 2 shown]
	s_mov_b32 s57, 0xffffff
	v_ashrrev_i32_e32 v43, 31, v56
	v_cmp_eq_u32_e64 s[6:7], 64, v19
	v_cmp_ne_u32_e64 s[10:11], 64, v19
	v_cmp_ne_u32_sdwa s[58:59], v19, v20 src0_sel:DWORD src1_sel:WORD_0
	s_movk_i32 s68, 0xffc0
	s_mov_b64 s[60:61], 0
	v_mov_b32_e32 v37, 0
	v_mov_b32_e32 v29, 0
	s_movk_i32 s69, 0x108
	s_movk_i32 s70, 0xff80
	;; [unrolled: 1-line block ×3, first 2 shown]
	s_brev_b32 s80, 1
	s_movk_i32 s81, 0x7f
	s_movk_i32 s82, 0x80
	s_mov_b64 s[62:63], 0x7f800000
	v_lshlrev_b32_e32 v48, 9, v35
	s_mov_b64 s[78:79], 0x47600001
	s_movk_i32 s44, 0x72
	s_mov_b64 s[88:89], 0xffffff
	s_mov_b32 s45, 0x7c0000
	s_brev_b32 s83, 62
	v_mov_b32_e32 v26, -1
	v_mov_b32_e32 v27, 0xff800000
	v_mov_b32_e32 v49, 0x7c
	v_bfrev_b32_e32 v53, 1
	s_waitcnt vmcnt(0)
	v_cmp_eq_u64_e64 s[12:13], 0, v[6:7]
	v_cmp_ne_u64_e64 s[14:15], 0, v[6:7]
	v_lshlrev_b32_e32 v6, 4, v47
	v_ashrrev_i32_e32 v5, 31, v6
	buffer_store_dword v5, off, s[0:3], s33 offset:216 ; 4-byte Folded Spill
	v_subrev_u32_e32 v5, 64, v46
	v_ashrrev_i32_e32 v7, 31, v5
	buffer_store_dword v5, off, s[0:3], s33 offset:100 ; 4-byte Folded Spill
	v_add_co_u32_e64 v5, s[18:19], 64, v5
	buffer_store_dword v6, off, s[0:3], s33 offset:144 ; 4-byte Folded Spill
	v_add_u32_e32 v6, 0xfffffc00, v34
	buffer_store_dword v5, off, s[0:3], s33 offset:108 ; 4-byte Folded Spill
	buffer_store_dword v7, off, s[0:3], s33 offset:104 ; 4-byte Folded Spill
	v_addc_co_u32_e64 v5, s[18:19], 0, v7, s[18:19]
	v_ashrrev_i32_e32 v11, 31, v6
	v_add_co_u32_e64 v6, s[18:19], s9, v6
	s_lshr_b32 s9, s21, 25
	buffer_store_dword v5, off, s[0:3], s33 offset:112 ; 4-byte Folded Spill
	v_sub_u32_e32 v5, v47, v4
	s_add_i32 s8, s8, s9
	v_cmp_lt_i32_e64 s[20:21], v5, v0
	v_cmp_le_i32_e64 s[22:23], v5, v0
	s_ashr_i32 s96, s8, 7
	s_waitcnt lgkmcnt(0)
	v_and_b32_e32 v0, 1, v1
	s_cmp_gt_i32 s66, 2
	v_cmp_eq_u32_e64 s[24:25], 1, v0
	s_cselect_b64 s[72:73], -1, 0
	s_add_i32 s8, s66, 1
	s_xor_b64 s[74:75], s[24:25], -1
	s_cmp_ge_i32 s8, s66
	v_lshlrev_b32_e32 v4, 11, v10
	v_sub_u32_e32 v7, 0, v10
	s_cselect_b32 s9, s66, 0
	buffer_store_dword v10, off, s[0:3], s33 offset:116 ; 4-byte Folded Spill
	buffer_store_dword v7, off, s[0:3], s33 offset:164 ; 4-byte Folded Spill
	;; [unrolled: 1-line block ×4, first 2 shown]
	v_addc_co_u32_e64 v6, s[18:19], 0, v11, s[18:19]
	v_lshl_add_u32 v4, v5, 4, v4
	s_sub_i32 s46, s8, s9
	buffer_store_dword v6, off, s[0:3], s33 offset:64 ; 4-byte Folded Spill
	v_cmp_gt_i32_e64 s[18:19], 1, v5
	buffer_store_dword v5, off, s[0:3], s33 offset:184 ; 4-byte Folded Spill
	v_ashrrev_i32_e32 v5, 31, v4
	s_add_i32 s97, s66, -2
	s_xor_b64 s[76:77], vcc, -1
	s_ashr_i32 s47, s46, 31
	v_mov_b32_e32 v6, 0x7f800000
	v_mov_b32_e32 v7, 0x7f800001
	v_bfrev_b32_e32 v0, 0.5
	buffer_store_dword v4, off, s[0:3], s33 offset:236 ; 4-byte Folded Spill
	s_nop 0
	buffer_store_dword v5, off, s[0:3], s33 offset:240 ; 4-byte Folded Spill
	buffer_store_dword v2, off, s[0:3], s33 offset:208 ; 4-byte Folded Spill
	s_nop 0
	buffer_store_dword v3, off, s[0:3], s33 offset:212 ; 4-byte Folded Spill
	buffer_store_dword v47, off, s[0:3], s33 offset:168 ; 4-byte Folded Spill
	;; [unrolled: 1-line block ×6, first 2 shown]
	s_nop 0
	buffer_store_dword v55, off, s[0:3], s33 offset:132 ; 4-byte Folded Spill
	s_branch .LBB2_47
.LBB2_45:                               ;   in Loop: Header=BB2_47 Depth=1
	s_or_b64 exec, exec, s[40:41]
.LBB2_46:                               ;   in Loop: Header=BB2_47 Depth=1
	s_or_b64 exec, exec, s[28:29]
	buffer_load_dword v8, off, s[0:3], s33 offset:260 ; 4-byte Folded Reload
	buffer_load_dword v9, off, s[0:3], s33 offset:264 ; 4-byte Folded Reload
	buffer_load_dword v10, off, s[0:3], s33 offset:268 ; 4-byte Folded Reload
	buffer_load_dword v11, off, s[0:3], s33 offset:272 ; 4-byte Folded Reload
	s_waitcnt vmcnt(0)
	v_add_co_u32_e32 v36, vcc, v36, v54
	v_addc_co_u32_e32 v37, vcc, v37, v55, vcc
	v_cmp_ge_i64_e32 vcc, v[36:37], v[8:9]
	s_or_b64 s[60:61], vcc, s[60:61]
	s_andn2_b64 exec, exec, s[60:61]
	s_cbranch_execnz .LBB2_47
; %bb.5611:
	s_getpc_b64 s[98:99]
.Lpost_getpc2:
	s_add_u32 s98, s98, (.LBB2_5569-.Lpost_getpc2)&4294967295
	s_addc_u32 s99, s99, (.LBB2_5569-.Lpost_getpc2)>>32
	s_setpc_b64 s[98:99]
.LBB2_47:                               ; =>This Loop Header: Depth=1
                                        ;     Child Loop BB2_57 Depth 2
                                        ;       Child Loop BB2_65 Depth 3
                                        ;       Child Loop BB2_89 Depth 3
	;; [unrolled: 1-line block ×9, first 2 shown]
                                        ;     Child Loop BB2_199 Depth 2
                                        ;       Child Loop BB2_205 Depth 3
                                        ;       Child Loop BB2_229 Depth 3
                                        ;       Child Loop BB2_253 Depth 3
                                        ;     Child Loop BB2_271 Depth 2
                                        ;       Child Loop BB2_274 Depth 3
                                        ;         Child Loop BB2_282 Depth 4
                                        ;         Child Loop BB2_310 Depth 4
                                        ;         Child Loop BB2_329 Depth 4
                                        ;         Child Loop BB2_353 Depth 4
                                        ;         Child Loop BB2_902 Depth 4
                                        ;         Child Loop BB2_1454 Depth 4
                                        ;         Child Loop BB2_1779 Depth 4
                                        ;         Child Loop BB2_1826 Depth 4
                                        ;         Child Loop BB2_1849 Depth 4
                                        ;       Child Loop BB2_1868 Depth 3
                                        ;         Child Loop BB2_1874 Depth 4
                                        ;         Child Loop BB2_1902 Depth 4
	;; [unrolled: 1-line block ×3, first 2 shown]
                                        ;     Child Loop BB2_1943 Depth 2
                                        ;       Child Loop BB2_1951 Depth 3
                                        ;       Child Loop BB2_1979 Depth 3
	;; [unrolled: 1-line block ×4, first 2 shown]
                                        ;         Child Loop BB2_2546 Depth 4
                                        ;       Child Loop BB2_2572 Depth 3
                                        ;         Child Loop BB2_3097 Depth 4
                                        ;       Child Loop BB2_3128 Depth 3
                                        ;       Child Loop BB2_3451 Depth 3
                                        ;         Child Loop BB2_3492 Depth 4
                                        ;       Child Loop BB2_3506 Depth 3
                                        ;       Child Loop BB2_4055 Depth 3
	;; [unrolled: 1-line block ×6, first 2 shown]
                                        ;     Child Loop BB2_5022 Depth 2
                                        ;       Child Loop BB2_5028 Depth 3
                                        ;       Child Loop BB2_5056 Depth 3
	;; [unrolled: 1-line block ×3, first 2 shown]
                                        ;     Child Loop BB2_5097 Depth 2
                                        ;       Child Loop BB2_5100 Depth 3
                                        ;         Child Loop BB2_5108 Depth 4
                                        ;         Child Loop BB2_5136 Depth 4
	;; [unrolled: 1-line block ×4, first 2 shown]
                                        ;           Child Loop BB2_5180 Depth 5
                                        ;         Child Loop BB2_5186 Depth 4
                                        ;           Child Loop BB2_5187 Depth 5
                                        ;         Child Loop BB2_5196 Depth 4
                                        ;         Child Loop BB2_5201 Depth 4
                                        ;           Child Loop BB2_5202 Depth 5
                                        ;         Child Loop BB2_5214 Depth 4
                                        ;         Child Loop BB2_5219 Depth 4
	;; [unrolled: 1-line block ×6, first 2 shown]
                                        ;       Child Loop BB2_5284 Depth 3
                                        ;         Child Loop BB2_5290 Depth 4
                                        ;         Child Loop BB2_5318 Depth 4
                                        ;         Child Loop BB2_5341 Depth 4
                                        ;     Child Loop BB2_5363 Depth 2
                                        ;       Child Loop BB2_5371 Depth 3
                                        ;       Child Loop BB2_5395 Depth 3
	;; [unrolled: 1-line block ×9, first 2 shown]
                                        ;     Child Loop BB2_5503 Depth 2
                                        ;       Child Loop BB2_5509 Depth 3
                                        ;       Child Loop BB2_5533 Depth 3
	;; [unrolled: 1-line block ×3, first 2 shown]
	v_sub_co_u32_e32 v1, vcc, v8, v36
	v_subb_co_u32_e32 v2, vcc, v9, v37, vcc
	buffer_store_dword v1, off, s[0:3], s33 offset:200 ; 4-byte Folded Spill
	s_nop 0
	buffer_store_dword v2, off, s[0:3], s33 offset:204 ; 4-byte Folded Spill
	v_cmp_lt_i64_e32 vcc, v[1:2], v[54:55]
	s_and_saveexec_b64 s[28:29], vcc
	s_cbranch_execz .LBB2_53
; %bb.48:                               ;   in Loop: Header=BB2_47 Depth=1
	buffer_load_dword v4, off, s[0:3], s33 offset:200 ; 4-byte Folded Reload
	buffer_load_dword v5, off, s[0:3], s33 offset:204 ; 4-byte Folded Reload
	v_readlane_b32 s8, v62, 7
	v_mov_b32_e32 v2, s8
	v_readlane_b32 s8, v62, 6
                                        ; implicit-def: $vgpr8_vgpr9
	s_waitcnt vmcnt(0)
	v_add_co_u32_e32 v1, vcc, s8, v4
	s_waitcnt vmcnt(0)
	v_addc_co_u32_e32 v2, vcc, v2, v5, vcc
	v_or_b32_e32 v5, s67, v2
	v_mov_b32_e32 v4, v3
	v_cmp_ne_u64_e32 vcc, 0, v[4:5]
	s_and_saveexec_b64 s[8:9], vcc
	s_xor_b64 s[40:41], exec, s[8:9]
	s_cbranch_execz .LBB2_50
; %bb.49:                               ;   in Loop: Header=BB2_47 Depth=1
	s_ashr_i32 s42, s67, 31
	s_add_u32 s8, s66, s42
	s_mov_b32 s43, s42
	s_addc_u32 s9, s67, s42
	s_xor_b64 s[90:91], s[8:9], s[42:43]
	v_cvt_f32_u32_e32 v4, s90
	v_cvt_f32_u32_e32 v5, s91
	s_sub_u32 s26, 0, s90
	s_subb_u32 s27, 0, s91
	v_ashrrev_i32_e32 v8, 31, v2
	v_mac_f32_e32 v4, 0x4f800000, v5
	v_rcp_f32_e32 v4, v4
	v_mul_f32_e32 v4, 0x5f7ffffc, v4
	v_mul_f32_e32 v5, 0x2f800000, v4
	v_trunc_f32_e32 v5, v5
	v_mac_f32_e32 v4, 0xcf800000, v5
	v_cvt_u32_f32_e32 v5, v5
	v_cvt_u32_f32_e32 v4, v4
	v_readfirstlane_b32 s43, v5
	v_readfirstlane_b32 s8, v4
	s_mul_i32 s9, s26, s43
	s_mul_hi_u32 s93, s26, s8
	s_mul_i32 s92, s27, s8
	s_add_i32 s9, s93, s9
	s_add_i32 s9, s9, s92
	s_mul_i32 s94, s26, s8
	s_mul_i32 s93, s8, s9
	s_mul_hi_u32 s95, s8, s94
	s_mul_hi_u32 s92, s8, s9
	s_add_u32 s93, s95, s93
	s_addc_u32 s92, 0, s92
	s_mul_hi_u32 vcc_lo, s43, s94
	s_mul_i32 s94, s43, s94
	s_add_u32 s93, s93, s94
	s_mul_hi_u32 s95, s43, s9
	s_addc_u32 s92, s92, vcc_lo
	s_addc_u32 s93, s95, 0
	s_mul_i32 s9, s43, s9
	s_add_u32 s9, s92, s9
	s_addc_u32 s92, 0, s93
	s_add_u32 s93, s8, s9
	s_cselect_b64 s[8:9], -1, 0
	s_cmp_lg_u64 s[8:9], 0
	s_addc_u32 s43, s43, s92
	s_mul_i32 s8, s26, s43
	s_mul_hi_u32 s9, s26, s93
	s_add_i32 s8, s9, s8
	s_mul_i32 s27, s27, s93
	s_add_i32 s8, s8, s27
	s_mul_i32 s26, s26, s93
	s_mul_hi_u32 s27, s43, s26
	s_mul_i32 s92, s43, s26
	s_mul_i32 s95, s93, s8
	s_mul_hi_u32 s26, s93, s26
	s_mul_hi_u32 s94, s93, s8
	s_add_u32 s26, s26, s95
	s_addc_u32 s94, 0, s94
	s_add_u32 s26, s26, s92
	s_mul_hi_u32 s9, s43, s8
	s_addc_u32 s26, s94, s27
	s_addc_u32 s9, s9, 0
	s_mul_i32 s8, s43, s8
	s_add_u32 s8, s26, s8
	s_addc_u32 s26, 0, s9
	s_add_u32 s27, s93, s8
	s_cselect_b64 s[8:9], -1, 0
	s_cmp_lg_u64 s[8:9], 0
	v_add_co_u32_e32 v1, vcc, v1, v8
	s_addc_u32 s26, s43, s26
	v_xor_b32_e32 v9, v1, v8
	v_addc_co_u32_e32 v4, vcc, v2, v8, vcc
	v_mad_u64_u32 v[1:2], s[8:9], v9, s26, 0
	v_mul_hi_u32 v5, v9, s27
	v_xor_b32_e32 v10, v4, v8
	v_add_co_u32_e32 v11, vcc, v5, v1
	v_addc_co_u32_e32 v12, vcc, 0, v2, vcc
	v_mad_u64_u32 v[1:2], s[8:9], v10, s27, 0
	v_mad_u64_u32 v[4:5], s[8:9], v10, s26, 0
	v_add_co_u32_e32 v1, vcc, v11, v1
	v_addc_co_u32_e32 v1, vcc, v12, v2, vcc
	v_addc_co_u32_e32 v2, vcc, 0, v5, vcc
	v_add_co_u32_e32 v4, vcc, v1, v4
	v_addc_co_u32_e32 v5, vcc, 0, v2, vcc
	v_mul_lo_u32 v11, s91, v4
	v_mul_lo_u32 v12, s90, v5
	v_mad_u64_u32 v[1:2], s[8:9], s90, v4, 0
	v_add3_u32 v2, v2, v12, v11
	v_sub_u32_e32 v11, v10, v2
	v_mov_b32_e32 v12, s91
	v_sub_co_u32_e32 v1, vcc, v9, v1
	v_subb_co_u32_e64 v9, s[26:27], v11, v12, vcc
	v_subrev_co_u32_e64 v11, s[26:27], s90, v1
	v_subbrev_co_u32_e64 v9, s[26:27], 0, v9, s[26:27]
	v_cmp_le_u32_e64 s[26:27], s91, v9
	v_cndmask_b32_e64 v12, 0, -1, s[26:27]
	v_cmp_le_u32_e64 s[26:27], s90, v11
	v_cndmask_b32_e64 v11, 0, -1, s[26:27]
	v_cmp_eq_u32_e64 s[26:27], s91, v9
	v_cndmask_b32_e64 v9, v12, v11, s[26:27]
	v_add_co_u32_e64 v11, s[26:27], 2, v4
	v_subb_co_u32_e32 v2, vcc, v10, v2, vcc
	v_addc_co_u32_e64 v12, s[26:27], 0, v5, s[26:27]
	v_cmp_le_u32_e32 vcc, s91, v2
	v_add_co_u32_e64 v13, s[26:27], 1, v4
	v_cndmask_b32_e64 v10, 0, -1, vcc
	v_cmp_le_u32_e32 vcc, s90, v1
	v_addc_co_u32_e64 v14, s[26:27], 0, v5, s[26:27]
	v_cndmask_b32_e64 v1, 0, -1, vcc
	v_cmp_eq_u32_e32 vcc, s91, v2
	v_cmp_ne_u32_e64 s[26:27], 0, v9
	v_cndmask_b32_e32 v1, v10, v1, vcc
	v_cmp_ne_u32_e32 vcc, 0, v1
	v_cndmask_b32_e64 v2, v13, v11, s[26:27]
	v_cndmask_b32_e64 v9, v14, v12, s[26:27]
	v_cndmask_b32_e32 v2, v4, v2, vcc
	v_xor_b32_e32 v4, s42, v8
	v_cndmask_b32_e32 v1, v5, v9, vcc
	v_xor_b32_e32 v2, v2, v4
	v_xor_b32_e32 v1, v1, v4
	v_sub_co_u32_e32 v8, vcc, v2, v4
	v_subb_co_u32_e32 v9, vcc, v1, v4, vcc
                                        ; implicit-def: $vgpr1
.LBB2_50:                               ;   in Loop: Header=BB2_47 Depth=1
	s_andn2_saveexec_b64 s[40:41], s[40:41]
	s_cbranch_execz .LBB2_52
; %bb.51:                               ;   in Loop: Header=BB2_47 Depth=1
	v_cvt_f32_u32_e32 v2, s66
	s_sub_i32 s8, 0, s66
	v_rcp_iflag_f32_e32 v2, v2
	v_mul_f32_e32 v2, 0x4f7ffffe, v2
	v_cvt_u32_f32_e32 v2, v2
	v_mul_lo_u32 v4, s8, v2
	v_mul_hi_u32 v4, v2, v4
	v_add_u32_e32 v2, v2, v4
	v_mul_hi_u32 v2, v1, v2
	v_mul_lo_u32 v4, v2, s66
	v_sub_u32_e32 v1, v1, v4
	v_cmp_le_u32_e32 vcc, s66, v1
	v_subrev_u32_e32 v4, s66, v1
	v_cndmask_b32_e32 v1, v1, v4, vcc
	v_cmp_le_u32_e64 s[26:27], s66, v1
	v_add_u32_e32 v1, 1, v2
	v_cndmask_b32_e32 v1, v2, v1, vcc
	v_add_u32_e32 v2, 1, v1
	v_cndmask_b32_e64 v2, v1, v2, s[26:27]
	v_mov_b32_e32 v9, v3
	v_mov_b32_e32 v8, v2
.LBB2_52:                               ;   in Loop: Header=BB2_47 Depth=1
	s_or_b64 exec, exec, s[40:41]
	v_add_co_u32_e32 v1, vcc, 15, v8
	v_addc_co_u32_e32 v2, vcc, 0, v9, vcc
	v_and_b32_e32 v1, -16, v1
	buffer_store_dword v1, off, s[0:3], s33 offset:208 ; 4-byte Folded Spill
	s_nop 0
	buffer_store_dword v2, off, s[0:3], s33 offset:212 ; 4-byte Folded Spill
.LBB2_53:                               ;   in Loop: Header=BB2_47 Depth=1
	s_or_b64 exec, exec, s[28:29]
	buffer_load_dword v4, off, s[0:3], s33 offset:208 ; 4-byte Folded Reload
	buffer_load_dword v5, off, s[0:3], s33 offset:212 ; 4-byte Folded Reload
	v_mov_b32_e32 v19, 0
	s_waitcnt vmcnt(0)
	v_mul_lo_u32 v2, v4, s87
	s_waitcnt vmcnt(0)
	v_mul_lo_u32 v1, v5, s86
	v_mad_u64_u32 v[10:11], s[8:9], v4, s86, 0
	v_add3_u32 v11, v11, v2, v1
	buffer_load_dword v1, off, s[0:3], s33 offset:252 ; 4-byte Folded Reload
	buffer_load_dword v2, off, s[0:3], s33 offset:256 ; 4-byte Folded Reload
	s_waitcnt vmcnt(0)
	v_add_co_u32_e32 v1, vcc, v36, v1
	buffer_store_dword v1, off, s[0:3], s33 offset:136 ; 4-byte Folded Spill
	s_waitcnt vmcnt(1)
	v_addc_co_u32_e32 v1, vcc, v37, v2, vcc
	buffer_store_dword v1, off, s[0:3], s33 offset:140 ; 4-byte Folded Spill
	buffer_load_dword v1, off, s[0:3], s33 offset:200 ; 4-byte Folded Reload
	s_nop 0
	buffer_load_dword v2, off, s[0:3], s33 offset:204 ; 4-byte Folded Reload
	s_waitcnt vmcnt(0)
	v_sub_co_u32_e32 v1, vcc, v1, v10
	s_waitcnt vmcnt(0)
	v_subb_co_u32_e32 v2, vcc, v2, v11, vcc
	v_cmp_lt_i64_e32 vcc, v[4:5], v[1:2]
	v_cndmask_b32_e32 v2, v1, v4, vcc
	v_max_i32_e32 v18, 0, v2
	v_add_u32_e32 v4, 31, v18
	v_lshrrev_b32_e32 v4, 1, v4
	v_and_b32_e32 v4, 0x3ffffff0, v4
	v_mov_b32_e32 v1, 0
	v_max_i32_e32 v8, s96, v4
	v_cmp_lt_i32_e32 vcc, 0, v2
	s_and_b64 s[8:9], s[76:77], vcc
	s_mov_b64 s[28:29], exec
	s_and_b64 s[8:9], s[28:29], s[8:9]
	buffer_store_dword v36, off, s[0:3], s33 offset:120 ; 4-byte Folded Spill
	s_nop 0
	buffer_store_dword v37, off, s[0:3], s33 offset:124 ; 4-byte Folded Spill
	s_mov_b64 exec, s[8:9]
	s_cbranch_execz .LBB2_195
; %bb.54:                               ;   in Loop: Header=BB2_47 Depth=1
	s_mov_b32 s8, 1
	s_mov_b64 s[42:43], -1
	v_mov_b32_e32 v19, 0
	s_mov_b64 s[40:41], 0
	s_branch .LBB2_57
.LBB2_55:                               ;   in Loop: Header=BB2_57 Depth=2
	s_or_b64 exec, exec, s[90:91]
	v_add_co_u32_e32 v50, vcc, 2, v50
	v_addc_co_u32_e32 v51, vcc, 0, v51, vcc
	flat_store_dwordx2 v[22:23], v[50:51]
.LBB2_56:                               ;   in Loop: Header=BB2_57 Depth=2
	s_or_b64 exec, exec, s[26:27]
	v_add_u32_e32 v19, v8, v19
	v_cmp_ge_i32_e32 vcc, v19, v18
	s_xor_b64 s[26:27], s[42:43], -1
	s_or_b64 s[26:27], s[26:27], vcc
	s_and_b64 s[26:27], exec, s[26:27]
	s_or_b64 s[40:41], s[26:27], s[40:41]
	s_mov_b64 s[42:43], 0
	v_mov_b32_e32 v1, s8
	s_mov_b32 s8, 2
	s_andn2_b64 exec, exec, s[40:41]
	s_cbranch_execz .LBB2_194
.LBB2_57:                               ;   Parent Loop BB2_47 Depth=1
                                        ; =>  This Loop Header: Depth=2
                                        ;       Child Loop BB2_65 Depth 3
                                        ;       Child Loop BB2_89 Depth 3
	;; [unrolled: 1-line block ×9, first 2 shown]
	s_and_saveexec_b64 s[26:27], s[4:5]
	s_cbranch_execz .LBB2_59
; %bb.58:                               ;   in Loop: Header=BB2_57 Depth=2
	s_trap 2
	buffer_load_dword v4, off, s[0:3], s33 offset:136 ; 4-byte Folded Reload
	ds_read_b64 v[1:2], v0
	s_waitcnt vmcnt(0) lgkmcnt(0)
	v_add_co_u32_e32 v1, vcc, v1, v4
	buffer_load_dword v4, off, s[0:3], s33 offset:140 ; 4-byte Folded Reload
	s_waitcnt vmcnt(0)
	v_addc_co_u32_e32 v2, vcc, v2, v4, vcc
	v_add_co_u32_e32 v1, vcc, v1, v10
	v_addc_co_u32_e32 v2, vcc, v2, v11, vcc
	v_ashrrev_i32_e32 v4, 31, v19
	v_add_co_u32_e32 v1, vcc, v1, v19
	v_addc_co_u32_e32 v2, vcc, v2, v4, vcc
	ds_write_b64 v0, v[1:2]
	v_mov_b32_e32 v2, v3
	ds_write_b64 v0, v[2:3]
.LBB2_59:                               ;   in Loop: Header=BB2_57 Depth=2
	s_or_b64 exec, exec, s[26:27]
	v_sub_u32_e32 v1, v18, v19
	v_min_i32_e32 v8, v8, v1
	v_and_b32_e32 v1, 8, v38
	v_cmp_ne_u32_e32 vcc, 0, v1
	s_and_saveexec_b64 s[90:91], vcc
	s_cbranch_execz .LBB2_81
; %bb.60:                               ;   in Loop: Header=BB2_57 Depth=2
	s_waitcnt lgkmcnt(0)
	v_add_co_u32_e32 v1, vcc, 8, v32
	v_addc_co_u32_e32 v2, vcc, 0, v33, vcc
	v_add_co_u32_e32 v12, vcc, 2, v50
	v_addc_co_u32_e32 v13, vcc, 0, v51, vcc
	v_cmp_lt_u64_e32 vcc, v[1:2], v[12:13]
	s_and_saveexec_b64 s[92:93], vcc
	s_cbranch_execz .LBB2_72
; %bb.61:                               ;   in Loop: Header=BB2_57 Depth=2
	v_and_b32_e32 v1, 64, v38
	s_mov_b32 s9, 0
	v_cmp_eq_u32_e32 vcc, 0, v1
	s_mov_b64 s[94:95], 0
                                        ; implicit-def: $sgpr30_sgpr31
                                        ; implicit-def: $sgpr34_sgpr35
                                        ; implicit-def: $sgpr36_sgpr37
	s_branch .LBB2_65
.LBB2_62:                               ;   in Loop: Header=BB2_65 Depth=3
	s_waitcnt vmcnt(0) lgkmcnt(0)
	v_add_co_u32_e64 v4, s[26:27], 8, v32
	v_addc_co_u32_e64 v5, s[26:27], 0, v33, s[26:27]
	v_cmp_ge_u64_e64 s[26:27], v[4:5], v[12:13]
	s_or_b64 s[50:51], s[50:51], exec
	s_orn2_b64 s[48:49], s[26:27], exec
.LBB2_63:                               ;   in Loop: Header=BB2_65 Depth=3
	s_or_b64 exec, exec, s[54:55]
	s_andn2_b64 s[26:27], s[36:37], exec
	s_and_b64 s[36:37], s[50:51], exec
	s_or_b64 s[36:37], s[26:27], s[36:37]
	s_andn2_b64 s[26:27], s[34:35], exec
	s_and_b64 s[34:35], s[48:49], exec
	s_or_b64 s[34:35], s[26:27], s[34:35]
.LBB2_64:                               ;   in Loop: Header=BB2_65 Depth=3
	s_or_b64 exec, exec, s[38:39]
	s_and_b64 s[26:27], exec, s[34:35]
	s_or_b64 s[94:95], s[26:27], s[94:95]
	s_andn2_b64 s[26:27], s[30:31], exec
	s_and_b64 s[30:31], s[36:37], exec
	s_or_b64 s[30:31], s[26:27], s[30:31]
	s_andn2_b64 exec, exec, s[94:95]
	s_cbranch_execz .LBB2_69
.LBB2_65:                               ;   Parent Loop BB2_47 Depth=1
                                        ;     Parent Loop BB2_57 Depth=2
                                        ; =>    This Inner Loop Header: Depth=3
	s_sleep 1
	s_waitcnt vmcnt(0) lgkmcnt(0)
	flat_load_dwordx2 v[32:33], v[22:23] glc
	s_or_b64 s[36:37], s[36:37], exec
	s_or_b64 s[34:35], s[34:35], exec
                                        ; implicit-def: $vgpr1
	s_and_saveexec_b64 s[38:39], vcc
	s_cbranch_execz .LBB2_64
; %bb.66:                               ;   in Loop: Header=BB2_65 Depth=3
	s_cmpk_lt_i32 s9, 0x270f
	s_cselect_b64 s[52:53], -1, 0
	s_cmpk_gt_i32 s9, 0x270e
	s_mov_b64 s[48:49], -1
	s_cbranch_scc0 .LBB2_68
; %bb.67:                               ;   in Loop: Header=BB2_65 Depth=3
	s_trap 2
	ds_read_b64 v[1:2], v0
	s_andn2_b64 s[52:53], s[52:53], exec
	s_mov_b32 s9, 0
	s_mov_b64 s[50:51], 0
	s_waitcnt vmcnt(0) lgkmcnt(0)
	flat_load_dword v1, v[1:2] glc
	s_waitcnt vmcnt(0) lgkmcnt(0)
	buffer_wbinvl1_vol
	v_cmp_eq_u32_e64 s[26:27], 0, v1
	s_and_b64 s[26:27], s[26:27], exec
	s_or_b64 s[52:53], s[52:53], s[26:27]
	s_and_saveexec_b64 s[54:55], s[52:53]
	s_cbranch_execz .LBB2_63
	s_branch .LBB2_62
.LBB2_68:                               ;   in Loop: Header=BB2_65 Depth=3
	s_add_i32 s9, s9, 1
	s_mov_b64 s[50:51], -1
                                        ; implicit-def: $vgpr1
	s_and_saveexec_b64 s[54:55], s[52:53]
	s_cbranch_execz .LBB2_63
	s_branch .LBB2_62
.LBB2_69:                               ;   in Loop: Header=BB2_57 Depth=2
	s_or_b64 exec, exec, s[94:95]
	s_xor_b64 s[26:27], s[30:31], -1
	s_and_saveexec_b64 s[94:95], s[26:27]
	s_xor_b64 s[26:27], exec, s[94:95]
	s_cbranch_execz .LBB2_71
; %bb.70:                               ;   in Loop: Header=BB2_57 Depth=2
	v_or_b32_e32 v38, 64, v38
	s_waitcnt lgkmcnt(0)
	ds_write_b32 v0, v1
	s_trap 2
.LBB2_71:                               ;   in Loop: Header=BB2_57 Depth=2
	s_or_b64 exec, exec, s[26:27]
.LBB2_72:                               ;   in Loop: Header=BB2_57 Depth=2
	s_or_b64 exec, exec, s[92:93]
	v_and_b32_e32 v1, 0x100, v38
	v_cmp_ne_u32_e32 vcc, 0, v1
	v_and_b32_e32 v1, 7, v50
	s_mov_b64 s[26:27], -1
	;;#ASMSTART
	s_wakeup
	;;#ASMEND
                                        ; implicit-def: $vgpr14_vgpr15
	s_and_saveexec_b64 s[92:93], vcc
	s_cbranch_execz .LBB2_76
; %bb.73:                               ;   in Loop: Header=BB2_57 Depth=2
	buffer_load_dword v14, off, s[0:3], s33 offset:76 ; 4-byte Folded Reload
	buffer_load_dword v15, off, s[0:3], s33 offset:80 ; 4-byte Folded Reload
	;; [unrolled: 1-line block ×4, first 2 shown]
	v_ashrrev_i32_e32 v9, 31, v8
	s_waitcnt vmcnt(0)
	v_mad_u64_u32 v[4:5], s[26:27], v1, 24, v[14:15]
                                        ; implicit-def: $vgpr14_vgpr15
	flat_load_dword v2, v[4:5]
	s_nop 0
	flat_store_dwordx2 v[4:5], v[8:9] offset:8
	s_waitcnt vmcnt(0) lgkmcnt(0)
	v_cmp_ne_u32_e32 vcc, 1, v2
	v_cmp_eq_u32_e64 s[26:27], 1, v2
	s_and_saveexec_b64 s[94:95], s[26:27]
	s_cbranch_execz .LBB2_75
; %bb.74:                               ;   in Loop: Header=BB2_57 Depth=2
	flat_load_dword v14, v[4:5] offset:4 glc
	s_waitcnt vmcnt(0) lgkmcnt(0)
	v_ashrrev_i32_e32 v15, 31, v14
.LBB2_75:                               ;   in Loop: Header=BB2_57 Depth=2
	s_or_b64 exec, exec, s[94:95]
	s_orn2_b64 s[26:27], vcc, exec
.LBB2_76:                               ;   in Loop: Header=BB2_57 Depth=2
	s_or_b64 exec, exec, s[92:93]
	s_and_saveexec_b64 s[92:93], s[26:27]
; %bb.77:                               ;   in Loop: Header=BB2_57 Depth=2
	v_mad_i64_i32 v[14:15], s[26:27], v1, v56, 0
; %bb.78:                               ;   in Loop: Header=BB2_57 Depth=2
	s_or_b64 exec, exec, s[92:93]
	buffer_load_dword v1, off, s[0:3], s33 offset:68 ; 4-byte Folded Reload
	buffer_load_dword v2, off, s[0:3], s33 offset:72 ; 4-byte Folded Reload
	s_waitcnt vmcnt(0)
	v_add_co_u32_e32 v1, vcc, v1, v14
	v_addc_co_u32_e32 v2, vcc, v2, v15, vcc
	ds_write_b64 v0, v[1:2] offset:784
	v_and_b32_e32 v1, 0x2000, v38
	v_cmp_ne_u32_e32 vcc, 0, v1
	s_and_saveexec_b64 s[26:27], vcc
	s_cbranch_execz .LBB2_80
; %bb.79:                               ;   in Loop: Header=BB2_57 Depth=2
	ds_read_b64 v[1:2], v0 offset:872
	s_waitcnt lgkmcnt(0)
	v_add_co_u32_e32 v1, vcc, 1, v1
	v_addc_co_u32_e32 v2, vcc, 0, v2, vcc
	ds_write_b64 v0, v[1:2] offset:872
.LBB2_80:                               ;   in Loop: Header=BB2_57 Depth=2
	s_or_b64 exec, exec, s[26:27]
	v_mov_b32_e32 v51, v13
	v_mov_b32_e32 v50, v12
.LBB2_81:                               ;   in Loop: Header=BB2_57 Depth=2
	s_or_b64 exec, exec, s[90:91]
	s_and_saveexec_b64 s[26:27], s[10:11]
	s_cbranch_execz .LBB2_100
; %bb.82:                               ;   in Loop: Header=BB2_57 Depth=2
	s_and_saveexec_b64 s[90:91], s[58:59]
	s_xor_b64 s[90:91], exec, s[90:91]
	s_cbranch_execz .LBB2_97
; %bb.83:                               ;   in Loop: Header=BB2_57 Depth=2
	s_and_saveexec_b64 s[92:93], s[16:17]
	s_cbranch_execz .LBB2_96
; %bb.84:                               ;   in Loop: Header=BB2_57 Depth=2
	s_mov_b64 s[30:31], exec
	v_mbcnt_lo_u32_b32 v1, s30, 0
	v_mbcnt_hi_u32_b32 v1, s31, v1
	v_cmp_eq_u32_e32 vcc, 0, v1
	s_waitcnt vmcnt(0) lgkmcnt(0)
	buffer_wbinvl1_vol
	s_and_saveexec_b64 s[94:95], vcc
	s_cbranch_execz .LBB2_86
; %bb.85:                               ;   in Loop: Header=BB2_57 Depth=2
	s_bcnt1_i32_b64 s9, s[30:31]
	v_mov_b32_e32 v2, s9
	ds_add_u64 v0, v[2:3]
	s_trap 2
.LBB2_86:                               ;   in Loop: Header=BB2_57 Depth=2
	s_or_b64 exec, exec, s[94:95]
	s_trap 2
	ds_read_b64 v[1:2], v0
	s_waitcnt lgkmcnt(0)
	v_add_co_u32_e32 v28, vcc, v28, v35
	v_addc_co_u32_e32 v29, vcc, 0, v29, vcc
	v_cmp_lt_u64_e32 vcc, v[1:2], v[28:29]
	s_and_saveexec_b64 s[94:95], vcc
	s_cbranch_execz .LBB2_95
; %bb.87:                               ;   in Loop: Header=BB2_57 Depth=2
	s_mov_b32 s9, 0
	s_mov_b64 s[30:31], 0
                                        ; implicit-def: $sgpr34_sgpr35
                                        ; implicit-def: $sgpr36_sgpr37
	s_branch .LBB2_89
.LBB2_88:                               ;   in Loop: Header=BB2_89 Depth=3
	s_or_b64 exec, exec, s[48:49]
	s_and_b64 vcc, exec, vcc
	s_or_b64 s[30:31], vcc, s[30:31]
	s_andn2_b64 vcc, s[34:35], exec
	s_and_b64 s[34:35], s[36:37], exec
	s_or_b64 s[34:35], vcc, s[34:35]
	s_andn2_b64 exec, exec, s[30:31]
	s_cbranch_execz .LBB2_93
.LBB2_89:                               ;   Parent Loop BB2_47 Depth=1
                                        ;     Parent Loop BB2_57 Depth=2
                                        ; =>    This Inner Loop Header: Depth=3
	s_add_i32 s9, s9, 1
	s_cmpk_lg_i32 s9, 0x2710
	s_cselect_b64 s[38:39], -1, 0
	s_and_b64 vcc, exec, s[38:39]
	s_cbranch_vccz .LBB2_91
; %bb.90:                               ;   in Loop: Header=BB2_89 Depth=3
	s_mov_b64 vcc, -1
	s_or_b64 s[36:37], s[36:37], exec
	s_and_saveexec_b64 s[48:49], s[38:39]
	s_cbranch_execz .LBB2_88
	s_branch .LBB2_92
.LBB2_91:                               ;   in Loop: Header=BB2_89 Depth=3
	s_trap 2
	ds_read_b64 v[1:2], v0
	s_andn2_b64 s[38:39], s[38:39], exec
	s_mov_b32 s9, 0
	s_waitcnt lgkmcnt(0)
	flat_load_dword v1, v[1:2] glc
	s_waitcnt vmcnt(0) lgkmcnt(0)
	buffer_wbinvl1_vol
	v_cmp_eq_u32_e32 vcc, 0, v1
	s_and_b64 vcc, vcc, exec
	s_or_b64 s[38:39], s[38:39], vcc
	s_mov_b64 vcc, -1
	s_or_b64 s[36:37], s[36:37], exec
	s_and_saveexec_b64 s[48:49], s[38:39]
	s_cbranch_execz .LBB2_88
.LBB2_92:                               ;   in Loop: Header=BB2_89 Depth=3
	s_sleep 1
	s_trap 2
	ds_read_b64 v[1:2], v0
	s_waitcnt lgkmcnt(0)
	s_andn2_b64 s[36:37], s[36:37], exec
	v_cmp_ge_u64_e32 vcc, v[1:2], v[28:29]
	s_orn2_b64 vcc, vcc, exec
	s_branch .LBB2_88
.LBB2_93:                               ;   in Loop: Header=BB2_57 Depth=2
	s_or_b64 exec, exec, s[30:31]
	s_and_saveexec_b64 vcc, s[34:35]
	s_xor_b64 vcc, exec, vcc
	s_cbranch_execz .LBB2_95
; %bb.94:                               ;   in Loop: Header=BB2_57 Depth=2
	v_mov_b32_e32 v1, 1
	ds_write_b32 v0, v1
	s_trap 2
.LBB2_95:                               ;   in Loop: Header=BB2_57 Depth=2
	s_or_b64 exec, exec, s[94:95]
	;;#ASMSTART
	s_wakeup
	;;#ASMEND
.LBB2_96:                               ;   in Loop: Header=BB2_57 Depth=2
	s_or_b64 exec, exec, s[92:93]
.LBB2_97:                               ;   in Loop: Header=BB2_57 Depth=2
	s_andn2_saveexec_b64 s[90:91], s[90:91]
	s_cbranch_execz .LBB2_99
; %bb.98:                               ;   in Loop: Header=BB2_57 Depth=2
	s_waitcnt vmcnt(0) lgkmcnt(0)
	buffer_wbinvl1_vol
	s_barrier
.LBB2_99:                               ;   in Loop: Header=BB2_57 Depth=2
	s_or_b64 exec, exec, s[90:91]
.LBB2_100:                              ;   in Loop: Header=BB2_57 Depth=2
	s_or_b64 exec, exec, s[26:27]
	s_trap 2
	ds_read_b32 v4, v0
	v_and_b32_e32 v1, 0x4000, v38
	v_cmp_ne_u32_e32 vcc, 0, v1
	s_xor_b64 s[26:27], s[6:7], -1
	s_and_b64 s[90:91], s[26:27], vcc
	s_and_saveexec_b64 s[26:27], s[90:91]
	s_cbranch_execz .LBB2_119
; %bb.101:                              ;   in Loop: Header=BB2_57 Depth=2
	s_and_saveexec_b64 s[90:91], s[58:59]
	s_xor_b64 s[90:91], exec, s[90:91]
	s_cbranch_execz .LBB2_116
; %bb.102:                              ;   in Loop: Header=BB2_57 Depth=2
	s_and_saveexec_b64 s[92:93], s[16:17]
	s_cbranch_execz .LBB2_115
; %bb.103:                              ;   in Loop: Header=BB2_57 Depth=2
	s_mov_b64 s[30:31], exec
	v_mbcnt_lo_u32_b32 v1, s30, 0
	v_mbcnt_hi_u32_b32 v1, s31, v1
	v_cmp_eq_u32_e32 vcc, 0, v1
	s_waitcnt vmcnt(0) lgkmcnt(0)
	buffer_wbinvl1_vol
	s_and_saveexec_b64 s[94:95], vcc
	s_cbranch_execz .LBB2_105
; %bb.104:                              ;   in Loop: Header=BB2_57 Depth=2
	s_bcnt1_i32_b64 s9, s[30:31]
	v_mov_b32_e32 v2, s9
	ds_add_u64 v0, v[2:3]
	s_trap 2
.LBB2_105:                              ;   in Loop: Header=BB2_57 Depth=2
	s_or_b64 exec, exec, s[94:95]
	s_trap 2
	ds_read_b64 v[1:2], v0
	s_waitcnt lgkmcnt(0)
	v_add_co_u32_e32 v28, vcc, v28, v35
	v_addc_co_u32_e32 v29, vcc, 0, v29, vcc
	v_cmp_lt_u64_e32 vcc, v[1:2], v[28:29]
	s_and_saveexec_b64 s[94:95], vcc
	s_cbranch_execz .LBB2_114
; %bb.106:                              ;   in Loop: Header=BB2_57 Depth=2
	s_mov_b32 s9, 0
	s_mov_b64 s[30:31], 0
                                        ; implicit-def: $sgpr34_sgpr35
                                        ; implicit-def: $sgpr36_sgpr37
	s_branch .LBB2_108
.LBB2_107:                              ;   in Loop: Header=BB2_108 Depth=3
	s_or_b64 exec, exec, s[48:49]
	s_and_b64 vcc, exec, vcc
	s_or_b64 s[30:31], vcc, s[30:31]
	s_andn2_b64 vcc, s[34:35], exec
	s_and_b64 s[34:35], s[36:37], exec
	s_or_b64 s[34:35], vcc, s[34:35]
	s_andn2_b64 exec, exec, s[30:31]
	s_cbranch_execz .LBB2_112
.LBB2_108:                              ;   Parent Loop BB2_47 Depth=1
                                        ;     Parent Loop BB2_57 Depth=2
                                        ; =>    This Inner Loop Header: Depth=3
	s_add_i32 s9, s9, 1
	s_cmpk_lg_i32 s9, 0x2710
	s_cselect_b64 s[38:39], -1, 0
	s_and_b64 vcc, exec, s[38:39]
	s_cbranch_vccz .LBB2_110
; %bb.109:                              ;   in Loop: Header=BB2_108 Depth=3
	s_mov_b64 vcc, -1
	s_or_b64 s[36:37], s[36:37], exec
	s_and_saveexec_b64 s[48:49], s[38:39]
	s_cbranch_execz .LBB2_107
	s_branch .LBB2_111
.LBB2_110:                              ;   in Loop: Header=BB2_108 Depth=3
	s_trap 2
	ds_read_b64 v[1:2], v0
	s_andn2_b64 s[38:39], s[38:39], exec
	s_mov_b32 s9, 0
	s_waitcnt lgkmcnt(0)
	flat_load_dword v1, v[1:2] glc
	s_waitcnt vmcnt(0) lgkmcnt(0)
	buffer_wbinvl1_vol
	v_cmp_eq_u32_e32 vcc, 0, v1
	s_and_b64 vcc, vcc, exec
	s_or_b64 s[38:39], s[38:39], vcc
	s_mov_b64 vcc, -1
	s_or_b64 s[36:37], s[36:37], exec
	s_and_saveexec_b64 s[48:49], s[38:39]
	s_cbranch_execz .LBB2_107
.LBB2_111:                              ;   in Loop: Header=BB2_108 Depth=3
	s_sleep 1
	s_trap 2
	ds_read_b64 v[1:2], v0
	s_waitcnt lgkmcnt(0)
	s_andn2_b64 s[36:37], s[36:37], exec
	v_cmp_ge_u64_e32 vcc, v[1:2], v[28:29]
	s_orn2_b64 vcc, vcc, exec
	s_branch .LBB2_107
.LBB2_112:                              ;   in Loop: Header=BB2_57 Depth=2
	s_or_b64 exec, exec, s[30:31]
	s_and_saveexec_b64 vcc, s[34:35]
	s_xor_b64 vcc, exec, vcc
	s_cbranch_execz .LBB2_114
; %bb.113:                              ;   in Loop: Header=BB2_57 Depth=2
	v_mov_b32_e32 v1, 1
	ds_write_b32 v0, v1
	s_trap 2
.LBB2_114:                              ;   in Loop: Header=BB2_57 Depth=2
	s_or_b64 exec, exec, s[94:95]
	;;#ASMSTART
	s_wakeup
	;;#ASMEND
.LBB2_115:                              ;   in Loop: Header=BB2_57 Depth=2
	s_or_b64 exec, exec, s[92:93]
.LBB2_116:                              ;   in Loop: Header=BB2_57 Depth=2
	s_andn2_saveexec_b64 s[90:91], s[90:91]
	s_cbranch_execz .LBB2_118
; %bb.117:                              ;   in Loop: Header=BB2_57 Depth=2
	s_waitcnt vmcnt(0) lgkmcnt(0)
	buffer_wbinvl1_vol
	s_barrier
.LBB2_118:                              ;   in Loop: Header=BB2_57 Depth=2
	s_or_b64 exec, exec, s[90:91]
.LBB2_119:                              ;   in Loop: Header=BB2_57 Depth=2
	s_or_b64 exec, exec, s[26:27]
	s_trap 2
	ds_read_b64 v[12:13], v0
	s_waitcnt lgkmcnt(0)
	v_cmp_eq_u64_e32 vcc, 0, v[12:13]
	s_cbranch_vccnz .LBB2_127
; %bb.120:                              ;   in Loop: Header=BB2_57 Depth=2
	s_trap 2
	ds_read_b64 v[14:15], v0
	s_waitcnt lgkmcnt(0)
	v_cmp_eq_u64_e32 vcc, 0, v[14:15]
	s_cbranch_vccnz .LBB2_127
; %bb.121:                              ;   in Loop: Header=BB2_57 Depth=2
	s_mov_b64 s[26:27], -1
	s_and_saveexec_b64 s[90:91], s[18:19]
	s_cbranch_execz .LBB2_123
; %bb.122:                              ;   in Loop: Header=BB2_57 Depth=2
	ds_read_b32 v1, v0 offset:720
	s_waitcnt lgkmcnt(0)
	v_and_b32_e32 v1, 15, v1
	v_cmp_eq_u32_e32 vcc, 0, v1
	s_orn2_b64 s[26:27], vcc, exec
.LBB2_123:                              ;   in Loop: Header=BB2_57 Depth=2
	s_or_b64 exec, exec, s[90:91]
	s_and_saveexec_b64 s[90:91], s[20:21]
	s_cbranch_execz .LBB2_125
; %bb.124:                              ;   in Loop: Header=BB2_57 Depth=2
	ds_read_b32 v1, v0 offset:784
	s_waitcnt lgkmcnt(0)
	v_and_b32_e32 v1, 15, v1
	v_cmp_eq_u32_e32 vcc, 0, v1
	s_and_b64 s[92:93], s[26:27], vcc
	s_andn2_b64 s[26:27], s[26:27], exec
	s_and_b64 s[92:93], s[92:93], exec
	s_or_b64 s[26:27], s[26:27], s[92:93]
.LBB2_125:                              ;   in Loop: Header=BB2_57 Depth=2
	s_or_b64 exec, exec, s[90:91]
	buffer_load_dword v16, off, s[0:3], s33 offset:116 ; 4-byte Folded Reload
	v_cmp_eq_u32_e32 vcc, 0, v4
	s_xor_b64 s[26:27], s[26:27], -1
	v_cndmask_b32_e32 v2, 0, v8, vcc
	v_cndmask_b32_e64 v1, 0, 1, s[26:27]
	s_mov_b64 s[92:93], -1
	v_cmp_ne_u32_e32 vcc, 0, v1
	v_mov_b32_e32 v4, 0
	v_mov_b32_e32 v5, v2
	;; [unrolled: 1-line block ×3, first 2 shown]
	s_cbranch_vccz .LBB2_128
; %bb.126:                              ;   in Loop: Header=BB2_57 Depth=2
	s_and_saveexec_b64 s[26:27], s[92:93]
	s_cbranch_execnz .LBB2_141
	s_branch .LBB2_149
.LBB2_127:                              ;   in Loop: Header=BB2_57 Depth=2
	s_mov_b64 s[26:27], 0
	s_and_saveexec_b64 s[90:91], s[10:11]
	s_cbranch_execnz .LBB2_150
	s_branch .LBB2_168
.LBB2_128:                              ;   in Loop: Header=BB2_57 Depth=2
	buffer_load_dword v4, off, s[0:3], s33 offset:116 ; 4-byte Folded Reload
	v_ashrrev_i32_e32 v1, 31, v2
	v_lshrrev_b32_e32 v1, 21, v1
	v_add_u32_e32 v1, v2, v1
	v_ashrrev_i32_e32 v1, 11, v1
	s_waitcnt vmcnt(0)
	v_sub_u32_e32 v20, v1, v4
	v_cmp_lt_i32_e32 vcc, 0, v20
	s_and_saveexec_b64 s[26:27], vcc
	s_cbranch_execz .LBB2_132
; %bb.129:                              ;   in Loop: Header=BB2_57 Depth=2
	buffer_load_dword v16, off, s[0:3], s33 offset:236 ; 4-byte Folded Reload
	buffer_load_dword v17, off, s[0:3], s33 offset:240 ; 4-byte Folded Reload
	s_mov_b64 s[90:91], 0
	v_lshlrev_b32_e32 v9, 11, v35
.LBB2_130:                              ;   Parent Loop BB2_47 Depth=1
                                        ;     Parent Loop BB2_57 Depth=2
                                        ; =>    This Inner Loop Header: Depth=3
	s_waitcnt vmcnt(1)
	v_add_co_u32_e32 v4, vcc, v12, v16
	s_waitcnt vmcnt(0)
	v_addc_co_u32_e32 v5, vcc, v13, v17, vcc
	global_load_dwordx4 v[39:42], v[4:5], off glc slc
	global_load_dwordx4 v[43:46], v[4:5], off offset:1024 glc slc
	v_add_co_u32_e32 v4, vcc, v14, v16
	v_addc_co_u32_e32 v5, vcc, v15, v17, vcc
	v_add_co_u32_e32 v16, vcc, v16, v9
	v_sub_u32_e32 v20, v20, v35
	v_addc_co_u32_e32 v17, vcc, 0, v17, vcc
	v_cmp_gt_i32_e32 vcc, 1, v20
	s_or_b64 s[90:91], vcc, s[90:91]
	s_waitcnt vmcnt(1)
	global_store_dwordx4 v[4:5], v[39:42], off glc slc
	s_waitcnt vmcnt(1)
	global_store_dwordx4 v[4:5], v[43:46], off offset:1024 glc slc
	s_andn2_b64 exec, exec, s[90:91]
	s_cbranch_execnz .LBB2_130
; %bb.131:                              ;   in Loop: Header=BB2_57 Depth=2
	s_or_b64 exec, exec, s[90:91]
	buffer_load_dword v43, off, s[0:3], s33 offset:148 ; 4-byte Folded Reload
	buffer_load_dword v46, off, s[0:3], s33 offset:152 ; 4-byte Folded Reload
.LBB2_132:                              ;   in Loop: Header=BB2_57 Depth=2
	s_or_b64 exec, exec, s[26:27]
	v_lshlrev_b32_e32 v1, 11, v1
	v_cmp_ne_u32_e32 vcc, v2, v1
	s_mov_b64 s[92:93], 0
	v_mov_b32_e32 v4, 0
                                        ; implicit-def: $vgpr5
                                        ; implicit-def: $vgpr9
                                        ; implicit-def: $vgpr16
	s_and_saveexec_b64 s[90:91], vcc
	s_cbranch_execz .LBB2_140
; %bb.133:                              ;   in Loop: Header=BB2_57 Depth=2
	buffer_load_dword v5, off, s[0:3], s33 offset:184 ; 4-byte Folded Reload
	v_lshlrev_b32_e32 v4, 6, v20
	v_sub_u32_e32 v9, v2, v1
	v_ashrrev_i32_e32 v20, 31, v9
	v_lshrrev_b32_e32 v20, 22, v20
	v_add_u32_e32 v20, v9, v20
	v_ashrrev_i32_e32 v21, 10, v20
	v_and_b32_e32 v20, 0xfffffc00, v20
	v_sub_u32_e32 v24, v9, v20
	v_cmp_lt_i32_e32 vcc, 15, v24
	s_waitcnt vmcnt(0)
	v_sub_u32_e32 v4, v5, v4
	v_ashrrev_i32_e32 v5, 31, v4
	v_lshrrev_b32_e32 v5, 26, v5
	v_add_u32_e32 v5, v4, v5
	v_ashrrev_i32_e32 v16, 6, v5
	v_and_b32_e32 v5, 0xffffffc0, v5
	v_sub_u32_e32 v17, v4, v5
	v_lshlrev_b32_e32 v4, 4, v17
	v_lshl_add_u32 v5, v16, 10, v4
	v_sub_u32_e32 v4, v9, v5
	v_addc_co_u32_e64 v9, s[26:27], 0, v21, vcc
	v_sub_u32_e32 v21, v9, v16
	v_cmp_lt_i32_e64 s[26:27], 15, v4
	s_and_saveexec_b64 s[92:93], s[26:27]
	s_cbranch_execz .LBB2_137
; %bb.134:                              ;   in Loop: Header=BB2_57 Depth=2
	v_add_u32_e32 v5, v5, v1
	v_ashrrev_i32_e32 v9, 31, v5
	s_mov_b64 s[94:95], 0
.LBB2_135:                              ;   Parent Loop BB2_47 Depth=1
                                        ;     Parent Loop BB2_57 Depth=2
                                        ; =>    This Inner Loop Header: Depth=3
	v_add_co_u32_e64 v30, s[26:27], v12, v5
	v_addc_co_u32_e64 v31, s[26:27], v13, v9, s[26:27]
	global_load_dwordx4 v[39:42], v[30:31], off glc slc
	v_add_co_u32_e64 v30, s[26:27], v14, v5
	v_addc_co_u32_e64 v31, s[26:27], v15, v9, s[26:27]
	v_add_co_u32_e64 v5, s[26:27], v5, v34
	v_sub_u32_e32 v4, v4, v34
	v_addc_co_u32_e64 v9, s[26:27], 0, v9, s[26:27]
	v_cmp_gt_i32_e64 s[26:27], 16, v4
	v_sub_u32_e32 v21, v21, v35
	s_or_b64 s[94:95], s[26:27], s[94:95]
	s_waitcnt vmcnt(0)
	global_store_dwordx4 v[30:31], v[39:42], off glc slc
	s_andn2_b64 exec, exec, s[94:95]
	s_cbranch_execnz .LBB2_135
; %bb.136:                              ;   in Loop: Header=BB2_57 Depth=2
	s_or_b64 exec, exec, s[94:95]
.LBB2_137:                              ;   in Loop: Header=BB2_57 Depth=2
	s_or_b64 exec, exec, s[92:93]
	v_and_b32_e32 v25, 15, v2
	v_cndmask_b32_e32 v5, v24, v25, vcc
	v_mov_b32_e32 v4, 0
	v_cmp_ne_u32_e64 s[26:27], 0, v5
	s_mov_b64 s[94:95], 0
                                        ; implicit-def: $vgpr9
                                        ; implicit-def: $vgpr16
	s_and_saveexec_b64 s[92:93], s[26:27]
	s_cbranch_execz .LBB2_139
; %bb.138:                              ;   in Loop: Header=BB2_57 Depth=2
	v_sub_u32_e32 v4, v24, v25
	v_cndmask_b32_e32 v4, 0, v4, vcc
	v_cmp_lt_i32_e32 vcc, 0, v21
	v_add3_u32 v4, v20, v1, v4
	v_cndmask_b32_e32 v1, 0, v35, vcc
	v_sub_u32_e32 v1, v1, v21
	v_lshl_add_u32 v9, v1, 6, v17
	v_ashrrev_i32_e32 v1, 31, v9
	v_lshrrev_b32_e32 v1, 26, v1
	v_add_u32_e32 v1, v9, v1
	v_ashrrev_i32_e32 v16, 6, v1
	s_mov_b64 s[94:95], exec
.LBB2_139:                              ;   in Loop: Header=BB2_57 Depth=2
	s_or_b64 exec, exec, s[92:93]
	s_and_b64 s[92:93], s[94:95], exec
.LBB2_140:                              ;   in Loop: Header=BB2_57 Depth=2
	s_or_b64 exec, exec, s[90:91]
	s_and_saveexec_b64 s[26:27], s[92:93]
	s_cbranch_execz .LBB2_149
.LBB2_141:                              ;   in Loop: Header=BB2_57 Depth=2
	v_ashrrev_i32_e32 v1, 31, v5
	v_lshrrev_b32_e32 v1, 23, v1
	v_add_u32_e32 v1, v5, v1
	v_ashrrev_i32_e32 v20, 9, v1
	s_waitcnt vmcnt(0)
	v_sub_u32_e32 v1, v20, v16
	v_ashrrev_i32_e32 v17, 31, v9
	v_cmp_lt_i32_e32 vcc, 0, v1
	v_lshrrev_b32_e32 v17, 26, v17
	s_and_saveexec_b64 s[90:91], vcc
	s_cbranch_execz .LBB2_145
; %bb.142:                              ;   in Loop: Header=BB2_57 Depth=2
	v_add_u32_e32 v21, v9, v17
	v_and_b32_e32 v21, 0xffffffc0, v21
	v_sub_u32_e32 v21, v9, v21
	v_lshlrev_b32_e32 v16, 9, v16
	v_add3_u32 v16, v4, v21, v16
	v_ashrrev_i32_e32 v21, 31, v16
	s_mov_b64 s[92:93], 0
.LBB2_143:                              ;   Parent Loop BB2_47 Depth=1
                                        ;     Parent Loop BB2_57 Depth=2
                                        ; =>    This Inner Loop Header: Depth=3
	v_add_co_u32_e32 v24, vcc, v16, v12
	v_addc_co_u32_e32 v25, vcc, v21, v13, vcc
	flat_load_ubyte v30, v[24:25] glc slc
	flat_load_ubyte v31, v[24:25] offset:64 glc slc
	flat_load_ubyte v36, v[24:25] offset:128 glc slc
	;; [unrolled: 1-line block ×7, first 2 shown]
	v_add_co_u32_e32 v24, vcc, v16, v14
	v_addc_co_u32_e32 v25, vcc, v21, v15, vcc
	v_add_co_u32_e32 v12, vcc, v12, v48
	v_addc_co_u32_e32 v13, vcc, 0, v13, vcc
	v_add_co_u32_e32 v14, vcc, v14, v48
	v_sub_u32_e32 v1, v1, v35
	v_addc_co_u32_e32 v15, vcc, 0, v15, vcc
	v_cmp_gt_i32_e32 vcc, 1, v1
	s_or_b64 s[92:93], vcc, s[92:93]
	s_waitcnt vmcnt(0) lgkmcnt(0)
	flat_store_byte v[24:25], v30 glc slc
	flat_store_byte v[24:25], v31 offset:64 glc slc
	flat_store_byte v[24:25], v36 offset:128 glc slc
	;; [unrolled: 1-line block ×7, first 2 shown]
	s_andn2_b64 exec, exec, s[92:93]
	s_cbranch_execnz .LBB2_143
; %bb.144:                              ;   in Loop: Header=BB2_57 Depth=2
	s_or_b64 exec, exec, s[92:93]
.LBB2_145:                              ;   in Loop: Header=BB2_57 Depth=2
	s_or_b64 exec, exec, s[90:91]
	v_lshlrev_b32_e32 v12, 9, v20
	v_cmp_ne_u32_e32 vcc, v5, v12
	s_and_b64 exec, exec, vcc
	s_cbranch_execz .LBB2_149
; %bb.146:                              ;   in Loop: Header=BB2_57 Depth=2
	v_add_u32_e32 v13, v9, v17
	v_and_b32_e32 v13, 0xffffffc0, v13
	v_sub_u32_e32 v9, v9, v13
	v_lshlrev_b32_e32 v1, 6, v1
	v_sub_u32_e32 v1, v9, v1
	v_add_u32_e32 v9, v12, v1
	v_sub_u32_e32 v1, v5, v9
	v_cmp_lt_i32_e32 vcc, 0, v1
	s_and_b64 exec, exec, vcc
	s_cbranch_execz .LBB2_149
; %bb.147:                              ;   in Loop: Header=BB2_57 Depth=2
	s_trap 2
	ds_read_b64 v[12:13], v0
	v_add_u32_e32 v4, v9, v4
	v_ashrrev_i32_e32 v5, 31, v4
	s_mov_b64 s[90:91], 0
.LBB2_148:                              ;   Parent Loop BB2_47 Depth=1
                                        ;     Parent Loop BB2_57 Depth=2
                                        ; =>    This Inner Loop Header: Depth=3
	s_waitcnt lgkmcnt(0)
	v_add_co_u32_e32 v14, vcc, v12, v4
	v_addc_co_u32_e32 v15, vcc, v13, v5, vcc
	flat_load_ubyte v9, v[14:15] glc slc
	v_add_co_u32_e32 v4, vcc, v4, v46
	v_sub_u32_e32 v1, v1, v46
	v_addc_co_u32_e32 v5, vcc, 0, v5, vcc
	v_cmp_gt_i32_e32 vcc, 1, v1
	s_or_b64 s[90:91], vcc, s[90:91]
	s_waitcnt vmcnt(0) lgkmcnt(0)
	flat_store_byte v[14:15], v9 glc slc
	s_andn2_b64 exec, exec, s[90:91]
	s_cbranch_execnz .LBB2_148
.LBB2_149:                              ;   in Loop: Header=BB2_57 Depth=2
	s_or_b64 exec, exec, s[26:27]
	v_cmp_lt_i32_e64 s[26:27], 0, v2
	s_and_saveexec_b64 s[90:91], s[10:11]
	s_cbranch_execz .LBB2_168
.LBB2_150:                              ;   in Loop: Header=BB2_57 Depth=2
	s_and_saveexec_b64 s[92:93], s[58:59]
	s_xor_b64 s[92:93], exec, s[92:93]
	s_cbranch_execz .LBB2_165
; %bb.151:                              ;   in Loop: Header=BB2_57 Depth=2
	s_and_saveexec_b64 s[94:95], s[16:17]
	s_cbranch_execz .LBB2_164
; %bb.152:                              ;   in Loop: Header=BB2_57 Depth=2
	s_mov_b64 s[34:35], exec
	v_mbcnt_lo_u32_b32 v1, s34, 0
	v_mbcnt_hi_u32_b32 v1, s35, v1
	v_cmp_eq_u32_e32 vcc, 0, v1
	s_waitcnt vmcnt(0) lgkmcnt(0)
	buffer_wbinvl1_vol
	s_and_saveexec_b64 s[30:31], vcc
	s_cbranch_execz .LBB2_154
; %bb.153:                              ;   in Loop: Header=BB2_57 Depth=2
	s_bcnt1_i32_b64 s9, s[34:35]
	v_mov_b32_e32 v2, s9
	ds_add_u64 v0, v[2:3]
	s_trap 2
.LBB2_154:                              ;   in Loop: Header=BB2_57 Depth=2
	s_or_b64 exec, exec, s[30:31]
	s_trap 2
	ds_read_b64 v[1:2], v0
	s_waitcnt lgkmcnt(0)
	v_add_co_u32_e32 v28, vcc, v28, v35
	v_addc_co_u32_e32 v29, vcc, 0, v29, vcc
	v_cmp_lt_u64_e32 vcc, v[1:2], v[28:29]
	s_and_saveexec_b64 s[30:31], vcc
	s_cbranch_execz .LBB2_163
; %bb.155:                              ;   in Loop: Header=BB2_57 Depth=2
	s_mov_b32 s9, 0
	s_mov_b64 s[34:35], 0
                                        ; implicit-def: $sgpr36_sgpr37
                                        ; implicit-def: $sgpr38_sgpr39
	s_branch .LBB2_157
.LBB2_156:                              ;   in Loop: Header=BB2_157 Depth=3
	s_or_b64 exec, exec, s[50:51]
	s_and_b64 vcc, exec, vcc
	s_or_b64 s[34:35], vcc, s[34:35]
	s_andn2_b64 vcc, s[36:37], exec
	s_and_b64 s[36:37], s[38:39], exec
	s_or_b64 s[36:37], vcc, s[36:37]
	s_andn2_b64 exec, exec, s[34:35]
	s_cbranch_execz .LBB2_161
.LBB2_157:                              ;   Parent Loop BB2_47 Depth=1
                                        ;     Parent Loop BB2_57 Depth=2
                                        ; =>    This Inner Loop Header: Depth=3
	s_add_i32 s9, s9, 1
	s_cmpk_lg_i32 s9, 0x2710
	s_cselect_b64 s[48:49], -1, 0
	s_and_b64 vcc, exec, s[48:49]
	s_cbranch_vccz .LBB2_159
; %bb.158:                              ;   in Loop: Header=BB2_157 Depth=3
	s_mov_b64 vcc, -1
	s_or_b64 s[38:39], s[38:39], exec
	s_and_saveexec_b64 s[50:51], s[48:49]
	s_cbranch_execz .LBB2_156
	s_branch .LBB2_160
.LBB2_159:                              ;   in Loop: Header=BB2_157 Depth=3
	s_trap 2
	ds_read_b64 v[1:2], v0
	s_andn2_b64 s[48:49], s[48:49], exec
	s_mov_b32 s9, 0
	s_waitcnt lgkmcnt(0)
	flat_load_dword v1, v[1:2] glc
	s_waitcnt vmcnt(0) lgkmcnt(0)
	buffer_wbinvl1_vol
	v_cmp_eq_u32_e32 vcc, 0, v1
	s_and_b64 vcc, vcc, exec
	s_or_b64 s[48:49], s[48:49], vcc
	s_mov_b64 vcc, -1
	s_or_b64 s[38:39], s[38:39], exec
	s_and_saveexec_b64 s[50:51], s[48:49]
	s_cbranch_execz .LBB2_156
.LBB2_160:                              ;   in Loop: Header=BB2_157 Depth=3
	s_sleep 1
	s_trap 2
	ds_read_b64 v[1:2], v0
	s_waitcnt lgkmcnt(0)
	s_andn2_b64 s[38:39], s[38:39], exec
	v_cmp_ge_u64_e32 vcc, v[1:2], v[28:29]
	s_orn2_b64 vcc, vcc, exec
	s_branch .LBB2_156
.LBB2_161:                              ;   in Loop: Header=BB2_57 Depth=2
	s_or_b64 exec, exec, s[34:35]
	s_and_saveexec_b64 vcc, s[36:37]
	s_xor_b64 vcc, exec, vcc
	s_cbranch_execz .LBB2_163
; %bb.162:                              ;   in Loop: Header=BB2_57 Depth=2
	v_mov_b32_e32 v1, 1
	ds_write_b32 v0, v1
	s_trap 2
.LBB2_163:                              ;   in Loop: Header=BB2_57 Depth=2
	s_or_b64 exec, exec, s[30:31]
	;;#ASMSTART
	s_wakeup
	;;#ASMEND
.LBB2_164:                              ;   in Loop: Header=BB2_57 Depth=2
	s_or_b64 exec, exec, s[94:95]
.LBB2_165:                              ;   in Loop: Header=BB2_57 Depth=2
	s_andn2_saveexec_b64 s[92:93], s[92:93]
	s_cbranch_execz .LBB2_167
; %bb.166:                              ;   in Loop: Header=BB2_57 Depth=2
	s_waitcnt vmcnt(0) lgkmcnt(0)
	buffer_wbinvl1_vol
	s_barrier
.LBB2_167:                              ;   in Loop: Header=BB2_57 Depth=2
	s_or_b64 exec, exec, s[92:93]
.LBB2_168:                              ;   in Loop: Header=BB2_57 Depth=2
	s_or_b64 exec, exec, s[90:91]
	v_and_b32_e32 v4, 16, v38
	s_and_saveexec_b64 s[90:91], s[24:25]
	s_xor_b64 s[90:91], exec, s[90:91]
	s_cbranch_execz .LBB2_173
; %bb.169:                              ;   in Loop: Header=BB2_57 Depth=2
	v_and_b32_e32 v1, 16, v38
	v_cmp_ne_u32_e32 vcc, 0, v1
	v_and_b32_e32 v4, 16, v38
	s_and_b64 s[92:93], vcc, s[26:27]
	s_and_saveexec_b64 s[26:27], s[92:93]
	s_cbranch_execz .LBB2_171
; %bb.170:                              ;   in Loop: Header=BB2_57 Depth=2
	v_mov_b32_e32 v4, 1
	s_waitcnt vmcnt(0) lgkmcnt(0)
	buffer_wbinvl1_vol
.LBB2_171:                              ;   in Loop: Header=BB2_57 Depth=2
	s_or_b64 exec, exec, s[26:27]
	s_andn2_saveexec_b64 s[26:27], s[90:91]
	s_cbranch_execnz .LBB2_174
.LBB2_172:                              ;   in Loop: Header=BB2_57 Depth=2
	s_or_b64 exec, exec, s[26:27]
	v_cmp_ne_u32_e32 vcc, 0, v4
	s_and_saveexec_b64 s[26:27], vcc
	s_cbranch_execz .LBB2_56
	s_branch .LBB2_192
.LBB2_173:                              ;   in Loop: Header=BB2_57 Depth=2
	s_andn2_saveexec_b64 s[26:27], s[90:91]
	s_cbranch_execz .LBB2_172
.LBB2_174:                              ;   in Loop: Header=BB2_57 Depth=2
	s_and_saveexec_b64 s[90:91], s[58:59]
	s_xor_b64 s[90:91], exec, s[90:91]
	s_cbranch_execz .LBB2_189
; %bb.175:                              ;   in Loop: Header=BB2_57 Depth=2
	s_and_saveexec_b64 s[92:93], s[16:17]
	s_cbranch_execz .LBB2_188
; %bb.176:                              ;   in Loop: Header=BB2_57 Depth=2
	s_mov_b64 s[30:31], exec
	v_mbcnt_lo_u32_b32 v1, s30, 0
	v_mbcnt_hi_u32_b32 v1, s31, v1
	v_cmp_eq_u32_e32 vcc, 0, v1
	;;#ASMSTART
	s_waitcnt lgkmcnt(0) vmcnt(0)
	;;#ASMEND
	s_and_saveexec_b64 s[94:95], vcc
	s_cbranch_execz .LBB2_178
; %bb.177:                              ;   in Loop: Header=BB2_57 Depth=2
	s_bcnt1_i32_b64 s9, s[30:31]
	v_mov_b32_e32 v2, s9
	s_waitcnt lgkmcnt(0)
	ds_add_u64 v0, v[2:3]
	s_trap 2
.LBB2_178:                              ;   in Loop: Header=BB2_57 Depth=2
	s_or_b64 exec, exec, s[94:95]
	s_trap 2
	ds_read_b64 v[1:2], v0
	s_waitcnt lgkmcnt(0)
	v_add_co_u32_e32 v28, vcc, v28, v35
	v_addc_co_u32_e32 v29, vcc, 0, v29, vcc
	v_cmp_lt_u64_e32 vcc, v[1:2], v[28:29]
	s_and_saveexec_b64 s[94:95], vcc
	s_cbranch_execz .LBB2_187
; %bb.179:                              ;   in Loop: Header=BB2_57 Depth=2
	s_mov_b32 s9, 0
	s_mov_b64 s[30:31], 0
                                        ; implicit-def: $sgpr34_sgpr35
                                        ; implicit-def: $sgpr36_sgpr37
	s_branch .LBB2_181
.LBB2_180:                              ;   in Loop: Header=BB2_181 Depth=3
	s_or_b64 exec, exec, s[48:49]
	s_and_b64 vcc, exec, vcc
	s_or_b64 s[30:31], vcc, s[30:31]
	s_andn2_b64 vcc, s[34:35], exec
	s_and_b64 s[34:35], s[36:37], exec
	s_or_b64 s[34:35], vcc, s[34:35]
	s_andn2_b64 exec, exec, s[30:31]
	s_cbranch_execz .LBB2_185
.LBB2_181:                              ;   Parent Loop BB2_47 Depth=1
                                        ;     Parent Loop BB2_57 Depth=2
                                        ; =>    This Inner Loop Header: Depth=3
	s_add_i32 s9, s9, 1
	s_cmpk_lg_i32 s9, 0x2710
	s_cselect_b64 s[38:39], -1, 0
	s_and_b64 vcc, exec, s[38:39]
	s_cbranch_vccz .LBB2_183
; %bb.182:                              ;   in Loop: Header=BB2_181 Depth=3
	s_mov_b64 vcc, -1
	s_or_b64 s[36:37], s[36:37], exec
	s_and_saveexec_b64 s[48:49], s[38:39]
	s_cbranch_execz .LBB2_180
	s_branch .LBB2_184
.LBB2_183:                              ;   in Loop: Header=BB2_181 Depth=3
	s_trap 2
	ds_read_b64 v[1:2], v0
	s_andn2_b64 s[38:39], s[38:39], exec
	s_mov_b32 s9, 0
	s_waitcnt vmcnt(0) lgkmcnt(0)
	flat_load_dword v1, v[1:2] glc
	s_waitcnt vmcnt(0) lgkmcnt(0)
	buffer_wbinvl1_vol
	v_cmp_eq_u32_e32 vcc, 0, v1
	s_and_b64 vcc, vcc, exec
	s_or_b64 s[38:39], s[38:39], vcc
	s_mov_b64 vcc, -1
	s_or_b64 s[36:37], s[36:37], exec
	s_and_saveexec_b64 s[48:49], s[38:39]
	s_cbranch_execz .LBB2_180
.LBB2_184:                              ;   in Loop: Header=BB2_181 Depth=3
	s_sleep 1
	s_trap 2
	ds_read_b64 v[1:2], v0
	s_waitcnt lgkmcnt(0)
	s_andn2_b64 s[36:37], s[36:37], exec
	v_cmp_ge_u64_e32 vcc, v[1:2], v[28:29]
	s_orn2_b64 vcc, vcc, exec
	s_branch .LBB2_180
.LBB2_185:                              ;   in Loop: Header=BB2_57 Depth=2
	s_or_b64 exec, exec, s[30:31]
	s_and_saveexec_b64 vcc, s[34:35]
	s_xor_b64 vcc, exec, vcc
	s_cbranch_execz .LBB2_187
; %bb.186:                              ;   in Loop: Header=BB2_57 Depth=2
	v_mov_b32_e32 v1, 1
	ds_write_b32 v0, v1
	s_trap 2
.LBB2_187:                              ;   in Loop: Header=BB2_57 Depth=2
	s_or_b64 exec, exec, s[94:95]
	;;#ASMSTART
	s_wakeup
	;;#ASMEND
.LBB2_188:                              ;   in Loop: Header=BB2_57 Depth=2
	s_or_b64 exec, exec, s[92:93]
.LBB2_189:                              ;   in Loop: Header=BB2_57 Depth=2
	s_andn2_saveexec_b64 s[90:91], s[90:91]
	s_cbranch_execz .LBB2_191
; %bb.190:                              ;   in Loop: Header=BB2_57 Depth=2
	;;#ASMSTART
	s_waitcnt lgkmcnt(0) vmcnt(0)
	;;#ASMEND
	s_waitcnt vmcnt(0) lgkmcnt(0)
	s_barrier
.LBB2_191:                              ;   in Loop: Header=BB2_57 Depth=2
	s_or_b64 exec, exec, s[90:91]
	s_or_b64 exec, exec, s[26:27]
	v_cmp_ne_u32_e32 vcc, 0, v4
	s_and_saveexec_b64 s[26:27], vcc
	s_cbranch_execz .LBB2_56
.LBB2_192:                              ;   in Loop: Header=BB2_57 Depth=2
	s_and_saveexec_b64 s[90:91], s[14:15]
	s_cbranch_execz .LBB2_55
; %bb.193:                              ;   in Loop: Header=BB2_57 Depth=2
	buffer_load_dword v1, off, s[0:3], s33 offset:92 ; 4-byte Folded Reload
	buffer_load_dword v2, off, s[0:3], s33 offset:96 ; 4-byte Folded Reload
	v_mov_b32_e32 v4, 1
	s_waitcnt vmcnt(0)
	flat_store_dword v[1:2], v4
	s_branch .LBB2_55
.LBB2_194:                              ;   in Loop: Header=BB2_47 Depth=1
	s_or_b64 exec, exec, s[40:41]
.LBB2_195:                              ;   in Loop: Header=BB2_47 Depth=1
	s_or_b64 exec, exec, s[28:29]
	v_cmp_gt_i32_e32 vcc, 2, v1
	s_and_saveexec_b64 s[28:29], vcc
	s_cbranch_execz .LBB2_267
; %bb.196:                              ;   in Loop: Header=BB2_47 Depth=1
	v_cmp_eq_u32_e64 s[42:43], 0, v1
	s_mov_b64 s[40:41], 0
	s_branch .LBB2_199
.LBB2_197:                              ;   in Loop: Header=BB2_199 Depth=2
	s_or_b64 exec, exec, s[42:43]
	v_add_co_u32_e32 v50, vcc, 2, v50
	v_addc_co_u32_e32 v51, vcc, 0, v51, vcc
	flat_store_dwordx2 v[22:23], v[50:51]
.LBB2_198:                              ;   in Loop: Header=BB2_199 Depth=2
	s_or_b64 exec, exec, s[26:27]
	v_add_u32_e32 v19, v8, v19
	s_mov_b64 s[42:43], 0
	s_andn2_b64 exec, exec, s[40:41]
	s_cbranch_execz .LBB2_266
.LBB2_199:                              ;   Parent Loop BB2_47 Depth=1
                                        ; =>  This Loop Header: Depth=2
                                        ;       Child Loop BB2_205 Depth 3
                                        ;       Child Loop BB2_229 Depth 3
	;; [unrolled: 1-line block ×3, first 2 shown]
	v_sub_u32_e32 v1, v18, v19
	v_min_i32_e32 v8, v8, v1
	v_and_b32_e32 v1, 8, v38
	v_cmp_ne_u32_e32 vcc, 0, v1
	s_and_saveexec_b64 s[90:91], vcc
	s_cbranch_execz .LBB2_221
; %bb.200:                              ;   in Loop: Header=BB2_199 Depth=2
	s_waitcnt lgkmcnt(0)
	v_add_co_u32_e32 v1, vcc, 8, v32
	v_addc_co_u32_e32 v2, vcc, 0, v33, vcc
	v_add_co_u32_e32 v10, vcc, 2, v50
	v_addc_co_u32_e32 v11, vcc, 0, v51, vcc
	v_cmp_lt_u64_e32 vcc, v[1:2], v[10:11]
	s_and_saveexec_b64 s[92:93], vcc
	s_cbranch_execz .LBB2_212
; %bb.201:                              ;   in Loop: Header=BB2_199 Depth=2
	v_and_b32_e32 v1, 64, v38
	s_mov_b32 s8, 0
	v_cmp_eq_u32_e32 vcc, 0, v1
	s_mov_b64 s[94:95], 0
                                        ; implicit-def: $sgpr30_sgpr31
                                        ; implicit-def: $sgpr34_sgpr35
                                        ; implicit-def: $sgpr36_sgpr37
	s_branch .LBB2_205
.LBB2_202:                              ;   in Loop: Header=BB2_205 Depth=3
	s_waitcnt vmcnt(0) lgkmcnt(0)
	v_add_co_u32_e64 v4, s[26:27], 8, v32
	v_addc_co_u32_e64 v5, s[26:27], 0, v33, s[26:27]
	v_cmp_ge_u64_e64 s[26:27], v[4:5], v[10:11]
	s_or_b64 s[50:51], s[50:51], exec
	s_orn2_b64 s[48:49], s[26:27], exec
.LBB2_203:                              ;   in Loop: Header=BB2_205 Depth=3
	s_or_b64 exec, exec, s[54:55]
	s_andn2_b64 s[26:27], s[36:37], exec
	s_and_b64 s[36:37], s[50:51], exec
	s_or_b64 s[36:37], s[26:27], s[36:37]
	s_andn2_b64 s[26:27], s[34:35], exec
	s_and_b64 s[34:35], s[48:49], exec
	s_or_b64 s[34:35], s[26:27], s[34:35]
.LBB2_204:                              ;   in Loop: Header=BB2_205 Depth=3
	s_or_b64 exec, exec, s[38:39]
	s_and_b64 s[26:27], exec, s[34:35]
	s_or_b64 s[94:95], s[26:27], s[94:95]
	s_andn2_b64 s[26:27], s[30:31], exec
	s_and_b64 s[30:31], s[36:37], exec
	s_or_b64 s[30:31], s[26:27], s[30:31]
	s_andn2_b64 exec, exec, s[94:95]
	s_cbranch_execz .LBB2_209
.LBB2_205:                              ;   Parent Loop BB2_47 Depth=1
                                        ;     Parent Loop BB2_199 Depth=2
                                        ; =>    This Inner Loop Header: Depth=3
	s_sleep 1
	s_waitcnt vmcnt(0) lgkmcnt(0)
	flat_load_dwordx2 v[32:33], v[22:23] glc
	s_or_b64 s[36:37], s[36:37], exec
	s_or_b64 s[34:35], s[34:35], exec
                                        ; implicit-def: $vgpr1
	s_and_saveexec_b64 s[38:39], vcc
	s_cbranch_execz .LBB2_204
; %bb.206:                              ;   in Loop: Header=BB2_205 Depth=3
	s_cmpk_lt_i32 s8, 0x270f
	s_cselect_b64 s[52:53], -1, 0
	s_cmpk_gt_i32 s8, 0x270e
	s_mov_b64 s[48:49], -1
	s_cbranch_scc0 .LBB2_208
; %bb.207:                              ;   in Loop: Header=BB2_205 Depth=3
	s_trap 2
	ds_read_b64 v[1:2], v0
	s_andn2_b64 s[52:53], s[52:53], exec
	s_mov_b32 s8, 0
	s_mov_b64 s[50:51], 0
	s_waitcnt vmcnt(0) lgkmcnt(0)
	flat_load_dword v1, v[1:2] glc
	s_waitcnt vmcnt(0) lgkmcnt(0)
	buffer_wbinvl1_vol
	v_cmp_eq_u32_e64 s[26:27], 0, v1
	s_and_b64 s[26:27], s[26:27], exec
	s_or_b64 s[52:53], s[52:53], s[26:27]
	s_and_saveexec_b64 s[54:55], s[52:53]
	s_cbranch_execz .LBB2_203
	s_branch .LBB2_202
.LBB2_208:                              ;   in Loop: Header=BB2_205 Depth=3
	s_add_i32 s8, s8, 1
	s_mov_b64 s[50:51], -1
                                        ; implicit-def: $vgpr1
	s_and_saveexec_b64 s[54:55], s[52:53]
	s_cbranch_execz .LBB2_203
	s_branch .LBB2_202
.LBB2_209:                              ;   in Loop: Header=BB2_199 Depth=2
	s_or_b64 exec, exec, s[94:95]
	s_xor_b64 s[8:9], s[30:31], -1
	s_and_saveexec_b64 s[26:27], s[8:9]
	s_xor_b64 s[26:27], exec, s[26:27]
	s_cbranch_execz .LBB2_211
; %bb.210:                              ;   in Loop: Header=BB2_199 Depth=2
	v_or_b32_e32 v38, 64, v38
	s_waitcnt lgkmcnt(0)
	ds_write_b32 v0, v1
	s_trap 2
.LBB2_211:                              ;   in Loop: Header=BB2_199 Depth=2
	s_or_b64 exec, exec, s[26:27]
.LBB2_212:                              ;   in Loop: Header=BB2_199 Depth=2
	s_or_b64 exec, exec, s[92:93]
	v_and_b32_e32 v1, 0x100, v38
	v_cmp_ne_u32_e32 vcc, 0, v1
	v_and_b32_e32 v1, 7, v50
	s_mov_b64 s[26:27], -1
	;;#ASMSTART
	s_wakeup
	;;#ASMEND
                                        ; implicit-def: $vgpr12_vgpr13
	s_and_saveexec_b64 s[92:93], vcc
	s_cbranch_execz .LBB2_216
; %bb.213:                              ;   in Loop: Header=BB2_199 Depth=2
	buffer_load_dword v12, off, s[0:3], s33 offset:76 ; 4-byte Folded Reload
	buffer_load_dword v13, off, s[0:3], s33 offset:80 ; 4-byte Folded Reload
	;; [unrolled: 1-line block ×4, first 2 shown]
	v_ashrrev_i32_e32 v9, 31, v8
	s_waitcnt vmcnt(0)
	v_mad_u64_u32 v[4:5], s[8:9], v1, 24, v[12:13]
                                        ; implicit-def: $vgpr12_vgpr13
	flat_load_dword v2, v[4:5]
	s_nop 0
	flat_store_dwordx2 v[4:5], v[8:9] offset:8
	s_waitcnt vmcnt(0) lgkmcnt(0)
	v_cmp_ne_u32_e32 vcc, 1, v2
	v_cmp_eq_u32_e64 s[26:27], 1, v2
	s_and_saveexec_b64 s[94:95], s[26:27]
	s_cbranch_execz .LBB2_215
; %bb.214:                              ;   in Loop: Header=BB2_199 Depth=2
	flat_load_dword v12, v[4:5] offset:4 glc
	s_waitcnt vmcnt(0) lgkmcnt(0)
	v_ashrrev_i32_e32 v13, 31, v12
.LBB2_215:                              ;   in Loop: Header=BB2_199 Depth=2
	s_or_b64 exec, exec, s[94:95]
	s_orn2_b64 s[26:27], vcc, exec
.LBB2_216:                              ;   in Loop: Header=BB2_199 Depth=2
	s_or_b64 exec, exec, s[92:93]
	s_and_saveexec_b64 s[92:93], s[26:27]
; %bb.217:                              ;   in Loop: Header=BB2_199 Depth=2
	v_mad_i64_i32 v[12:13], s[8:9], v1, v56, 0
; %bb.218:                              ;   in Loop: Header=BB2_199 Depth=2
	s_or_b64 exec, exec, s[92:93]
	buffer_load_dword v1, off, s[0:3], s33 offset:68 ; 4-byte Folded Reload
	buffer_load_dword v2, off, s[0:3], s33 offset:72 ; 4-byte Folded Reload
	s_waitcnt vmcnt(0)
	v_add_co_u32_e32 v1, vcc, v1, v12
	v_addc_co_u32_e32 v2, vcc, v2, v13, vcc
	ds_write_b64 v0, v[1:2] offset:784
	v_and_b32_e32 v1, 0x2000, v38
	v_cmp_ne_u32_e32 vcc, 0, v1
	s_and_saveexec_b64 s[26:27], vcc
	s_cbranch_execz .LBB2_220
; %bb.219:                              ;   in Loop: Header=BB2_199 Depth=2
	ds_read_b64 v[1:2], v0 offset:872
	s_waitcnt lgkmcnt(0)
	v_add_co_u32_e32 v1, vcc, 1, v1
	v_addc_co_u32_e32 v2, vcc, 0, v2, vcc
	ds_write_b64 v0, v[1:2] offset:872
.LBB2_220:                              ;   in Loop: Header=BB2_199 Depth=2
	s_or_b64 exec, exec, s[26:27]
	v_mov_b32_e32 v51, v11
	v_mov_b32_e32 v50, v10
.LBB2_221:                              ;   in Loop: Header=BB2_199 Depth=2
	s_or_b64 exec, exec, s[90:91]
	s_xor_b64 s[8:9], s[42:43], -1
	s_and_b64 s[8:9], exec, s[8:9]
	s_or_b64 s[40:41], s[8:9], s[40:41]
	s_and_saveexec_b64 s[26:27], s[10:11]
	s_cbranch_execz .LBB2_240
; %bb.222:                              ;   in Loop: Header=BB2_199 Depth=2
	s_and_saveexec_b64 s[8:9], s[58:59]
	s_xor_b64 s[42:43], exec, s[8:9]
	s_cbranch_execz .LBB2_237
; %bb.223:                              ;   in Loop: Header=BB2_199 Depth=2
	s_and_saveexec_b64 s[90:91], s[16:17]
	s_cbranch_execz .LBB2_236
; %bb.224:                              ;   in Loop: Header=BB2_199 Depth=2
	s_mov_b64 s[94:95], exec
	v_mbcnt_lo_u32_b32 v1, s94, 0
	v_mbcnt_hi_u32_b32 v1, s95, v1
	v_cmp_eq_u32_e32 vcc, 0, v1
	s_waitcnt vmcnt(0) lgkmcnt(0)
	buffer_wbinvl1_vol
	s_and_saveexec_b64 s[92:93], vcc
	s_cbranch_execz .LBB2_226
; %bb.225:                              ;   in Loop: Header=BB2_199 Depth=2
	s_bcnt1_i32_b64 s8, s[94:95]
	v_mov_b32_e32 v2, s8
	ds_add_u64 v0, v[2:3]
	s_trap 2
.LBB2_226:                              ;   in Loop: Header=BB2_199 Depth=2
	s_or_b64 exec, exec, s[92:93]
	s_trap 2
	ds_read_b64 v[1:2], v0
	s_waitcnt lgkmcnt(0)
	v_add_co_u32_e32 v28, vcc, v28, v35
	v_addc_co_u32_e32 v29, vcc, 0, v29, vcc
	v_cmp_lt_u64_e32 vcc, v[1:2], v[28:29]
	s_and_saveexec_b64 s[92:93], vcc
	s_cbranch_execz .LBB2_235
; %bb.227:                              ;   in Loop: Header=BB2_199 Depth=2
	s_mov_b32 s8, 0
	s_mov_b64 s[94:95], 0
                                        ; implicit-def: $sgpr30_sgpr31
                                        ; implicit-def: $sgpr34_sgpr35
	s_branch .LBB2_229
.LBB2_228:                              ;   in Loop: Header=BB2_229 Depth=3
	s_or_b64 exec, exec, s[38:39]
	s_and_b64 vcc, exec, vcc
	s_or_b64 s[94:95], vcc, s[94:95]
	s_andn2_b64 vcc, s[30:31], exec
	s_and_b64 s[30:31], s[34:35], exec
	s_or_b64 s[30:31], vcc, s[30:31]
	s_andn2_b64 exec, exec, s[94:95]
	s_cbranch_execz .LBB2_233
.LBB2_229:                              ;   Parent Loop BB2_47 Depth=1
                                        ;     Parent Loop BB2_199 Depth=2
                                        ; =>    This Inner Loop Header: Depth=3
	s_add_i32 s8, s8, 1
	s_cmpk_lg_i32 s8, 0x2710
	s_cselect_b64 s[36:37], -1, 0
	s_and_b64 vcc, exec, s[36:37]
	s_cbranch_vccz .LBB2_231
; %bb.230:                              ;   in Loop: Header=BB2_229 Depth=3
	s_mov_b64 vcc, -1
	s_or_b64 s[34:35], s[34:35], exec
	s_and_saveexec_b64 s[38:39], s[36:37]
	s_cbranch_execz .LBB2_228
	s_branch .LBB2_232
.LBB2_231:                              ;   in Loop: Header=BB2_229 Depth=3
	s_trap 2
	ds_read_b64 v[1:2], v0
	s_andn2_b64 s[36:37], s[36:37], exec
	s_mov_b32 s8, 0
	s_waitcnt lgkmcnt(0)
	flat_load_dword v1, v[1:2] glc
	s_waitcnt vmcnt(0) lgkmcnt(0)
	buffer_wbinvl1_vol
	v_cmp_eq_u32_e32 vcc, 0, v1
	s_and_b64 vcc, vcc, exec
	s_or_b64 s[36:37], s[36:37], vcc
	s_mov_b64 vcc, -1
	s_or_b64 s[34:35], s[34:35], exec
	s_and_saveexec_b64 s[38:39], s[36:37]
	s_cbranch_execz .LBB2_228
.LBB2_232:                              ;   in Loop: Header=BB2_229 Depth=3
	s_sleep 1
	s_trap 2
	ds_read_b64 v[1:2], v0
	s_waitcnt lgkmcnt(0)
	s_andn2_b64 s[34:35], s[34:35], exec
	v_cmp_ge_u64_e32 vcc, v[1:2], v[28:29]
	s_orn2_b64 vcc, vcc, exec
	s_branch .LBB2_228
.LBB2_233:                              ;   in Loop: Header=BB2_199 Depth=2
	s_or_b64 exec, exec, s[94:95]
	s_and_saveexec_b64 s[8:9], s[30:31]
	s_xor_b64 s[8:9], exec, s[8:9]
	s_cbranch_execz .LBB2_235
; %bb.234:                              ;   in Loop: Header=BB2_199 Depth=2
	v_mov_b32_e32 v1, 1
	ds_write_b32 v0, v1
	s_trap 2
.LBB2_235:                              ;   in Loop: Header=BB2_199 Depth=2
	s_or_b64 exec, exec, s[92:93]
	;;#ASMSTART
	s_wakeup
	;;#ASMEND
.LBB2_236:                              ;   in Loop: Header=BB2_199 Depth=2
	s_or_b64 exec, exec, s[90:91]
.LBB2_237:                              ;   in Loop: Header=BB2_199 Depth=2
	s_andn2_saveexec_b64 s[42:43], s[42:43]
	s_cbranch_execz .LBB2_239
; %bb.238:                              ;   in Loop: Header=BB2_199 Depth=2
	s_waitcnt vmcnt(0) lgkmcnt(0)
	buffer_wbinvl1_vol
	s_barrier
.LBB2_239:                              ;   in Loop: Header=BB2_199 Depth=2
	s_or_b64 exec, exec, s[42:43]
.LBB2_240:                              ;   in Loop: Header=BB2_199 Depth=2
	s_or_b64 exec, exec, s[26:27]
	v_and_b32_e32 v4, 16, v38
	s_and_saveexec_b64 s[8:9], s[24:25]
	s_xor_b64 s[26:27], exec, s[8:9]
	s_cbranch_execz .LBB2_245
; %bb.241:                              ;   in Loop: Header=BB2_199 Depth=2
	s_trap 2
	ds_read_b32 v1, v0
	v_cmp_lt_i32_e32 vcc, 0, v8
	v_and_b32_e32 v4, 16, v38
	s_waitcnt lgkmcnt(0)
	v_readfirstlane_b32 s8, v1
	s_cmp_eq_u32 s8, 0
	s_cselect_b64 s[8:9], -1, 0
	v_and_b32_e32 v1, 16, v38
	s_and_b64 s[8:9], vcc, s[8:9]
	v_cmp_ne_u32_e32 vcc, 0, v1
	s_and_b64 s[8:9], vcc, s[8:9]
	s_and_saveexec_b64 s[42:43], s[8:9]
	s_cbranch_execz .LBB2_243
; %bb.242:                              ;   in Loop: Header=BB2_199 Depth=2
	v_mov_b32_e32 v4, 1
	s_waitcnt vmcnt(0)
	buffer_wbinvl1_vol
.LBB2_243:                              ;   in Loop: Header=BB2_199 Depth=2
	s_or_b64 exec, exec, s[42:43]
	s_andn2_saveexec_b64 s[26:27], s[26:27]
	s_cbranch_execnz .LBB2_246
.LBB2_244:                              ;   in Loop: Header=BB2_199 Depth=2
	s_or_b64 exec, exec, s[26:27]
	v_cmp_ne_u32_e32 vcc, 0, v4
	s_and_saveexec_b64 s[26:27], vcc
	s_cbranch_execz .LBB2_198
	s_branch .LBB2_264
.LBB2_245:                              ;   in Loop: Header=BB2_199 Depth=2
	s_andn2_saveexec_b64 s[26:27], s[26:27]
	s_cbranch_execz .LBB2_244
.LBB2_246:                              ;   in Loop: Header=BB2_199 Depth=2
	s_and_saveexec_b64 s[8:9], s[58:59]
	s_xor_b64 s[42:43], exec, s[8:9]
	s_cbranch_execz .LBB2_261
; %bb.247:                              ;   in Loop: Header=BB2_199 Depth=2
	s_and_saveexec_b64 s[90:91], s[16:17]
	s_cbranch_execz .LBB2_260
; %bb.248:                              ;   in Loop: Header=BB2_199 Depth=2
	s_mov_b64 s[94:95], exec
	v_mbcnt_lo_u32_b32 v1, s94, 0
	v_mbcnt_hi_u32_b32 v1, s95, v1
	v_cmp_eq_u32_e32 vcc, 0, v1
	;;#ASMSTART
	s_waitcnt lgkmcnt(0) vmcnt(0)
	;;#ASMEND
	s_and_saveexec_b64 s[92:93], vcc
	s_cbranch_execz .LBB2_250
; %bb.249:                              ;   in Loop: Header=BB2_199 Depth=2
	s_bcnt1_i32_b64 s8, s[94:95]
	v_mov_b32_e32 v2, s8
	s_waitcnt lgkmcnt(0)
	ds_add_u64 v0, v[2:3]
	s_trap 2
.LBB2_250:                              ;   in Loop: Header=BB2_199 Depth=2
	s_or_b64 exec, exec, s[92:93]
	s_trap 2
	ds_read_b64 v[1:2], v0
	s_waitcnt lgkmcnt(0)
	v_add_co_u32_e32 v28, vcc, v28, v35
	v_addc_co_u32_e32 v29, vcc, 0, v29, vcc
	v_cmp_lt_u64_e32 vcc, v[1:2], v[28:29]
	s_and_saveexec_b64 s[92:93], vcc
	s_cbranch_execz .LBB2_259
; %bb.251:                              ;   in Loop: Header=BB2_199 Depth=2
	s_mov_b32 s8, 0
	s_mov_b64 s[94:95], 0
                                        ; implicit-def: $sgpr30_sgpr31
                                        ; implicit-def: $sgpr34_sgpr35
	s_branch .LBB2_253
.LBB2_252:                              ;   in Loop: Header=BB2_253 Depth=3
	s_or_b64 exec, exec, s[38:39]
	s_and_b64 vcc, exec, vcc
	s_or_b64 s[94:95], vcc, s[94:95]
	s_andn2_b64 vcc, s[30:31], exec
	s_and_b64 s[30:31], s[34:35], exec
	s_or_b64 s[30:31], vcc, s[30:31]
	s_andn2_b64 exec, exec, s[94:95]
	s_cbranch_execz .LBB2_257
.LBB2_253:                              ;   Parent Loop BB2_47 Depth=1
                                        ;     Parent Loop BB2_199 Depth=2
                                        ; =>    This Inner Loop Header: Depth=3
	s_add_i32 s8, s8, 1
	s_cmpk_lg_i32 s8, 0x2710
	s_cselect_b64 s[36:37], -1, 0
	s_and_b64 vcc, exec, s[36:37]
	s_cbranch_vccz .LBB2_255
; %bb.254:                              ;   in Loop: Header=BB2_253 Depth=3
	s_mov_b64 vcc, -1
	s_or_b64 s[34:35], s[34:35], exec
	s_and_saveexec_b64 s[38:39], s[36:37]
	s_cbranch_execz .LBB2_252
	s_branch .LBB2_256
.LBB2_255:                              ;   in Loop: Header=BB2_253 Depth=3
	s_trap 2
	ds_read_b64 v[1:2], v0
	s_andn2_b64 s[36:37], s[36:37], exec
	s_mov_b32 s8, 0
	s_waitcnt vmcnt(0) lgkmcnt(0)
	flat_load_dword v1, v[1:2] glc
	s_waitcnt vmcnt(0) lgkmcnt(0)
	buffer_wbinvl1_vol
	v_cmp_eq_u32_e32 vcc, 0, v1
	s_and_b64 vcc, vcc, exec
	s_or_b64 s[36:37], s[36:37], vcc
	s_mov_b64 vcc, -1
	s_or_b64 s[34:35], s[34:35], exec
	s_and_saveexec_b64 s[38:39], s[36:37]
	s_cbranch_execz .LBB2_252
.LBB2_256:                              ;   in Loop: Header=BB2_253 Depth=3
	s_sleep 1
	s_trap 2
	ds_read_b64 v[1:2], v0
	s_waitcnt lgkmcnt(0)
	s_andn2_b64 s[34:35], s[34:35], exec
	v_cmp_ge_u64_e32 vcc, v[1:2], v[28:29]
	s_orn2_b64 vcc, vcc, exec
	s_branch .LBB2_252
.LBB2_257:                              ;   in Loop: Header=BB2_199 Depth=2
	s_or_b64 exec, exec, s[94:95]
	s_and_saveexec_b64 s[8:9], s[30:31]
	s_xor_b64 s[8:9], exec, s[8:9]
	s_cbranch_execz .LBB2_259
; %bb.258:                              ;   in Loop: Header=BB2_199 Depth=2
	v_mov_b32_e32 v1, 1
	ds_write_b32 v0, v1
	s_trap 2
.LBB2_259:                              ;   in Loop: Header=BB2_199 Depth=2
	s_or_b64 exec, exec, s[92:93]
	;;#ASMSTART
	s_wakeup
	;;#ASMEND
.LBB2_260:                              ;   in Loop: Header=BB2_199 Depth=2
	s_or_b64 exec, exec, s[90:91]
.LBB2_261:                              ;   in Loop: Header=BB2_199 Depth=2
	s_andn2_saveexec_b64 s[42:43], s[42:43]
	s_cbranch_execz .LBB2_263
; %bb.262:                              ;   in Loop: Header=BB2_199 Depth=2
	;;#ASMSTART
	s_waitcnt lgkmcnt(0) vmcnt(0)
	;;#ASMEND
	s_waitcnt vmcnt(0) lgkmcnt(0)
	s_barrier
.LBB2_263:                              ;   in Loop: Header=BB2_199 Depth=2
	s_or_b64 exec, exec, s[42:43]
	s_or_b64 exec, exec, s[26:27]
	v_cmp_ne_u32_e32 vcc, 0, v4
	s_and_saveexec_b64 s[26:27], vcc
	s_cbranch_execz .LBB2_198
.LBB2_264:                              ;   in Loop: Header=BB2_199 Depth=2
	s_and_saveexec_b64 s[42:43], s[14:15]
	s_cbranch_execz .LBB2_197
; %bb.265:                              ;   in Loop: Header=BB2_199 Depth=2
	buffer_load_dword v1, off, s[0:3], s33 offset:92 ; 4-byte Folded Reload
	buffer_load_dword v2, off, s[0:3], s33 offset:96 ; 4-byte Folded Reload
	v_mov_b32_e32 v4, 1
	s_waitcnt vmcnt(0)
	flat_store_dword v[1:2], v4
	s_branch .LBB2_197
.LBB2_266:                              ;   in Loop: Header=BB2_47 Depth=1
	s_or_b64 exec, exec, s[40:41]
.LBB2_267:                              ;   in Loop: Header=BB2_47 Depth=1
	s_or_b64 exec, exec, s[28:29]
	v_cndmask_b32_e64 v1, 0, 1, s[72:73]
	v_cmp_ne_u32_e64 s[26:27], 1, v1
	s_andn2_b64 vcc, exec, s[72:73]
	s_cbranch_vccnz .LBB2_1940
; %bb.268:                              ;   in Loop: Header=BB2_47 Depth=1
	s_mov_b32 s9, 2
	s_branch .LBB2_271
.LBB2_269:                              ;   in Loop: Header=BB2_271 Depth=2
	s_or_b64 exec, exec, s[42:43]
.LBB2_270:                              ;   in Loop: Header=BB2_271 Depth=2
	s_or_b64 exec, exec, s[40:41]
	s_add_i32 s9, s9, 1
	s_cmp_eq_u32 s9, s66
	s_cbranch_scc1 .LBB2_1940
.LBB2_271:                              ;   Parent Loop BB2_47 Depth=1
                                        ; =>  This Loop Header: Depth=2
                                        ;       Child Loop BB2_274 Depth 3
                                        ;         Child Loop BB2_282 Depth 4
                                        ;         Child Loop BB2_310 Depth 4
	;; [unrolled: 1-line block ×9, first 2 shown]
                                        ;       Child Loop BB2_1868 Depth 3
                                        ;         Child Loop BB2_1874 Depth 4
                                        ;         Child Loop BB2_1902 Depth 4
	;; [unrolled: 1-line block ×3, first 2 shown]
	buffer_load_dword v4, off, s[0:3], s33 offset:208 ; 4-byte Folded Reload
	buffer_load_dword v5, off, s[0:3], s33 offset:212 ; 4-byte Folded Reload
	s_sub_i32 s8, s85, s9
	s_cmp_ge_i32 s8, s66
	s_cselect_b32 s28, s66, 0
	s_sub_i32 s8, s8, s28
	s_ashr_i32 s40, s8, 31
	v_mov_b32_e32 v37, 0
	s_waitcnt vmcnt(0)
	v_mad_u64_u32 v[39:40], s[28:29], v4, s8, 0
	v_mul_lo_u32 v1, v5, s8
	v_mul_lo_u32 v2, v4, s40
	v_add3_u32 v40, v40, v2, v1
	buffer_load_dword v1, off, s[0:3], s33 offset:200 ; 4-byte Folded Reload
	buffer_load_dword v2, off, s[0:3], s33 offset:204 ; 4-byte Folded Reload
	s_waitcnt vmcnt(0)
	v_sub_co_u32_e32 v1, vcc, v1, v39
	v_subb_co_u32_e32 v2, vcc, v2, v40, vcc
	v_cmp_lt_i64_e32 vcc, v[4:5], v[1:2]
	v_cndmask_b32_e32 v1, v1, v4, vcc
	v_max_i32_e32 v36, 0, v1
	v_add_u32_e32 v2, 31, v36
	v_lshrrev_b32_e32 v2, 1, v2
	v_and_b32_e32 v2, 0x3ffffff0, v2
	v_cmp_lt_i32_e32 vcc, 0, v1
	v_max_i32_e32 v54, s96, v2
	s_and_b64 s[28:29], s[76:77], vcc
	v_mov_b32_e32 v1, 0
	s_and_saveexec_b64 s[90:91], s[28:29]
	s_cbranch_execz .LBB2_1865
; %bb.272:                              ;   in Loop: Header=BB2_271 Depth=2
	s_mov_b32 s8, 1
	s_mov_b64 s[94:95], -1
	v_mov_b32_e32 v37, 0
	s_mov_b64 s[92:93], 0
	buffer_store_dword v39, off, s[0:3], s33 offset:156 ; 4-byte Folded Spill
	s_nop 0
	buffer_store_dword v40, off, s[0:3], s33 offset:160 ; 4-byte Folded Spill
	s_branch .LBB2_274
.LBB2_273:                              ;   in Loop: Header=BB2_274 Depth=3
	s_or_b64 exec, exec, s[28:29]
	v_add_u32_e32 v37, v54, v37
	v_cmp_ge_i32_e32 vcc, v37, v36
	s_xor_b64 s[28:29], s[94:95], -1
	s_or_b64 s[28:29], s[28:29], vcc
	s_and_b64 s[28:29], exec, s[28:29]
	s_or_b64 s[92:93], s[28:29], s[92:93]
	s_mov_b64 s[94:95], 0
	v_mov_b32_e32 v1, s8
	s_mov_b32 s8, 2
	s_andn2_b64 exec, exec, s[92:93]
	s_cbranch_execz .LBB2_1864
.LBB2_274:                              ;   Parent Loop BB2_47 Depth=1
                                        ;     Parent Loop BB2_271 Depth=2
                                        ; =>    This Loop Header: Depth=3
                                        ;         Child Loop BB2_282 Depth 4
                                        ;         Child Loop BB2_310 Depth 4
	;; [unrolled: 1-line block ×9, first 2 shown]
	s_and_saveexec_b64 s[28:29], s[4:5]
	s_cbranch_execz .LBB2_276
; %bb.275:                              ;   in Loop: Header=BB2_274 Depth=3
	s_trap 2
	buffer_load_dword v4, off, s[0:3], s33 offset:136 ; 4-byte Folded Reload
	ds_read_b64 v[1:2], v0
	s_waitcnt vmcnt(0) lgkmcnt(0)
	v_add_co_u32_e32 v1, vcc, v1, v4
	buffer_load_dword v4, off, s[0:3], s33 offset:140 ; 4-byte Folded Reload
	s_waitcnt vmcnt(0)
	v_addc_co_u32_e32 v2, vcc, v2, v4, vcc
	v_add_co_u32_e32 v1, vcc, v1, v39
	v_addc_co_u32_e32 v2, vcc, v2, v40, vcc
	v_ashrrev_i32_e32 v4, 31, v37
	v_add_co_u32_e32 v1, vcc, v1, v37
	v_addc_co_u32_e32 v2, vcc, v2, v4, vcc
	ds_write_b64 v0, v[1:2]
	v_mov_b32_e32 v2, v3
	ds_write_b64 v0, v[2:3]
.LBB2_276:                              ;   in Loop: Header=BB2_274 Depth=3
	s_or_b64 exec, exec, s[28:29]
	v_sub_u32_e32 v1, v36, v37
	v_min_i32_e32 v54, v54, v1
	v_and_b32_e32 v1, 12, v38
	v_cmp_ne_u32_e32 vcc, 0, v1
	s_and_saveexec_b64 s[40:41], vcc
	s_cbranch_execz .LBB2_302
; %bb.277:                              ;   in Loop: Header=BB2_274 Depth=3
	v_and_b32_e32 v2, 8, v38
	s_waitcnt lgkmcnt(0)
	v_add_co_u32_e32 v4, vcc, v32, v2
	v_addc_co_u32_e32 v5, vcc, 0, v33, vcc
	v_add_co_u32_e32 v8, vcc, 2, v50
	v_addc_co_u32_e32 v9, vcc, 0, v51, vcc
	v_cmp_lt_u64_e32 vcc, v[4:5], v[8:9]
	s_and_saveexec_b64 s[42:43], vcc
	s_cbranch_execz .LBB2_289
; %bb.278:                              ;   in Loop: Header=BB2_274 Depth=3
	v_and_b32_e32 v1, 64, v38
	s_mov_b32 s84, 0
	v_cmp_eq_u32_e32 vcc, 0, v1
	s_mov_b64 s[30:31], 0
                                        ; implicit-def: $sgpr34_sgpr35
                                        ; implicit-def: $sgpr36_sgpr37
                                        ; implicit-def: $sgpr38_sgpr39
	s_branch .LBB2_282
.LBB2_279:                              ;   in Loop: Header=BB2_282 Depth=4
	s_waitcnt vmcnt(0) lgkmcnt(0)
	v_add_co_u32_e64 v4, s[28:29], v32, v2
	v_addc_co_u32_e64 v5, s[28:29], 0, v33, s[28:29]
	v_cmp_ge_u64_e64 s[28:29], v[4:5], v[8:9]
	s_or_b64 s[52:53], s[52:53], exec
	s_orn2_b64 s[50:51], s[28:29], exec
.LBB2_280:                              ;   in Loop: Header=BB2_282 Depth=4
	s_or_b64 exec, exec, s[64:65]
	s_andn2_b64 s[28:29], s[38:39], exec
	s_and_b64 s[38:39], s[52:53], exec
	s_or_b64 s[38:39], s[28:29], s[38:39]
	s_andn2_b64 s[28:29], s[36:37], exec
	s_and_b64 s[36:37], s[50:51], exec
	s_or_b64 s[36:37], s[28:29], s[36:37]
.LBB2_281:                              ;   in Loop: Header=BB2_282 Depth=4
	s_or_b64 exec, exec, s[48:49]
	s_and_b64 s[28:29], exec, s[36:37]
	s_or_b64 s[30:31], s[28:29], s[30:31]
	s_andn2_b64 s[28:29], s[34:35], exec
	s_and_b64 s[34:35], s[38:39], exec
	s_or_b64 s[34:35], s[28:29], s[34:35]
	s_andn2_b64 exec, exec, s[30:31]
	s_cbranch_execz .LBB2_286
.LBB2_282:                              ;   Parent Loop BB2_47 Depth=1
                                        ;     Parent Loop BB2_271 Depth=2
                                        ;       Parent Loop BB2_274 Depth=3
                                        ; =>      This Inner Loop Header: Depth=4
	s_sleep 1
	s_waitcnt vmcnt(0) lgkmcnt(0)
	flat_load_dwordx2 v[32:33], v[22:23] glc
	s_or_b64 s[38:39], s[38:39], exec
	s_or_b64 s[36:37], s[36:37], exec
                                        ; implicit-def: $vgpr1
	s_and_saveexec_b64 s[48:49], vcc
	s_cbranch_execz .LBB2_281
; %bb.283:                              ;   in Loop: Header=BB2_282 Depth=4
	s_cmpk_lt_i32 s84, 0x270f
	s_cselect_b64 s[54:55], -1, 0
	s_cmpk_gt_i32 s84, 0x270e
	s_mov_b64 s[50:51], -1
	s_cbranch_scc0 .LBB2_285
; %bb.284:                              ;   in Loop: Header=BB2_282 Depth=4
	s_trap 2
	ds_read_b64 v[4:5], v0
	s_andn2_b64 s[54:55], s[54:55], exec
	s_mov_b32 s84, 0
	s_mov_b64 s[52:53], 0
	s_waitcnt vmcnt(0) lgkmcnt(0)
	flat_load_dword v1, v[4:5] glc
	s_waitcnt vmcnt(0) lgkmcnt(0)
	buffer_wbinvl1_vol
	v_cmp_eq_u32_e64 s[28:29], 0, v1
	s_and_b64 s[28:29], s[28:29], exec
	s_or_b64 s[54:55], s[54:55], s[28:29]
	s_and_saveexec_b64 s[64:65], s[54:55]
	s_cbranch_execz .LBB2_280
	s_branch .LBB2_279
.LBB2_285:                              ;   in Loop: Header=BB2_282 Depth=4
	s_add_i32 s84, s84, 1
	s_mov_b64 s[52:53], -1
                                        ; implicit-def: $vgpr1
	s_and_saveexec_b64 s[64:65], s[54:55]
	s_cbranch_execz .LBB2_280
	s_branch .LBB2_279
.LBB2_286:                              ;   in Loop: Header=BB2_274 Depth=3
	s_or_b64 exec, exec, s[30:31]
	s_xor_b64 s[28:29], s[34:35], -1
	s_and_saveexec_b64 vcc, s[28:29]
	s_xor_b64 s[28:29], exec, vcc
	s_cbranch_execz .LBB2_288
; %bb.287:                              ;   in Loop: Header=BB2_274 Depth=3
	v_or_b32_e32 v38, 64, v38
	s_waitcnt lgkmcnt(0)
	ds_write_b32 v0, v1
	s_trap 2
.LBB2_288:                              ;   in Loop: Header=BB2_274 Depth=3
	s_or_b64 exec, exec, s[28:29]
.LBB2_289:                              ;   in Loop: Header=BB2_274 Depth=3
	s_or_b64 exec, exec, s[42:43]
	v_and_b32_e32 v1, 0x108, v38
	v_cmp_ne_u32_e32 vcc, s69, v1
	;;#ASMSTART
	s_wakeup
	;;#ASMEND
	s_and_saveexec_b64 s[28:29], vcc
	s_xor_b64 s[28:29], exec, s[28:29]
                                        ; implicit-def: $vgpr1
; %bb.290:                              ;   in Loop: Header=BB2_274 Depth=3
	v_and_b32_e32 v1, 7, v50
                                        ; implicit-def: $vgpr50_vgpr51
; %bb.291:                              ;   in Loop: Header=BB2_274 Depth=3
	s_andn2_saveexec_b64 s[28:29], s[28:29]
	s_cbranch_execz .LBB2_293
; %bb.292:                              ;   in Loop: Header=BB2_274 Depth=3
	buffer_load_dword v10, off, s[0:3], s33 offset:76 ; 4-byte Folded Reload
	buffer_load_dword v11, off, s[0:3], s33 offset:80 ; 4-byte Folded Reload
	buffer_load_dword v12, off, s[0:3], s33 offset:84 ; 4-byte Folded Reload
	buffer_load_dword v13, off, s[0:3], s33 offset:88 ; 4-byte Folded Reload
	v_and_b32_e32 v1, 7, v50
	v_ashrrev_i32_e32 v55, 31, v54
	s_waitcnt vmcnt(0)
	v_mad_u64_u32 v[4:5], s[42:43], v1, 24, v[10:11]
	flat_store_dwordx2 v[4:5], v[54:55] offset:8
.LBB2_293:                              ;   in Loop: Header=BB2_274 Depth=3
	s_or_b64 exec, exec, s[28:29]
	v_and_b32_e32 v4, 0x100, v38
	v_cmp_ne_u32_e32 vcc, 0, v4
	s_mov_b64 s[28:29], -1
                                        ; implicit-def: $vgpr10_vgpr11
	s_and_saveexec_b64 s[42:43], vcc
	s_cbranch_execz .LBB2_297
; %bb.294:                              ;   in Loop: Header=BB2_274 Depth=3
	buffer_load_dword v10, off, s[0:3], s33 offset:76 ; 4-byte Folded Reload
	buffer_load_dword v11, off, s[0:3], s33 offset:80 ; 4-byte Folded Reload
	;; [unrolled: 1-line block ×4, first 2 shown]
	s_waitcnt vmcnt(0)
	v_mad_u64_u32 v[4:5], s[28:29], v1, 24, v[10:11]
	v_mad_u64_u32 v[10:11], s[28:29], v3, 24, v[5:6]
	v_mov_b32_e32 v5, v10
	flat_load_dword v10, v[4:5]
	s_waitcnt vmcnt(0) lgkmcnt(0)
	v_cmp_ne_u32_e32 vcc, 1, v10
	v_cmp_eq_u32_e64 s[28:29], 1, v10
                                        ; implicit-def: $vgpr10_vgpr11
	s_and_saveexec_b64 s[30:31], s[28:29]
	s_cbranch_execz .LBB2_296
; %bb.295:                              ;   in Loop: Header=BB2_274 Depth=3
	flat_load_dword v10, v[4:5] offset:4 glc
	s_waitcnt vmcnt(0) lgkmcnt(0)
	v_ashrrev_i32_e32 v11, 31, v10
.LBB2_296:                              ;   in Loop: Header=BB2_274 Depth=3
	s_or_b64 exec, exec, s[30:31]
	s_orn2_b64 s[28:29], vcc, exec
.LBB2_297:                              ;   in Loop: Header=BB2_274 Depth=3
	s_or_b64 exec, exec, s[42:43]
	s_and_saveexec_b64 s[42:43], s[28:29]
	s_cbranch_execz .LBB2_299
; %bb.298:                              ;   in Loop: Header=BB2_274 Depth=3
	v_mul_lo_u32 v4, v3, v56
	v_mul_lo_u32 v5, v1, v43
	v_mad_u64_u32 v[10:11], s[28:29], v1, v56, 0
	v_add3_u32 v11, v11, v5, v4
.LBB2_299:                              ;   in Loop: Header=BB2_274 Depth=3
	s_or_b64 exec, exec, s[42:43]
	v_cmp_eq_u32_e32 vcc, 0, v2
	v_mov_b32_e32 v1, 0xc8
	v_mov_b32_e32 v2, 0x90
	v_cndmask_b32_e32 v4, v1, v2, vcc
	buffer_load_dword v1, off, s[0:3], s33 offset:68 ; 4-byte Folded Reload
	buffer_load_dword v2, off, s[0:3], s33 offset:72 ; 4-byte Folded Reload
	v_add_u32_e32 v4, v0, v4
	s_waitcnt vmcnt(0)
	v_add_co_u32_e32 v1, vcc, v1, v10
	v_addc_co_u32_e32 v2, vcc, v2, v11, vcc
	ds_write_b64 v4, v[1:2] offset:584
	v_and_b32_e32 v1, 0x2000, v38
	v_cmp_ne_u32_e32 vcc, 0, v1
	s_and_saveexec_b64 s[28:29], vcc
	s_cbranch_execz .LBB2_301
; %bb.300:                              ;   in Loop: Header=BB2_274 Depth=3
	ds_read_b64 v[1:2], v0 offset:872
	s_waitcnt lgkmcnt(0)
	v_add_co_u32_e32 v1, vcc, 1, v1
	v_addc_co_u32_e32 v2, vcc, 0, v2, vcc
	ds_write_b64 v0, v[1:2] offset:872
.LBB2_301:                              ;   in Loop: Header=BB2_274 Depth=3
	s_or_b64 exec, exec, s[28:29]
	v_mov_b32_e32 v51, v9
	v_mov_b32_e32 v50, v8
.LBB2_302:                              ;   in Loop: Header=BB2_274 Depth=3
	s_or_b64 exec, exec, s[40:41]
	s_and_saveexec_b64 s[28:29], s[10:11]
	s_cbranch_execz .LBB2_321
; %bb.303:                              ;   in Loop: Header=BB2_274 Depth=3
	s_and_saveexec_b64 s[40:41], s[58:59]
	s_xor_b64 s[40:41], exec, s[40:41]
	s_cbranch_execz .LBB2_318
; %bb.304:                              ;   in Loop: Header=BB2_274 Depth=3
	s_and_saveexec_b64 s[42:43], s[16:17]
	s_cbranch_execz .LBB2_317
; %bb.305:                              ;   in Loop: Header=BB2_274 Depth=3
	s_mov_b64 s[34:35], exec
	v_mbcnt_lo_u32_b32 v1, s34, 0
	v_mbcnt_hi_u32_b32 v1, s35, v1
	v_cmp_eq_u32_e32 vcc, 0, v1
	s_waitcnt vmcnt(0) lgkmcnt(0)
	buffer_wbinvl1_vol
	s_and_saveexec_b64 s[30:31], vcc
	s_cbranch_execz .LBB2_307
; %bb.306:                              ;   in Loop: Header=BB2_274 Depth=3
	s_bcnt1_i32_b64 vcc_lo, s[34:35]
	v_mov_b32_e32 v2, vcc_lo
	ds_add_u64 v0, v[2:3]
	s_trap 2
.LBB2_307:                              ;   in Loop: Header=BB2_274 Depth=3
	s_or_b64 exec, exec, s[30:31]
	s_trap 2
	ds_read_b64 v[1:2], v0
	s_waitcnt lgkmcnt(0)
	v_add_co_u32_e32 v28, vcc, v28, v35
	v_addc_co_u32_e32 v29, vcc, 0, v29, vcc
	v_cmp_lt_u64_e32 vcc, v[1:2], v[28:29]
	s_and_saveexec_b64 s[30:31], vcc
	s_cbranch_execz .LBB2_316
; %bb.308:                              ;   in Loop: Header=BB2_274 Depth=3
	s_mov_b32 s52, 0
	s_mov_b64 s[34:35], 0
                                        ; implicit-def: $sgpr36_sgpr37
                                        ; implicit-def: $sgpr38_sgpr39
	s_branch .LBB2_310
.LBB2_309:                              ;   in Loop: Header=BB2_310 Depth=4
	s_or_b64 exec, exec, s[50:51]
	s_and_b64 vcc, exec, vcc
	s_or_b64 s[34:35], vcc, s[34:35]
	s_andn2_b64 vcc, s[36:37], exec
	s_and_b64 s[36:37], s[38:39], exec
	s_or_b64 s[36:37], vcc, s[36:37]
	s_andn2_b64 exec, exec, s[34:35]
	s_cbranch_execz .LBB2_314
.LBB2_310:                              ;   Parent Loop BB2_47 Depth=1
                                        ;     Parent Loop BB2_271 Depth=2
                                        ;       Parent Loop BB2_274 Depth=3
                                        ; =>      This Inner Loop Header: Depth=4
	s_add_i32 s52, s52, 1
	s_cmpk_lg_i32 s52, 0x2710
	s_cselect_b64 s[48:49], -1, 0
	s_and_b64 vcc, exec, s[48:49]
	s_cbranch_vccz .LBB2_312
; %bb.311:                              ;   in Loop: Header=BB2_310 Depth=4
	s_mov_b64 vcc, -1
	s_or_b64 s[38:39], s[38:39], exec
	s_and_saveexec_b64 s[50:51], s[48:49]
	s_cbranch_execz .LBB2_309
	s_branch .LBB2_313
.LBB2_312:                              ;   in Loop: Header=BB2_310 Depth=4
	s_trap 2
	ds_read_b64 v[1:2], v0
	s_andn2_b64 s[48:49], s[48:49], exec
	s_mov_b32 s52, 0
	s_waitcnt lgkmcnt(0)
	flat_load_dword v1, v[1:2] glc
	s_waitcnt vmcnt(0) lgkmcnt(0)
	buffer_wbinvl1_vol
	v_cmp_eq_u32_e32 vcc, 0, v1
	s_and_b64 vcc, vcc, exec
	s_or_b64 s[48:49], s[48:49], vcc
	s_mov_b64 vcc, -1
	s_or_b64 s[38:39], s[38:39], exec
	s_and_saveexec_b64 s[50:51], s[48:49]
	s_cbranch_execz .LBB2_309
.LBB2_313:                              ;   in Loop: Header=BB2_310 Depth=4
	s_sleep 1
	s_trap 2
	ds_read_b64 v[1:2], v0
	s_waitcnt lgkmcnt(0)
	s_andn2_b64 s[38:39], s[38:39], exec
	v_cmp_ge_u64_e32 vcc, v[1:2], v[28:29]
	s_orn2_b64 vcc, vcc, exec
	s_branch .LBB2_309
.LBB2_314:                              ;   in Loop: Header=BB2_274 Depth=3
	s_or_b64 exec, exec, s[34:35]
	s_and_saveexec_b64 vcc, s[36:37]
	s_xor_b64 vcc, exec, vcc
	s_cbranch_execz .LBB2_316
; %bb.315:                              ;   in Loop: Header=BB2_274 Depth=3
	v_mov_b32_e32 v1, 1
	ds_write_b32 v0, v1
	s_trap 2
.LBB2_316:                              ;   in Loop: Header=BB2_274 Depth=3
	s_or_b64 exec, exec, s[30:31]
	;;#ASMSTART
	s_wakeup
	;;#ASMEND
.LBB2_317:                              ;   in Loop: Header=BB2_274 Depth=3
	s_or_b64 exec, exec, s[42:43]
.LBB2_318:                              ;   in Loop: Header=BB2_274 Depth=3
	s_andn2_saveexec_b64 s[40:41], s[40:41]
	s_cbranch_execz .LBB2_320
; %bb.319:                              ;   in Loop: Header=BB2_274 Depth=3
	s_waitcnt vmcnt(0) lgkmcnt(0)
	buffer_wbinvl1_vol
	s_barrier
.LBB2_320:                              ;   in Loop: Header=BB2_274 Depth=3
	s_or_b64 exec, exec, s[40:41]
.LBB2_321:                              ;   in Loop: Header=BB2_274 Depth=3
	s_or_b64 exec, exec, s[28:29]
	s_trap 2
	ds_read_b32 v4, v0
	v_and_b32_e32 v1, 0x4000, v38
	v_cmp_ne_u32_e32 vcc, 0, v1
	s_xor_b64 s[28:29], s[6:7], -1
	s_and_b64 s[40:41], s[28:29], vcc
	s_and_saveexec_b64 s[28:29], s[40:41]
	s_cbranch_execz .LBB2_340
; %bb.322:                              ;   in Loop: Header=BB2_274 Depth=3
	s_and_saveexec_b64 s[40:41], s[58:59]
	s_xor_b64 s[40:41], exec, s[40:41]
	s_cbranch_execz .LBB2_337
; %bb.323:                              ;   in Loop: Header=BB2_274 Depth=3
	s_and_saveexec_b64 s[42:43], s[16:17]
	s_cbranch_execz .LBB2_336
; %bb.324:                              ;   in Loop: Header=BB2_274 Depth=3
	s_mov_b64 s[34:35], exec
	v_mbcnt_lo_u32_b32 v1, s34, 0
	v_mbcnt_hi_u32_b32 v1, s35, v1
	v_cmp_eq_u32_e32 vcc, 0, v1
	s_waitcnt vmcnt(0) lgkmcnt(0)
	buffer_wbinvl1_vol
	s_and_saveexec_b64 s[30:31], vcc
	s_cbranch_execz .LBB2_326
; %bb.325:                              ;   in Loop: Header=BB2_274 Depth=3
	s_bcnt1_i32_b64 vcc_lo, s[34:35]
	v_mov_b32_e32 v2, vcc_lo
	ds_add_u64 v0, v[2:3]
	s_trap 2
.LBB2_326:                              ;   in Loop: Header=BB2_274 Depth=3
	s_or_b64 exec, exec, s[30:31]
	s_trap 2
	ds_read_b64 v[1:2], v0
	s_waitcnt lgkmcnt(0)
	v_add_co_u32_e32 v28, vcc, v28, v35
	v_addc_co_u32_e32 v29, vcc, 0, v29, vcc
	v_cmp_lt_u64_e32 vcc, v[1:2], v[28:29]
	s_and_saveexec_b64 s[30:31], vcc
	s_cbranch_execz .LBB2_335
; %bb.327:                              ;   in Loop: Header=BB2_274 Depth=3
	s_mov_b32 s52, 0
	s_mov_b64 s[34:35], 0
                                        ; implicit-def: $sgpr36_sgpr37
                                        ; implicit-def: $sgpr38_sgpr39
	s_branch .LBB2_329
.LBB2_328:                              ;   in Loop: Header=BB2_329 Depth=4
	s_or_b64 exec, exec, s[50:51]
	s_and_b64 vcc, exec, vcc
	s_or_b64 s[34:35], vcc, s[34:35]
	s_andn2_b64 vcc, s[36:37], exec
	s_and_b64 s[36:37], s[38:39], exec
	s_or_b64 s[36:37], vcc, s[36:37]
	s_andn2_b64 exec, exec, s[34:35]
	s_cbranch_execz .LBB2_333
.LBB2_329:                              ;   Parent Loop BB2_47 Depth=1
                                        ;     Parent Loop BB2_271 Depth=2
                                        ;       Parent Loop BB2_274 Depth=3
                                        ; =>      This Inner Loop Header: Depth=4
	s_add_i32 s52, s52, 1
	s_cmpk_lg_i32 s52, 0x2710
	s_cselect_b64 s[48:49], -1, 0
	s_and_b64 vcc, exec, s[48:49]
	s_cbranch_vccz .LBB2_331
; %bb.330:                              ;   in Loop: Header=BB2_329 Depth=4
	s_mov_b64 vcc, -1
	s_or_b64 s[38:39], s[38:39], exec
	s_and_saveexec_b64 s[50:51], s[48:49]
	s_cbranch_execz .LBB2_328
	s_branch .LBB2_332
.LBB2_331:                              ;   in Loop: Header=BB2_329 Depth=4
	s_trap 2
	ds_read_b64 v[1:2], v0
	s_andn2_b64 s[48:49], s[48:49], exec
	s_mov_b32 s52, 0
	s_waitcnt lgkmcnt(0)
	flat_load_dword v1, v[1:2] glc
	s_waitcnt vmcnt(0) lgkmcnt(0)
	buffer_wbinvl1_vol
	v_cmp_eq_u32_e32 vcc, 0, v1
	s_and_b64 vcc, vcc, exec
	s_or_b64 s[48:49], s[48:49], vcc
	s_mov_b64 vcc, -1
	s_or_b64 s[38:39], s[38:39], exec
	s_and_saveexec_b64 s[50:51], s[48:49]
	s_cbranch_execz .LBB2_328
.LBB2_332:                              ;   in Loop: Header=BB2_329 Depth=4
	s_sleep 1
	s_trap 2
	ds_read_b64 v[1:2], v0
	s_waitcnt lgkmcnt(0)
	s_andn2_b64 s[38:39], s[38:39], exec
	v_cmp_ge_u64_e32 vcc, v[1:2], v[28:29]
	s_orn2_b64 vcc, vcc, exec
	s_branch .LBB2_328
.LBB2_333:                              ;   in Loop: Header=BB2_274 Depth=3
	s_or_b64 exec, exec, s[34:35]
	s_and_saveexec_b64 vcc, s[36:37]
	s_xor_b64 vcc, exec, vcc
	s_cbranch_execz .LBB2_335
; %bb.334:                              ;   in Loop: Header=BB2_274 Depth=3
	v_mov_b32_e32 v1, 1
	ds_write_b32 v0, v1
	s_trap 2
.LBB2_335:                              ;   in Loop: Header=BB2_274 Depth=3
	s_or_b64 exec, exec, s[30:31]
	;;#ASMSTART
	s_wakeup
	;;#ASMEND
.LBB2_336:                              ;   in Loop: Header=BB2_274 Depth=3
	s_or_b64 exec, exec, s[42:43]
.LBB2_337:                              ;   in Loop: Header=BB2_274 Depth=3
	s_andn2_saveexec_b64 s[40:41], s[40:41]
	s_cbranch_execz .LBB2_339
; %bb.338:                              ;   in Loop: Header=BB2_274 Depth=3
	s_waitcnt vmcnt(0) lgkmcnt(0)
	buffer_wbinvl1_vol
	s_barrier
.LBB2_339:                              ;   in Loop: Header=BB2_274 Depth=3
	s_or_b64 exec, exec, s[40:41]
.LBB2_340:                              ;   in Loop: Header=BB2_274 Depth=3
	s_or_b64 exec, exec, s[28:29]
	s_trap 2
	ds_read_b64 v[44:45], v0
	s_waitcnt lgkmcnt(0)
	v_cmp_eq_u64_e32 vcc, 0, v[44:45]
	s_cbranch_vccnz .LBB2_348
; %bb.341:                              ;   in Loop: Header=BB2_274 Depth=3
	s_trap 2
	ds_read_b64 v[12:13], v0
	s_waitcnt lgkmcnt(0)
	v_cmp_eq_u64_e32 vcc, 0, v[12:13]
	s_cbranch_vccnz .LBB2_348
; %bb.342:                              ;   in Loop: Header=BB2_274 Depth=3
	s_mov_b64 s[28:29], -1
	s_and_saveexec_b64 s[40:41], s[22:23]
	s_cbranch_execz .LBB2_344
; %bb.343:                              ;   in Loop: Header=BB2_274 Depth=3
	ds_read_b32 v1, v0 offset:720
	s_waitcnt lgkmcnt(0)
	v_and_b32_e32 v1, 15, v1
	v_cmp_eq_u32_e32 vcc, 0, v1
	s_orn2_b64 s[28:29], vcc, exec
.LBB2_344:                              ;   in Loop: Header=BB2_274 Depth=3
	s_or_b64 exec, exec, s[40:41]
	s_and_saveexec_b64 s[40:41], s[20:21]
	s_cbranch_execz .LBB2_346
; %bb.345:                              ;   in Loop: Header=BB2_274 Depth=3
	ds_read_b32 v1, v0 offset:784
	s_waitcnt lgkmcnt(0)
	v_and_b32_e32 v1, 15, v1
	v_cmp_eq_u32_e32 vcc, 0, v1
	s_and_b64 s[42:43], s[28:29], vcc
	s_andn2_b64 s[28:29], s[28:29], exec
	s_and_b64 s[42:43], s[42:43], exec
	s_or_b64 s[28:29], s[28:29], s[42:43]
.LBB2_346:                              ;   in Loop: Header=BB2_274 Depth=3
	s_or_b64 exec, exec, s[40:41]
	s_xor_b64 s[28:29], s[28:29], -1
	v_cmp_eq_u32_e32 vcc, 0, v4
	v_cndmask_b32_e64 v1, 0, 1, s[28:29]
	v_cndmask_b32_e32 v60, 0, v54, vcc
	v_cmp_ne_u32_e32 vcc, 0, v1
	buffer_load_dword v1, off, s[0:3], s33 offset:116 ; 4-byte Folded Reload
	s_mov_b64 s[42:43], -1
	v_mov_b32_e32 v17, 0
	v_mov_b32_e32 v24, v60
	;; [unrolled: 1-line block ×3, first 2 shown]
	s_cbranch_vccz .LBB2_349
; %bb.347:                              ;   in Loop: Header=BB2_274 Depth=3
	s_and_saveexec_b64 s[40:41], s[42:43]
	s_cbranch_execnz .LBB2_1450
	s_branch .LBB2_1818
.LBB2_348:                              ;   in Loop: Header=BB2_274 Depth=3
	s_mov_b64 s[28:29], 0
	s_and_saveexec_b64 s[40:41], s[10:11]
	s_cbranch_execnz .LBB2_1819
	s_branch .LBB2_1837
.LBB2_349:                              ;   in Loop: Header=BB2_274 Depth=3
	buffer_load_dword v1, off, s[0:3], s33 offset:144 ; 4-byte Folded Reload
	s_waitcnt vmcnt(0)
	v_sub_u32_e32 v19, v60, v1
	v_ashrrev_i32_e32 v1, 31, v60
	v_lshrrev_b32_e32 v1, 22, v1
	v_add_u32_e32 v1, v60, v1
	v_ashrrev_i32_e32 v2, 10, v1
	v_and_b32_e32 v4, 0xfffffc00, v1
	buffer_load_dword v1, off, s[0:3], s33 offset:164 ; 4-byte Folded Reload
	v_sub_u32_e32 v5, v60, v4
	v_cmp_lt_i32_e32 vcc, 15, v5
	s_waitcnt vmcnt(0)
	v_addc_co_u32_e64 v21, s[28:29], v2, v1, vcc
	v_cmp_lt_i32_e64 s[28:29], 15, v19
	s_and_saveexec_b64 s[30:31], s[28:29]
	s_cbranch_execz .LBB2_897
; %bb.350:                              ;   in Loop: Header=BB2_274 Depth=3
	buffer_store_dword v5, off, s[0:3], s33 offset:196 ; 4-byte Folded Spill
	buffer_store_dword v4, off, s[0:3], s33 offset:188 ; 4-byte Folded Spill
	s_trap 2
	buffer_load_dword v4, off, s[0:3], s33 offset:144 ; 4-byte Folded Reload
	buffer_load_dword v5, off, s[0:3], s33 offset:216 ; 4-byte Folded Reload
	ds_read_b64 v[1:2], v0
	s_mov_b64 s[34:35], 0
	s_waitcnt vmcnt(1)
	v_add_co_u32_e64 v46, s[28:29], v44, v4
	s_waitcnt vmcnt(0)
	v_addc_co_u32_e64 v47, s[28:29], v45, v5, s[28:29]
	s_waitcnt lgkmcnt(0)
	v_add_co_u32_e64 v55, s[28:29], v1, v4
	v_addc_co_u32_e64 v56, s[28:29], v2, v5, s[28:29]
	v_add_co_u32_e64 v57, s[28:29], v12, v4
	buffer_store_dword v12, off, s[0:3], s33 offset:176 ; 4-byte Folded Spill
	s_nop 0
	buffer_store_dword v13, off, s[0:3], s33 offset:180 ; 4-byte Folded Spill
	v_addc_co_u32_e64 v58, s[28:29], v13, v5, s[28:29]
	s_branch .LBB2_353
.LBB2_351:                              ;   in Loop: Header=BB2_353 Depth=4
	s_or_b64 exec, exec, s[42:43]
.LBB2_352:                              ;   in Loop: Header=BB2_353 Depth=4
	s_or_b64 exec, exec, s[40:41]
	v_lshl_or_b32 v2, v18, 8, v20
	v_lshlrev_b32_e32 v4, 16, v16
	v_lshlrev_b32_e32 v5, 24, v17
	v_or3_b32 v9, v2, v4, v5
	v_lshl_or_b32 v2, v59, 8, v31
	v_lshlrev_b32_e32 v4, 16, v61
	v_lshlrev_b32_e32 v5, 24, v30
	v_add_co_u32_e64 v46, s[28:29], v46, v34
	v_or3_b32 v8, v2, v4, v5
	v_lshl_or_b32 v2, v25, 8, v24
	v_lshlrev_b32_e32 v4, 16, v52
	v_lshlrev_b32_e32 v5, 24, v40
	v_addc_co_u32_e64 v47, s[28:29], 0, v47, s[28:29]
	v_or3_b32 v10, v2, v4, v5
	v_lshlrev_b32_e32 v1, 24, v1
	v_lshlrev_b32_e32 v2, 16, v13
	v_lshl_or_b32 v4, v12, 8, v41
	v_add_co_u32_e64 v55, s[28:29], v55, v34
	v_or3_b32 v11, v4, v2, v1
	v_addc_co_u32_e64 v56, s[28:29], 0, v56, s[28:29]
	global_store_dwordx4 v[57:58], v[8:11], off glc slc
	v_add_co_u32_e64 v57, s[28:29], v57, v34
	v_addc_co_u32_e64 v58, s[28:29], 0, v58, s[28:29]
	v_sub_u32_e32 v19, v19, v34
	v_cmp_gt_i32_e64 s[28:29], 16, v19
	s_or_b64 s[34:35], s[28:29], s[34:35]
	v_sub_u32_e32 v21, v21, v35
	s_andn2_b64 exec, exec, s[34:35]
	s_cbranch_execz .LBB2_896
.LBB2_353:                              ;   Parent Loop BB2_47 Depth=1
                                        ;     Parent Loop BB2_271 Depth=2
                                        ;       Parent Loop BB2_274 Depth=3
                                        ; =>      This Inner Loop Header: Depth=4
	global_load_dwordx4 v[12:15], v[46:47], off glc slc
	global_load_dwordx4 v[8:11], v[55:56], off glc slc
	v_mov_b32_e32 v1, 0
	s_waitcnt vmcnt(1)
	v_cmp_ne_u16_sdwa s[28:29], v12, v3 src0_sel:BYTE_0 src1_sel:DWORD
	s_and_saveexec_b64 s[40:41], s[28:29]
	s_cbranch_execz .LBB2_361
; %bb.354:                              ;   in Loop: Header=BB2_353 Depth=4
	v_cmp_ne_u16_sdwa s[28:29], sext(v12), s70 src0_sel:BYTE_0 src1_sel:DWORD
	v_bfrev_b32_e32 v1, 1
	s_and_saveexec_b64 s[42:43], s[28:29]
	s_cbranch_execz .LBB2_360
; %bb.355:                              ;   in Loop: Header=BB2_353 Depth=4
	v_and_b32_e32 v1, 0x7c, v12
	v_and_b32_e32 v2, 3, v12
	v_cmp_ne_u32_e64 s[28:29], s71, v1
                                        ; implicit-def: $vgpr1
	s_and_saveexec_b64 s[36:37], s[28:29]
	s_xor_b64 s[36:37], exec, s[36:37]
	s_cbranch_execz .LBB2_357
; %bb.356:                              ;   in Loop: Header=BB2_353 Depth=4
	v_ffbh_u32_e32 v4, v2
	v_min_u32_e32 v16, 32, v4
	v_subrev_u32_e32 v4, 29, v16
	v_lshlrev_b64 v[4:5], v4, v[12:13]
	v_bfe_u32 v1, v12, 2, 5
	v_and_b32_e32 v4, 3, v4
	v_cmp_eq_u32_e64 s[28:29], 0, v1
	v_sub_u32_e32 v5, 30, v16
	v_cndmask_b32_e64 v2, v2, v4, s[28:29]
	v_lshlrev_b32_e32 v4, 24, v12
	v_cndmask_b32_e64 v1, v1, v5, s[28:29]
	v_and_b32_e32 v4, 0x80000000, v4
	v_lshl_add_u32 v1, v1, 23, v4
	v_lshl_or_b32 v1, v2, 21, v1
	v_add_u32_e32 v1, 0x38000000, v1
                                        ; implicit-def: $vgpr2
.LBB2_357:                              ;   in Loop: Header=BB2_353 Depth=4
	s_andn2_saveexec_b64 s[36:37], s[36:37]
; %bb.358:                              ;   in Loop: Header=BB2_353 Depth=4
	v_cmp_gt_i16_sdwa s[28:29], sext(v12), v26 src0_sel:BYTE_0 src1_sel:DWORD
	v_cndmask_b32_e64 v1, v27, v6, s[28:29]
	v_cmp_eq_u32_e64 s[28:29], 0, v2
	v_cndmask_b32_e64 v1, v7, v1, s[28:29]
; %bb.359:                              ;   in Loop: Header=BB2_353 Depth=4
	s_or_b64 exec, exec, s[36:37]
.LBB2_360:                              ;   in Loop: Header=BB2_353 Depth=4
	s_or_b64 exec, exec, s[42:43]
.LBB2_361:                              ;   in Loop: Header=BB2_353 Depth=4
	s_or_b64 exec, exec, s[40:41]
	s_waitcnt vmcnt(0)
	v_cmp_gt_i16_sdwa s[40:41], v8, s81 src0_sel:BYTE_0 src1_sel:DWORD
	s_mov_b64 s[28:29], 0
	s_and_saveexec_b64 s[42:43], s[40:41]
	s_xor_b64 s[40:41], exec, s[42:43]
	s_cbranch_execz .LBB2_876
; %bb.362:                              ;   in Loop: Header=BB2_353 Depth=4
	v_cmp_eq_u16_sdwa s[36:37], v8, s82 src0_sel:BYTE_0 src1_sel:DWORD
	s_mov_b64 s[28:29], -1
	s_and_saveexec_b64 s[42:43], s[36:37]
; %bb.363:                              ;   in Loop: Header=BB2_353 Depth=4
	s_xor_b64 s[28:29], exec, -1
; %bb.364:                              ;   in Loop: Header=BB2_353 Depth=4
	s_or_b64 exec, exec, s[42:43]
	s_and_b64 s[28:29], s[28:29], exec
	s_or_saveexec_b64 s[40:41], s[40:41]
	v_bfrev_b32_e32 v2, 1
	s_xor_b64 exec, exec, s[40:41]
	s_cbranch_execnz .LBB2_877
.LBB2_365:                              ;   in Loop: Header=BB2_353 Depth=4
	s_or_b64 exec, exec, s[40:41]
	s_and_saveexec_b64 s[36:37], s[28:29]
	s_cbranch_execz .LBB2_367
.LBB2_366:                              ;   in Loop: Header=BB2_353 Depth=4
	v_and_b32_e32 v2, 3, v8
	v_and_b32_e32 v4, 0x7c, v8
	v_cmp_eq_u32_e64 s[28:29], s71, v4
	v_ffbh_u32_e32 v4, v2
	v_min_u32_e32 v17, 32, v4
	v_subrev_u32_e32 v4, 29, v17
	v_bfe_u32 v16, v8, 2, 5
	v_lshlrev_b64 v[4:5], v4, v[8:9]
	v_cmp_eq_u32_e64 s[40:41], 0, v16
	v_sub_u32_e32 v5, 30, v17
	v_cndmask_b32_e64 v5, v16, v5, s[40:41]
	v_lshlrev_b32_e32 v16, 24, v8
	v_and_b32_e32 v4, 3, v4
	v_and_b32_e32 v16, 0x80000000, v16
	v_cndmask_b32_e64 v4, v2, v4, s[40:41]
	v_lshl_add_u32 v5, v5, 23, v16
	v_cmp_gt_i16_sdwa s[42:43], sext(v8), v26 src0_sel:BYTE_0 src1_sel:DWORD
	v_lshl_or_b32 v4, v4, 21, v5
	v_cmp_eq_u32_e64 s[40:41], 0, v2
	v_cndmask_b32_e64 v2, v27, v6, s[42:43]
	v_add_u32_e32 v4, 0x38000000, v4
	v_cndmask_b32_e64 v2, v7, v2, s[40:41]
	v_cndmask_b32_e64 v2, v4, v2, s[28:29]
.LBB2_367:                              ;   in Loop: Header=BB2_353 Depth=4
	s_or_b64 exec, exec, s[36:37]
	v_mul_f32_e32 v1, v1, v2
	v_and_b32_e32 v4, 0x7f800000, v1
	v_mov_b32_e32 v5, v3
	v_cmp_ne_u64_e64 s[28:29], s[62:63], v[4:5]
	v_and_b32_e32 v2, 0x7fffff, v1
                                        ; implicit-def: $vgpr31
	s_and_saveexec_b64 s[40:41], s[28:29]
	s_xor_b64 s[42:43], exec, s[40:41]
	s_cbranch_execz .LBB2_381
; %bb.368:                              ;   in Loop: Header=BB2_353 Depth=4
	v_and_b32_e32 v4, 0x7fffffff, v1
	v_mov_b32_e32 v5, v3
	v_cmp_gt_u64_e64 s[28:29], s[78:79], v[4:5]
	v_and_b32_sdwa v18, v1, s82 dst_sel:DWORD dst_unused:UNUSED_PAD src0_sel:BYTE_3 src1_sel:DWORD
                                        ; implicit-def: $vgpr31
	s_and_saveexec_b64 s[40:41], s[28:29]
	s_xor_b64 s[36:37], exec, s[40:41]
	s_cbranch_execz .LBB2_378
; %bb.369:                              ;   in Loop: Header=BB2_353 Depth=4
	v_mov_b32_e32 v31, 0
	v_cmp_ne_u32_e64 s[28:29], 0, v1
	s_and_saveexec_b64 s[38:39], s[28:29]
	s_cbranch_execz .LBB2_377
; %bb.370:                              ;   in Loop: Header=BB2_353 Depth=4
	v_bfe_u32 v1, v1, 23, 8
	v_cmp_gt_u32_e64 s[40:41], s44, v1
	v_sub_u32_e32 v4, 0x71, v1
	v_cmp_eq_u32_e64 s[28:29], 0, v1
	v_cndmask_b32_e64 v4, 0, v4, s[40:41]
	v_mov_b32_e32 v16, 0x70
	v_cndmask_b32_e64 v20, v4, v16, s[28:29]
	v_or_b32_e32 v5, 0x800000, v2
	v_add_u32_e32 v4, 21, v20
	v_cndmask_b32_e64 v2, v5, v2, s[28:29]
	v_lshlrev_b64 v[4:5], v4, -1
	v_add_u32_e32 v16, 20, v20
	v_lshlrev_b64 v[16:17], v16, 1
	v_bfi_b32 v5, v5, 0, 0
	v_bfi_b32 v4, v4, 0, v2
	v_cmp_eq_u64_e64 s[40:41], v[4:5], v[16:17]
	v_lshrrev_b64 v[16:17], v20, v[2:3]
	v_mov_b32_e32 v4, v16
	v_mov_b32_e32 v5, v17
	s_and_saveexec_b64 s[48:49], s[40:41]
; %bb.371:                              ;   in Loop: Header=BB2_353 Depth=4
	v_bfe_u32 v2, v16, 21, 1
	v_add_co_u32_e64 v2, s[40:41], v16, v2
	v_add_co_u32_e64 v4, s[40:41], -1, v2
; %bb.372:                              ;   in Loop: Header=BB2_353 Depth=4
	s_or_b64 exec, exec, s[48:49]
	v_add_u32_e32 v1, 0xffffff81, v1
	v_mov_b32_e32 v2, 0xffffff82
	v_cndmask_b32_e64 v1, v1, v2, s[28:29]
	v_lshrrev_b32_e32 v2, 23, v16
	v_add3_u32 v20, v20, v1, v2
	v_add_u32_e32 v5, 14, v20
	v_and_b32_e32 v1, 0x1fffff, v4
	v_add_u32_e32 v2, v1, v16
	v_cmp_ne_u32_e64 s[28:29], 0, v5
                                        ; implicit-def: $vgpr16_vgpr17
                                        ; implicit-def: $vgpr1
	s_and_saveexec_b64 s[40:41], s[28:29]
	s_xor_b64 s[40:41], exec, s[40:41]
; %bb.373:                              ;   in Loop: Header=BB2_353 Depth=4
	v_cmp_lt_u64_e64 s[28:29], s[88:89], v[2:3]
	v_add_u32_e32 v1, 15, v20
	v_cndmask_b32_e64 v4, 0, 1, s[28:29]
	v_cndmask_b32_e64 v1, v5, v1, s[28:29]
	v_lshrrev_b64 v[16:17], v4, v[2:3]
; %bb.374:                              ;   in Loop: Header=BB2_353 Depth=4
	s_andn2_saveexec_b64 s[28:29], s[40:41]
; %bb.375:                              ;   in Loop: Header=BB2_353 Depth=4
	v_mov_b32_e32 v17, v3
	v_bfe_u32 v1, v2, 23, 1
	v_mov_b32_e32 v16, v2
; %bb.376:                              ;   in Loop: Header=BB2_353 Depth=4
	s_or_b64 exec, exec, s[28:29]
	v_lshrrev_b64 v[4:5], 21, v[16:17]
	v_cmp_gt_i32_e64 s[28:29], 32, v1
	v_cndmask_b32_e64 v5, 0, v5, s[28:29]
	v_cndmask_b32_e64 v4, 3, v4, s[28:29]
	v_cmp_eq_u32_e64 s[28:29], 0, v1
	v_min_i32_e32 v1, 31, v1
	v_cmp_eq_u64_e64 s[40:41], 0, v[4:5]
	v_lshlrev_b32_e32 v1, 2, v1
	v_and_b32_e32 v1, 0xfc, v1
	v_and_or_b32 v1, v4, 3, v1
	s_and_b64 s[28:29], s[28:29], s[40:41]
	v_cndmask_b32_e64 v1, v1, 0, s[28:29]
	v_or_b32_e32 v31, v1, v18
.LBB2_377:                              ;   in Loop: Header=BB2_353 Depth=4
	s_or_b64 exec, exec, s[38:39]
                                        ; implicit-def: $vgpr18
.LBB2_378:                              ;   in Loop: Header=BB2_353 Depth=4
	s_andn2_saveexec_b64 s[28:29], s[36:37]
; %bb.379:                              ;   in Loop: Header=BB2_353 Depth=4
	v_or_b32_e32 v31, 0x7b, v18
; %bb.380:                              ;   in Loop: Header=BB2_353 Depth=4
	s_or_b64 exec, exec, s[28:29]
                                        ; implicit-def: $vgpr1
.LBB2_381:                              ;   in Loop: Header=BB2_353 Depth=4
	s_andn2_saveexec_b64 s[40:41], s[42:43]
	s_cbranch_execz .LBB2_387
; %bb.382:                              ;   in Loop: Header=BB2_353 Depth=4
	v_cmp_ne_u64_e64 s[28:29], 0, v[2:3]
                                        ; implicit-def: $vgpr31
	s_and_saveexec_b64 s[42:43], s[28:29]
	s_xor_b64 s[28:29], exec, s[42:43]
; %bb.383:                              ;   in Loop: Header=BB2_353 Depth=4
	v_or_b32_sdwa v31, v1, s81 dst_sel:DWORD dst_unused:UNUSED_PAD src0_sel:BYTE_3 src1_sel:DWORD
                                        ; implicit-def: $vgpr1
; %bb.384:                              ;   in Loop: Header=BB2_353 Depth=4
	s_andn2_saveexec_b64 s[42:43], s[28:29]
; %bb.385:                              ;   in Loop: Header=BB2_353 Depth=4
	v_cmp_lt_i32_e64 s[28:29], -1, v1
	v_cndmask_b32_e64 v31, v0, v49, s[28:29]
; %bb.386:                              ;   in Loop: Header=BB2_353 Depth=4
	s_or_b64 exec, exec, s[42:43]
.LBB2_387:                              ;   in Loop: Header=BB2_353 Depth=4
	s_or_b64 exec, exec, s[40:41]
	v_lshrrev_b16_e32 v2, 8, v12
	v_cmp_ne_u16_e64 s[28:29], 0, v2
	v_mov_b32_e32 v1, 0
	s_and_saveexec_b64 s[40:41], s[28:29]
	s_cbranch_execz .LBB2_395
; %bb.388:                              ;   in Loop: Header=BB2_353 Depth=4
	v_cmp_ne_u16_e64 s[28:29], s82, v2
	v_bfrev_b32_e32 v1, 1
	s_and_saveexec_b64 s[42:43], s[28:29]
	s_cbranch_execz .LBB2_394
; %bb.389:                              ;   in Loop: Header=BB2_353 Depth=4
	v_and_b32_e32 v1, 0x7c, v2
	v_and_b32_e32 v4, 3, v2
	v_cmp_ne_u32_e64 s[28:29], s71, v1
                                        ; implicit-def: $vgpr1
	s_and_saveexec_b64 s[36:37], s[28:29]
	s_xor_b64 s[36:37], exec, s[36:37]
	s_cbranch_execz .LBB2_391
; %bb.390:                              ;   in Loop: Header=BB2_353 Depth=4
	v_ffbh_u32_e32 v1, v4
	v_min_u32_e32 v16, 32, v1
	v_subrev_u32_e32 v1, 29, v16
	v_bfe_u32 v5, v2, 2, 5
	v_lshlrev_b64 v[1:2], v1, v[2:3]
	v_cmp_eq_u32_e64 s[28:29], 0, v5
	v_and_b32_e32 v1, 3, v1
	v_sub_u32_e32 v2, 30, v16
	v_cndmask_b32_e64 v1, v4, v1, s[28:29]
	v_lshlrev_b32_e32 v4, 16, v12
	v_cndmask_b32_e64 v2, v5, v2, s[28:29]
	v_and_b32_e32 v4, 0x80000000, v4
	v_lshl_add_u32 v2, v2, 23, v4
	v_lshl_or_b32 v1, v1, 21, v2
	v_add_u32_e32 v1, 0x38000000, v1
                                        ; implicit-def: $vgpr4
.LBB2_391:                              ;   in Loop: Header=BB2_353 Depth=4
	s_andn2_saveexec_b64 s[36:37], s[36:37]
; %bb.392:                              ;   in Loop: Header=BB2_353 Depth=4
	v_cmp_lt_i16_e64 s[28:29], -1, v12
	v_cndmask_b32_e64 v1, v27, v6, s[28:29]
	v_cmp_eq_u32_e64 s[28:29], 0, v4
	v_cndmask_b32_e64 v1, v7, v1, s[28:29]
; %bb.393:                              ;   in Loop: Header=BB2_353 Depth=4
	s_or_b64 exec, exec, s[36:37]
.LBB2_394:                              ;   in Loop: Header=BB2_353 Depth=4
	s_or_b64 exec, exec, s[42:43]
.LBB2_395:                              ;   in Loop: Header=BB2_353 Depth=4
	s_or_b64 exec, exec, s[40:41]
	v_lshrrev_b16_e32 v2, 8, v8
	v_cmp_lt_i16_e64 s[28:29], s81, v2
	s_mov_b64 s[40:41], 0
	s_and_saveexec_b64 s[42:43], s[28:29]
	s_xor_b64 s[42:43], exec, s[42:43]
	s_cbranch_execz .LBB2_878
; %bb.396:                              ;   in Loop: Header=BB2_353 Depth=4
	v_cmp_eq_u16_e64 s[28:29], s82, v2
	s_mov_b64 s[40:41], -1
	s_and_saveexec_b64 s[36:37], s[28:29]
; %bb.397:                              ;   in Loop: Header=BB2_353 Depth=4
	s_xor_b64 s[40:41], exec, -1
; %bb.398:                              ;   in Loop: Header=BB2_353 Depth=4
	s_or_b64 exec, exec, s[36:37]
	s_and_b64 s[40:41], s[40:41], exec
	s_or_saveexec_b64 s[42:43], s[42:43]
	v_bfrev_b32_e32 v4, 1
	s_xor_b64 exec, exec, s[42:43]
	s_cbranch_execnz .LBB2_879
.LBB2_399:                              ;   in Loop: Header=BB2_353 Depth=4
	s_or_b64 exec, exec, s[42:43]
	s_and_saveexec_b64 s[36:37], s[40:41]
	s_cbranch_execz .LBB2_401
.LBB2_400:                              ;   in Loop: Header=BB2_353 Depth=4
	v_and_b32_e32 v16, 3, v2
	v_and_b32_e32 v4, 0x7c, v2
	v_cmp_eq_u32_e64 s[28:29], s71, v4
	v_ffbh_u32_e32 v4, v16
	v_min_u32_e32 v18, 32, v4
	v_subrev_u32_e32 v4, 29, v18
	v_bfe_u32 v17, v2, 2, 5
	v_lshlrev_b64 v[4:5], v4, v[2:3]
	v_cmp_eq_u32_e64 s[40:41], 0, v17
	v_sub_u32_e32 v5, 30, v18
	v_lshlrev_b32_e32 v2, 24, v2
	v_and_b32_e32 v4, 3, v4
	v_cndmask_b32_e64 v5, v17, v5, s[40:41]
	v_and_b32_e32 v2, 0x80000000, v2
	v_cndmask_b32_e64 v4, v16, v4, s[40:41]
	v_lshl_add_u32 v2, v5, 23, v2
	v_cmp_lt_i16_e64 s[42:43], -1, v8
	v_lshl_or_b32 v2, v4, 21, v2
	v_cmp_eq_u32_e64 s[40:41], 0, v16
	v_cndmask_b32_e64 v4, v27, v6, s[42:43]
	v_add_u32_e32 v2, 0x38000000, v2
	v_cndmask_b32_e64 v4, v7, v4, s[40:41]
	v_cndmask_b32_e64 v4, v2, v4, s[28:29]
.LBB2_401:                              ;   in Loop: Header=BB2_353 Depth=4
	s_or_b64 exec, exec, s[36:37]
	v_mul_f32_e32 v1, v1, v4
	v_and_b32_e32 v4, 0x7f800000, v1
	v_mov_b32_e32 v5, v3
	v_cmp_ne_u64_e64 s[28:29], s[62:63], v[4:5]
	v_and_b32_e32 v2, 0x7fffff, v1
                                        ; implicit-def: $vgpr59
	s_and_saveexec_b64 s[40:41], s[28:29]
	s_xor_b64 s[42:43], exec, s[40:41]
	s_cbranch_execz .LBB2_415
; %bb.402:                              ;   in Loop: Header=BB2_353 Depth=4
	v_and_b32_e32 v4, 0x7fffffff, v1
	v_mov_b32_e32 v5, v3
	v_cmp_gt_u64_e64 s[28:29], s[78:79], v[4:5]
	v_and_b32_sdwa v18, v1, s82 dst_sel:DWORD dst_unused:UNUSED_PAD src0_sel:BYTE_3 src1_sel:DWORD
                                        ; implicit-def: $vgpr59
	s_and_saveexec_b64 s[40:41], s[28:29]
	s_xor_b64 s[36:37], exec, s[40:41]
	s_cbranch_execz .LBB2_412
; %bb.403:                              ;   in Loop: Header=BB2_353 Depth=4
	v_mov_b32_e32 v59, 0
	v_cmp_ne_u32_e64 s[28:29], 0, v1
	s_and_saveexec_b64 s[38:39], s[28:29]
	s_cbranch_execz .LBB2_411
; %bb.404:                              ;   in Loop: Header=BB2_353 Depth=4
	v_bfe_u32 v1, v1, 23, 8
	v_cmp_gt_u32_e64 s[40:41], s44, v1
	v_sub_u32_e32 v4, 0x71, v1
	v_cmp_eq_u32_e64 s[28:29], 0, v1
	v_cndmask_b32_e64 v4, 0, v4, s[40:41]
	v_mov_b32_e32 v16, 0x70
	v_cndmask_b32_e64 v20, v4, v16, s[28:29]
	v_or_b32_e32 v5, 0x800000, v2
	v_add_u32_e32 v4, 21, v20
	v_cndmask_b32_e64 v2, v5, v2, s[28:29]
	v_lshlrev_b64 v[4:5], v4, -1
	v_add_u32_e32 v16, 20, v20
	v_lshlrev_b64 v[16:17], v16, 1
	v_bfi_b32 v5, v5, 0, 0
	v_bfi_b32 v4, v4, 0, v2
	v_cmp_eq_u64_e64 s[40:41], v[4:5], v[16:17]
	v_lshrrev_b64 v[16:17], v20, v[2:3]
	v_mov_b32_e32 v4, v16
	v_mov_b32_e32 v5, v17
	s_and_saveexec_b64 s[48:49], s[40:41]
; %bb.405:                              ;   in Loop: Header=BB2_353 Depth=4
	v_bfe_u32 v2, v16, 21, 1
	v_add_co_u32_e64 v2, s[40:41], v16, v2
	v_add_co_u32_e64 v4, s[40:41], -1, v2
; %bb.406:                              ;   in Loop: Header=BB2_353 Depth=4
	s_or_b64 exec, exec, s[48:49]
	v_add_u32_e32 v1, 0xffffff81, v1
	v_mov_b32_e32 v2, 0xffffff82
	v_cndmask_b32_e64 v1, v1, v2, s[28:29]
	v_lshrrev_b32_e32 v2, 23, v16
	v_add3_u32 v20, v20, v1, v2
	v_add_u32_e32 v5, 14, v20
	v_and_b32_e32 v1, 0x1fffff, v4
	v_add_u32_e32 v2, v1, v16
	v_cmp_ne_u32_e64 s[28:29], 0, v5
                                        ; implicit-def: $vgpr16_vgpr17
                                        ; implicit-def: $vgpr1
	s_and_saveexec_b64 s[40:41], s[28:29]
	s_xor_b64 s[40:41], exec, s[40:41]
; %bb.407:                              ;   in Loop: Header=BB2_353 Depth=4
	v_cmp_lt_u64_e64 s[28:29], s[88:89], v[2:3]
	v_add_u32_e32 v1, 15, v20
	v_cndmask_b32_e64 v4, 0, 1, s[28:29]
	v_cndmask_b32_e64 v1, v5, v1, s[28:29]
	v_lshrrev_b64 v[16:17], v4, v[2:3]
; %bb.408:                              ;   in Loop: Header=BB2_353 Depth=4
	s_andn2_saveexec_b64 s[28:29], s[40:41]
; %bb.409:                              ;   in Loop: Header=BB2_353 Depth=4
	v_mov_b32_e32 v17, v3
	v_bfe_u32 v1, v2, 23, 1
	v_mov_b32_e32 v16, v2
; %bb.410:                              ;   in Loop: Header=BB2_353 Depth=4
	s_or_b64 exec, exec, s[28:29]
	v_lshrrev_b64 v[4:5], 21, v[16:17]
	v_cmp_gt_i32_e64 s[28:29], 32, v1
	v_cndmask_b32_e64 v5, 0, v5, s[28:29]
	v_cndmask_b32_e64 v4, 3, v4, s[28:29]
	v_cmp_eq_u32_e64 s[28:29], 0, v1
	v_min_i32_e32 v1, 31, v1
	v_cmp_eq_u64_e64 s[40:41], 0, v[4:5]
	v_lshlrev_b32_e32 v1, 2, v1
	v_and_b32_e32 v1, 0xfc, v1
	v_and_or_b32 v1, v4, 3, v1
	s_and_b64 s[28:29], s[28:29], s[40:41]
	v_cndmask_b32_e64 v1, v1, 0, s[28:29]
	v_or_b32_e32 v59, v1, v18
.LBB2_411:                              ;   in Loop: Header=BB2_353 Depth=4
	s_or_b64 exec, exec, s[38:39]
                                        ; implicit-def: $vgpr18
.LBB2_412:                              ;   in Loop: Header=BB2_353 Depth=4
	s_andn2_saveexec_b64 s[28:29], s[36:37]
; %bb.413:                              ;   in Loop: Header=BB2_353 Depth=4
	v_or_b32_e32 v59, 0x7b, v18
; %bb.414:                              ;   in Loop: Header=BB2_353 Depth=4
	s_or_b64 exec, exec, s[28:29]
                                        ; implicit-def: $vgpr1
.LBB2_415:                              ;   in Loop: Header=BB2_353 Depth=4
	s_andn2_saveexec_b64 s[40:41], s[42:43]
	s_cbranch_execz .LBB2_421
; %bb.416:                              ;   in Loop: Header=BB2_353 Depth=4
	v_cmp_ne_u64_e64 s[28:29], 0, v[2:3]
                                        ; implicit-def: $vgpr59
	s_and_saveexec_b64 s[42:43], s[28:29]
	s_xor_b64 s[28:29], exec, s[42:43]
; %bb.417:                              ;   in Loop: Header=BB2_353 Depth=4
	v_or_b32_sdwa v59, v1, s81 dst_sel:DWORD dst_unused:UNUSED_PAD src0_sel:BYTE_3 src1_sel:DWORD
                                        ; implicit-def: $vgpr1
; %bb.418:                              ;   in Loop: Header=BB2_353 Depth=4
	s_andn2_saveexec_b64 s[42:43], s[28:29]
; %bb.419:                              ;   in Loop: Header=BB2_353 Depth=4
	v_cmp_lt_i32_e64 s[28:29], -1, v1
	v_cndmask_b32_e64 v59, v0, v49, s[28:29]
; %bb.420:                              ;   in Loop: Header=BB2_353 Depth=4
	s_or_b64 exec, exec, s[42:43]
.LBB2_421:                              ;   in Loop: Header=BB2_353 Depth=4
	s_or_b64 exec, exec, s[40:41]
	v_lshrrev_b32_e32 v2, 16, v12
	v_cmp_ne_u16_sdwa s[28:29], v2, v3 src0_sel:BYTE_0 src1_sel:DWORD
	v_mov_b32_e32 v1, 0
	s_and_saveexec_b64 s[40:41], s[28:29]
	s_cbranch_execz .LBB2_429
; %bb.422:                              ;   in Loop: Header=BB2_353 Depth=4
	v_cmp_ne_u16_sdwa s[28:29], v2, s82 src0_sel:BYTE_0 src1_sel:DWORD
	v_bfrev_b32_e32 v1, 1
	s_and_saveexec_b64 s[42:43], s[28:29]
	s_cbranch_execz .LBB2_428
; %bb.423:                              ;   in Loop: Header=BB2_353 Depth=4
	v_and_b32_e32 v1, 0x7c0000, v12
	v_bfe_u32 v4, v12, 16, 2
	v_cmp_ne_u32_e64 s[28:29], s45, v1
                                        ; implicit-def: $vgpr1
	s_and_saveexec_b64 s[36:37], s[28:29]
	s_xor_b64 s[36:37], exec, s[36:37]
	s_cbranch_execz .LBB2_425
; %bb.424:                              ;   in Loop: Header=BB2_353 Depth=4
	v_ffbh_u32_e32 v1, v4
	v_min_u32_e32 v16, 32, v1
	v_subrev_u32_e32 v1, 29, v16
	v_lshlrev_b64 v[1:2], v1, v[2:3]
	v_bfe_u32 v5, v12, 18, 5
	v_and_b32_e32 v1, 3, v1
	v_cmp_eq_u32_e64 s[28:29], 0, v5
	v_sub_u32_e32 v2, 30, v16
	v_cndmask_b32_e64 v1, v4, v1, s[28:29]
	v_lshlrev_b32_e32 v4, 8, v12
	v_cndmask_b32_e64 v2, v5, v2, s[28:29]
	v_and_b32_e32 v4, 0x80000000, v4
	v_lshl_add_u32 v2, v2, 23, v4
	v_lshl_or_b32 v1, v1, 21, v2
	v_add_u32_e32 v1, 0x38000000, v1
                                        ; implicit-def: $vgpr4
                                        ; implicit-def: $vgpr2
.LBB2_425:                              ;   in Loop: Header=BB2_353 Depth=4
	s_andn2_saveexec_b64 s[36:37], s[36:37]
; %bb.426:                              ;   in Loop: Header=BB2_353 Depth=4
	v_cmp_gt_i16_sdwa s[28:29], sext(v2), v26 src0_sel:BYTE_0 src1_sel:DWORD
	v_cndmask_b32_e64 v1, v27, v6, s[28:29]
	v_cmp_eq_u32_e64 s[28:29], 0, v4
	v_cndmask_b32_e64 v1, v7, v1, s[28:29]
; %bb.427:                              ;   in Loop: Header=BB2_353 Depth=4
	s_or_b64 exec, exec, s[36:37]
.LBB2_428:                              ;   in Loop: Header=BB2_353 Depth=4
	s_or_b64 exec, exec, s[42:43]
.LBB2_429:                              ;   in Loop: Header=BB2_353 Depth=4
	s_or_b64 exec, exec, s[40:41]
	v_lshrrev_b32_e32 v2, 16, v8
	v_cmp_gt_i16_sdwa s[40:41], v2, s81 src0_sel:BYTE_0 src1_sel:DWORD
	s_mov_b64 s[28:29], 0
	s_and_saveexec_b64 s[42:43], s[40:41]
	s_xor_b64 s[40:41], exec, s[42:43]
	s_cbranch_execz .LBB2_880
; %bb.430:                              ;   in Loop: Header=BB2_353 Depth=4
	v_cmp_eq_u16_sdwa s[36:37], v2, s82 src0_sel:BYTE_0 src1_sel:DWORD
	s_mov_b64 s[28:29], -1
	s_and_saveexec_b64 s[42:43], s[36:37]
; %bb.431:                              ;   in Loop: Header=BB2_353 Depth=4
	s_xor_b64 s[28:29], exec, -1
; %bb.432:                              ;   in Loop: Header=BB2_353 Depth=4
	s_or_b64 exec, exec, s[42:43]
	s_and_b64 s[28:29], s[28:29], exec
	s_or_saveexec_b64 s[40:41], s[40:41]
	v_bfrev_b32_e32 v4, 1
	s_xor_b64 exec, exec, s[40:41]
	s_cbranch_execnz .LBB2_881
.LBB2_433:                              ;   in Loop: Header=BB2_353 Depth=4
	s_or_b64 exec, exec, s[40:41]
	s_and_saveexec_b64 s[36:37], s[28:29]
	s_cbranch_execz .LBB2_435
.LBB2_434:                              ;   in Loop: Header=BB2_353 Depth=4
	v_and_b32_e32 v16, 3, v2
	v_and_b32_e32 v4, 0x7c0000, v8
	v_cmp_eq_u32_e64 s[28:29], s45, v4
	v_ffbh_u32_e32 v4, v16
	v_min_u32_e32 v18, 32, v4
	v_subrev_u32_e32 v4, 29, v18
	v_bfe_u32 v17, v8, 18, 5
	v_lshlrev_b64 v[4:5], v4, v[2:3]
	v_cmp_eq_u32_e64 s[40:41], 0, v17
	v_sub_u32_e32 v5, 30, v18
	v_cndmask_b32_e64 v5, v17, v5, s[40:41]
	v_lshlrev_b32_e32 v17, 24, v2
	v_and_b32_e32 v4, 3, v4
	v_and_b32_e32 v17, 0x80000000, v17
	v_cndmask_b32_e64 v4, v16, v4, s[40:41]
	v_lshl_add_u32 v5, v5, 23, v17
	v_cmp_gt_i16_sdwa s[42:43], sext(v2), v26 src0_sel:BYTE_0 src1_sel:DWORD
	v_lshl_or_b32 v4, v4, 21, v5
	v_cmp_eq_u32_e64 s[40:41], 0, v16
	v_cndmask_b32_e64 v2, v27, v6, s[42:43]
	v_add_u32_e32 v4, 0x38000000, v4
	v_cndmask_b32_e64 v2, v7, v2, s[40:41]
	v_cndmask_b32_e64 v4, v4, v2, s[28:29]
.LBB2_435:                              ;   in Loop: Header=BB2_353 Depth=4
	s_or_b64 exec, exec, s[36:37]
	v_mul_f32_e32 v1, v1, v4
	v_and_b32_e32 v4, 0x7f800000, v1
	v_mov_b32_e32 v5, v3
	v_cmp_ne_u64_e64 s[28:29], s[62:63], v[4:5]
	v_and_b32_e32 v2, 0x7fffff, v1
                                        ; implicit-def: $vgpr61
	s_and_saveexec_b64 s[40:41], s[28:29]
	s_xor_b64 s[42:43], exec, s[40:41]
	s_cbranch_execz .LBB2_449
; %bb.436:                              ;   in Loop: Header=BB2_353 Depth=4
	v_and_b32_e32 v4, 0x7fffffff, v1
	v_mov_b32_e32 v5, v3
	v_cmp_gt_u64_e64 s[28:29], s[78:79], v[4:5]
	v_and_b32_sdwa v18, v1, s82 dst_sel:DWORD dst_unused:UNUSED_PAD src0_sel:BYTE_3 src1_sel:DWORD
                                        ; implicit-def: $vgpr61
	s_and_saveexec_b64 s[40:41], s[28:29]
	s_xor_b64 s[36:37], exec, s[40:41]
	s_cbranch_execz .LBB2_446
; %bb.437:                              ;   in Loop: Header=BB2_353 Depth=4
	v_mov_b32_e32 v61, 0
	v_cmp_ne_u32_e64 s[28:29], 0, v1
	s_and_saveexec_b64 s[38:39], s[28:29]
	s_cbranch_execz .LBB2_445
; %bb.438:                              ;   in Loop: Header=BB2_353 Depth=4
	v_bfe_u32 v1, v1, 23, 8
	v_cmp_gt_u32_e64 s[40:41], s44, v1
	v_sub_u32_e32 v4, 0x71, v1
	v_cmp_eq_u32_e64 s[28:29], 0, v1
	v_cndmask_b32_e64 v4, 0, v4, s[40:41]
	v_mov_b32_e32 v16, 0x70
	v_cndmask_b32_e64 v20, v4, v16, s[28:29]
	v_or_b32_e32 v5, 0x800000, v2
	v_add_u32_e32 v4, 21, v20
	v_cndmask_b32_e64 v2, v5, v2, s[28:29]
	v_lshlrev_b64 v[4:5], v4, -1
	v_add_u32_e32 v16, 20, v20
	v_lshlrev_b64 v[16:17], v16, 1
	v_bfi_b32 v5, v5, 0, 0
	v_bfi_b32 v4, v4, 0, v2
	v_cmp_eq_u64_e64 s[40:41], v[4:5], v[16:17]
	v_lshrrev_b64 v[16:17], v20, v[2:3]
	v_mov_b32_e32 v4, v16
	v_mov_b32_e32 v5, v17
	s_and_saveexec_b64 s[48:49], s[40:41]
; %bb.439:                              ;   in Loop: Header=BB2_353 Depth=4
	v_bfe_u32 v2, v16, 21, 1
	v_add_co_u32_e64 v2, s[40:41], v16, v2
	v_add_co_u32_e64 v4, s[40:41], -1, v2
; %bb.440:                              ;   in Loop: Header=BB2_353 Depth=4
	s_or_b64 exec, exec, s[48:49]
	v_add_u32_e32 v1, 0xffffff81, v1
	v_mov_b32_e32 v2, 0xffffff82
	v_cndmask_b32_e64 v1, v1, v2, s[28:29]
	v_lshrrev_b32_e32 v2, 23, v16
	v_add3_u32 v20, v20, v1, v2
	v_add_u32_e32 v5, 14, v20
	v_and_b32_e32 v1, 0x1fffff, v4
	v_add_u32_e32 v2, v1, v16
	v_cmp_ne_u32_e64 s[28:29], 0, v5
                                        ; implicit-def: $vgpr16_vgpr17
                                        ; implicit-def: $vgpr1
	s_and_saveexec_b64 s[40:41], s[28:29]
	s_xor_b64 s[40:41], exec, s[40:41]
; %bb.441:                              ;   in Loop: Header=BB2_353 Depth=4
	v_cmp_lt_u64_e64 s[28:29], s[88:89], v[2:3]
	v_add_u32_e32 v1, 15, v20
	v_cndmask_b32_e64 v4, 0, 1, s[28:29]
	v_cndmask_b32_e64 v1, v5, v1, s[28:29]
	v_lshrrev_b64 v[16:17], v4, v[2:3]
; %bb.442:                              ;   in Loop: Header=BB2_353 Depth=4
	s_andn2_saveexec_b64 s[28:29], s[40:41]
; %bb.443:                              ;   in Loop: Header=BB2_353 Depth=4
	v_mov_b32_e32 v17, v3
	v_bfe_u32 v1, v2, 23, 1
	v_mov_b32_e32 v16, v2
; %bb.444:                              ;   in Loop: Header=BB2_353 Depth=4
	s_or_b64 exec, exec, s[28:29]
	v_lshrrev_b64 v[4:5], 21, v[16:17]
	v_cmp_gt_i32_e64 s[28:29], 32, v1
	v_cndmask_b32_e64 v5, 0, v5, s[28:29]
	v_cndmask_b32_e64 v4, 3, v4, s[28:29]
	v_cmp_eq_u32_e64 s[28:29], 0, v1
	v_min_i32_e32 v1, 31, v1
	v_cmp_eq_u64_e64 s[40:41], 0, v[4:5]
	v_lshlrev_b32_e32 v1, 2, v1
	v_and_b32_e32 v1, 0xfc, v1
	v_and_or_b32 v1, v4, 3, v1
	s_and_b64 s[28:29], s[28:29], s[40:41]
	v_cndmask_b32_e64 v1, v1, 0, s[28:29]
	v_or_b32_e32 v61, v1, v18
.LBB2_445:                              ;   in Loop: Header=BB2_353 Depth=4
	s_or_b64 exec, exec, s[38:39]
                                        ; implicit-def: $vgpr18
.LBB2_446:                              ;   in Loop: Header=BB2_353 Depth=4
	s_andn2_saveexec_b64 s[28:29], s[36:37]
; %bb.447:                              ;   in Loop: Header=BB2_353 Depth=4
	v_or_b32_e32 v61, 0x7b, v18
; %bb.448:                              ;   in Loop: Header=BB2_353 Depth=4
	s_or_b64 exec, exec, s[28:29]
                                        ; implicit-def: $vgpr1
.LBB2_449:                              ;   in Loop: Header=BB2_353 Depth=4
	s_andn2_saveexec_b64 s[40:41], s[42:43]
	s_cbranch_execz .LBB2_455
; %bb.450:                              ;   in Loop: Header=BB2_353 Depth=4
	v_cmp_ne_u64_e64 s[28:29], 0, v[2:3]
                                        ; implicit-def: $vgpr61
	s_and_saveexec_b64 s[42:43], s[28:29]
	s_xor_b64 s[28:29], exec, s[42:43]
; %bb.451:                              ;   in Loop: Header=BB2_353 Depth=4
	v_or_b32_sdwa v61, v1, s81 dst_sel:DWORD dst_unused:UNUSED_PAD src0_sel:BYTE_3 src1_sel:DWORD
                                        ; implicit-def: $vgpr1
; %bb.452:                              ;   in Loop: Header=BB2_353 Depth=4
	s_andn2_saveexec_b64 s[42:43], s[28:29]
; %bb.453:                              ;   in Loop: Header=BB2_353 Depth=4
	v_cmp_lt_i32_e64 s[28:29], -1, v1
	v_cndmask_b32_e64 v61, v0, v49, s[28:29]
; %bb.454:                              ;   in Loop: Header=BB2_353 Depth=4
	s_or_b64 exec, exec, s[42:43]
.LBB2_455:                              ;   in Loop: Header=BB2_353 Depth=4
	s_or_b64 exec, exec, s[40:41]
	v_cmp_lt_u32_e64 s[28:29], s57, v12
	v_mov_b32_e32 v1, 0
	s_and_saveexec_b64 s[40:41], s[28:29]
	s_cbranch_execz .LBB2_463
; %bb.456:                              ;   in Loop: Header=BB2_353 Depth=4
	v_lshrrev_b32_e32 v2, 24, v12
	v_cmp_ne_u32_e64 s[28:29], s82, v2
	v_bfrev_b32_e32 v1, 1
	s_and_saveexec_b64 s[42:43], s[28:29]
	s_cbranch_execz .LBB2_462
; %bb.457:                              ;   in Loop: Header=BB2_353 Depth=4
	v_and_b32_e32 v1, 0x7c000000, v12
	v_bfe_u32 v4, v12, 24, 2
	v_cmp_ne_u32_e64 s[28:29], s83, v1
                                        ; implicit-def: $vgpr1
	s_and_saveexec_b64 s[36:37], s[28:29]
	s_xor_b64 s[36:37], exec, s[36:37]
	s_cbranch_execz .LBB2_459
; %bb.458:                              ;   in Loop: Header=BB2_353 Depth=4
	v_ffbh_u32_e32 v1, v4
	v_min_u32_e32 v16, 32, v1
	v_subrev_u32_e32 v1, 29, v16
	v_lshlrev_b64 v[1:2], v1, v[2:3]
	v_bfe_u32 v5, v12, 26, 5
	v_sub_u32_e32 v2, 30, v16
	v_and_b32_e32 v1, 3, v1
	v_cmp_eq_u32_e64 s[28:29], 0, v5
	v_cndmask_b32_e64 v2, v5, v2, s[28:29]
	v_cndmask_b32_e64 v1, v4, v1, s[28:29]
	v_and_b32_e32 v4, 0x80000000, v12
	v_lshl_add_u32 v2, v2, 23, v4
	v_lshl_or_b32 v1, v1, 21, v2
	v_add_u32_e32 v1, 0x38000000, v1
                                        ; implicit-def: $vgpr4
.LBB2_459:                              ;   in Loop: Header=BB2_353 Depth=4
	s_andn2_saveexec_b64 s[36:37], s[36:37]
; %bb.460:                              ;   in Loop: Header=BB2_353 Depth=4
	v_cmp_lt_i32_e64 s[28:29], -1, v12
	v_cndmask_b32_e64 v1, v27, v6, s[28:29]
	v_cmp_eq_u32_e64 s[28:29], 0, v4
	v_cndmask_b32_e64 v1, v7, v1, s[28:29]
; %bb.461:                              ;   in Loop: Header=BB2_353 Depth=4
	s_or_b64 exec, exec, s[36:37]
.LBB2_462:                              ;   in Loop: Header=BB2_353 Depth=4
	s_or_b64 exec, exec, s[42:43]
.LBB2_463:                              ;   in Loop: Header=BB2_353 Depth=4
	s_or_b64 exec, exec, s[40:41]
	v_bfe_u32 v16, v8, 24, 2
	v_and_b32_e32 v4, 0x7c000000, v8
	v_cmp_eq_u32_e64 s[28:29], s83, v4
	v_ffbh_u32_e32 v4, v16
	v_min_u32_e32 v18, 32, v4
	v_lshrrev_b32_e32 v2, 24, v8
	v_subrev_u32_e32 v4, 29, v18
	v_bfe_u32 v17, v8, 26, 5
	v_lshlrev_b64 v[4:5], v4, v[2:3]
	v_cmp_eq_u32_e64 s[40:41], 0, v17
	v_sub_u32_e32 v5, 30, v18
	v_and_b32_e32 v4, 3, v4
	v_cndmask_b32_e64 v5, v17, v5, s[40:41]
	v_and_b32_e32 v17, 0x80000000, v8
	v_cndmask_b32_e64 v4, v16, v4, s[40:41]
	v_lshl_add_u32 v5, v5, 23, v17
	v_cmp_lt_i32_e64 s[42:43], -1, v8
	v_lshl_or_b32 v4, v4, 21, v5
	v_cmp_eq_u32_e64 s[40:41], 0, v16
	v_cndmask_b32_e64 v5, v27, v6, s[42:43]
	v_add_u32_e32 v4, 0x38000000, v4
	v_cndmask_b32_e64 v5, v7, v5, s[40:41]
	v_cndmask_b32_e64 v4, v4, v5, s[28:29]
	v_cmp_ne_u32_e64 s[28:29], s82, v2
	v_cndmask_b32_e64 v2, v53, v4, s[28:29]
	v_cmp_lt_u32_e64 s[28:29], s57, v8
	v_cndmask_b32_e64 v2, 0, v2, s[28:29]
	v_mul_f32_e32 v1, v2, v1
	v_and_b32_e32 v4, 0x7f800000, v1
	v_mov_b32_e32 v5, v3
	v_cmp_ne_u64_e64 s[28:29], s[62:63], v[4:5]
	v_and_b32_e32 v2, 0x7fffff, v1
                                        ; implicit-def: $vgpr30
	s_and_saveexec_b64 s[40:41], s[28:29]
	s_xor_b64 s[42:43], exec, s[40:41]
	s_cbranch_execz .LBB2_477
; %bb.464:                              ;   in Loop: Header=BB2_353 Depth=4
	v_and_b32_e32 v4, 0x7fffffff, v1
	v_mov_b32_e32 v5, v3
	v_cmp_gt_u64_e64 s[28:29], s[78:79], v[4:5]
	v_and_b32_sdwa v18, v1, s82 dst_sel:DWORD dst_unused:UNUSED_PAD src0_sel:BYTE_3 src1_sel:DWORD
                                        ; implicit-def: $vgpr30
	s_and_saveexec_b64 s[40:41], s[28:29]
	s_xor_b64 s[36:37], exec, s[40:41]
	s_cbranch_execz .LBB2_474
; %bb.465:                              ;   in Loop: Header=BB2_353 Depth=4
	v_mov_b32_e32 v30, 0
	v_cmp_ne_u32_e64 s[28:29], 0, v1
	s_and_saveexec_b64 s[38:39], s[28:29]
	s_cbranch_execz .LBB2_473
; %bb.466:                              ;   in Loop: Header=BB2_353 Depth=4
	v_bfe_u32 v1, v1, 23, 8
	v_cmp_gt_u32_e64 s[40:41], s44, v1
	v_sub_u32_e32 v4, 0x71, v1
	v_cmp_eq_u32_e64 s[28:29], 0, v1
	v_cndmask_b32_e64 v4, 0, v4, s[40:41]
	v_mov_b32_e32 v16, 0x70
	v_cndmask_b32_e64 v20, v4, v16, s[28:29]
	v_or_b32_e32 v5, 0x800000, v2
	v_add_u32_e32 v4, 21, v20
	v_cndmask_b32_e64 v2, v5, v2, s[28:29]
	v_lshlrev_b64 v[4:5], v4, -1
	v_add_u32_e32 v16, 20, v20
	v_lshlrev_b64 v[16:17], v16, 1
	v_bfi_b32 v5, v5, 0, 0
	v_bfi_b32 v4, v4, 0, v2
	v_cmp_eq_u64_e64 s[40:41], v[4:5], v[16:17]
	v_lshrrev_b64 v[16:17], v20, v[2:3]
	v_mov_b32_e32 v4, v16
	v_mov_b32_e32 v5, v17
	s_and_saveexec_b64 s[48:49], s[40:41]
; %bb.467:                              ;   in Loop: Header=BB2_353 Depth=4
	v_bfe_u32 v2, v16, 21, 1
	v_add_co_u32_e64 v2, s[40:41], v16, v2
	v_add_co_u32_e64 v4, s[40:41], -1, v2
; %bb.468:                              ;   in Loop: Header=BB2_353 Depth=4
	s_or_b64 exec, exec, s[48:49]
	v_add_u32_e32 v1, 0xffffff81, v1
	v_mov_b32_e32 v2, 0xffffff82
	v_cndmask_b32_e64 v1, v1, v2, s[28:29]
	v_lshrrev_b32_e32 v2, 23, v16
	v_add3_u32 v20, v20, v1, v2
	v_add_u32_e32 v5, 14, v20
	v_and_b32_e32 v1, 0x1fffff, v4
	v_add_u32_e32 v2, v1, v16
	v_cmp_ne_u32_e64 s[28:29], 0, v5
                                        ; implicit-def: $vgpr16_vgpr17
                                        ; implicit-def: $vgpr1
	s_and_saveexec_b64 s[40:41], s[28:29]
	s_xor_b64 s[40:41], exec, s[40:41]
; %bb.469:                              ;   in Loop: Header=BB2_353 Depth=4
	v_cmp_lt_u64_e64 s[28:29], s[88:89], v[2:3]
	v_add_u32_e32 v1, 15, v20
	v_cndmask_b32_e64 v4, 0, 1, s[28:29]
	v_cndmask_b32_e64 v1, v5, v1, s[28:29]
	v_lshrrev_b64 v[16:17], v4, v[2:3]
; %bb.470:                              ;   in Loop: Header=BB2_353 Depth=4
	s_andn2_saveexec_b64 s[28:29], s[40:41]
; %bb.471:                              ;   in Loop: Header=BB2_353 Depth=4
	v_mov_b32_e32 v17, v3
	v_bfe_u32 v1, v2, 23, 1
	v_mov_b32_e32 v16, v2
; %bb.472:                              ;   in Loop: Header=BB2_353 Depth=4
	s_or_b64 exec, exec, s[28:29]
	v_lshrrev_b64 v[4:5], 21, v[16:17]
	v_cmp_gt_i32_e64 s[28:29], 32, v1
	v_cndmask_b32_e64 v5, 0, v5, s[28:29]
	v_cndmask_b32_e64 v4, 3, v4, s[28:29]
	v_cmp_eq_u32_e64 s[28:29], 0, v1
	v_min_i32_e32 v1, 31, v1
	v_cmp_eq_u64_e64 s[40:41], 0, v[4:5]
	v_lshlrev_b32_e32 v1, 2, v1
	v_and_b32_e32 v1, 0xfc, v1
	v_and_or_b32 v1, v4, 3, v1
	s_and_b64 s[28:29], s[28:29], s[40:41]
	v_cndmask_b32_e64 v1, v1, 0, s[28:29]
	v_or_b32_e32 v30, v1, v18
.LBB2_473:                              ;   in Loop: Header=BB2_353 Depth=4
	s_or_b64 exec, exec, s[38:39]
                                        ; implicit-def: $vgpr18
.LBB2_474:                              ;   in Loop: Header=BB2_353 Depth=4
	s_andn2_saveexec_b64 s[28:29], s[36:37]
; %bb.475:                              ;   in Loop: Header=BB2_353 Depth=4
	v_or_b32_e32 v30, 0x7b, v18
; %bb.476:                              ;   in Loop: Header=BB2_353 Depth=4
	s_or_b64 exec, exec, s[28:29]
                                        ; implicit-def: $vgpr1
.LBB2_477:                              ;   in Loop: Header=BB2_353 Depth=4
	s_andn2_saveexec_b64 s[40:41], s[42:43]
	s_cbranch_execz .LBB2_483
; %bb.478:                              ;   in Loop: Header=BB2_353 Depth=4
	v_cmp_ne_u64_e64 s[28:29], 0, v[2:3]
                                        ; implicit-def: $vgpr30
	s_and_saveexec_b64 s[42:43], s[28:29]
	s_xor_b64 s[28:29], exec, s[42:43]
; %bb.479:                              ;   in Loop: Header=BB2_353 Depth=4
	v_or_b32_sdwa v30, v1, s81 dst_sel:DWORD dst_unused:UNUSED_PAD src0_sel:BYTE_3 src1_sel:DWORD
                                        ; implicit-def: $vgpr1
; %bb.480:                              ;   in Loop: Header=BB2_353 Depth=4
	s_andn2_saveexec_b64 s[42:43], s[28:29]
; %bb.481:                              ;   in Loop: Header=BB2_353 Depth=4
	v_cmp_lt_i32_e64 s[28:29], -1, v1
	v_cndmask_b32_e64 v30, v0, v49, s[28:29]
; %bb.482:                              ;   in Loop: Header=BB2_353 Depth=4
	s_or_b64 exec, exec, s[42:43]
.LBB2_483:                              ;   in Loop: Header=BB2_353 Depth=4
	s_or_b64 exec, exec, s[40:41]
	v_mov_b32_e32 v2, v13
	v_cmp_ne_u16_sdwa s[28:29], v13, v3 src0_sel:BYTE_0 src1_sel:DWORD
	v_mov_b32_e32 v1, 0
	s_and_saveexec_b64 s[40:41], s[28:29]
	s_cbranch_execz .LBB2_491
; %bb.484:                              ;   in Loop: Header=BB2_353 Depth=4
	v_cmp_ne_u16_sdwa s[28:29], v13, s82 src0_sel:BYTE_0 src1_sel:DWORD
	v_bfrev_b32_e32 v1, 1
	s_and_saveexec_b64 s[42:43], s[28:29]
	s_cbranch_execz .LBB2_490
; %bb.485:                              ;   in Loop: Header=BB2_353 Depth=4
	v_and_b32_e32 v1, 0x7c, v13
	v_and_b32_e32 v4, 3, v13
	v_cmp_ne_u32_e64 s[28:29], s71, v1
                                        ; implicit-def: $vgpr1
	s_and_saveexec_b64 s[36:37], s[28:29]
	s_xor_b64 s[36:37], exec, s[36:37]
	s_cbranch_execz .LBB2_487
; %bb.486:                              ;   in Loop: Header=BB2_353 Depth=4
	v_ffbh_u32_e32 v5, v4
	v_min_u32_e32 v5, 32, v5
	v_bfe_u32 v1, v13, 2, 5
	v_subrev_u32_e32 v16, 29, v5
	v_lshlrev_b64 v[16:17], v16, v[2:3]
	v_sub_u32_e32 v5, 30, v5
	v_cmp_eq_u32_e64 s[28:29], 0, v1
	v_cndmask_b32_e64 v1, v1, v5, s[28:29]
	v_lshlrev_b32_e32 v5, 24, v13
	v_and_b32_e32 v16, 3, v16
	v_and_b32_e32 v5, 0x80000000, v5
	v_cndmask_b32_e64 v4, v4, v16, s[28:29]
	v_lshl_add_u32 v1, v1, 23, v5
	v_lshl_or_b32 v1, v4, 21, v1
	v_add_u32_e32 v1, 0x38000000, v1
                                        ; implicit-def: $vgpr4
.LBB2_487:                              ;   in Loop: Header=BB2_353 Depth=4
	s_andn2_saveexec_b64 s[36:37], s[36:37]
; %bb.488:                              ;   in Loop: Header=BB2_353 Depth=4
	v_cmp_gt_i16_sdwa s[28:29], sext(v13), v26 src0_sel:BYTE_0 src1_sel:DWORD
	v_cndmask_b32_e64 v1, v27, v6, s[28:29]
	v_cmp_eq_u32_e64 s[28:29], 0, v4
	v_cndmask_b32_e64 v1, v7, v1, s[28:29]
; %bb.489:                              ;   in Loop: Header=BB2_353 Depth=4
	s_or_b64 exec, exec, s[36:37]
.LBB2_490:                              ;   in Loop: Header=BB2_353 Depth=4
	s_or_b64 exec, exec, s[42:43]
.LBB2_491:                              ;   in Loop: Header=BB2_353 Depth=4
	s_or_b64 exec, exec, s[40:41]
	v_cmp_gt_i16_sdwa s[40:41], v9, s81 src0_sel:BYTE_0 src1_sel:DWORD
	s_mov_b64 s[28:29], 0
	s_and_saveexec_b64 s[42:43], s[40:41]
	s_xor_b64 s[40:41], exec, s[42:43]
	s_cbranch_execz .LBB2_495
; %bb.492:                              ;   in Loop: Header=BB2_353 Depth=4
	v_cmp_eq_u16_sdwa s[36:37], v9, s82 src0_sel:BYTE_0 src1_sel:DWORD
	s_mov_b64 s[28:29], -1
	s_and_saveexec_b64 s[42:43], s[36:37]
; %bb.493:                              ;   in Loop: Header=BB2_353 Depth=4
	s_xor_b64 s[28:29], exec, -1
; %bb.494:                              ;   in Loop: Header=BB2_353 Depth=4
	s_or_b64 exec, exec, s[42:43]
	s_and_b64 s[28:29], s[28:29], exec
.LBB2_495:                              ;   in Loop: Header=BB2_353 Depth=4
	s_or_saveexec_b64 s[40:41], s[40:41]
	v_bfrev_b32_e32 v4, 1
	s_xor_b64 exec, exec, s[40:41]
; %bb.496:                              ;   in Loop: Header=BB2_353 Depth=4
	v_cmp_ne_u16_sdwa s[42:43], v9, v3 src0_sel:BYTE_0 src1_sel:DWORD
	s_andn2_b64 s[28:29], s[28:29], exec
	s_and_b64 s[42:43], s[42:43], exec
	v_mov_b32_e32 v4, 0
	s_or_b64 s[28:29], s[28:29], s[42:43]
; %bb.497:                              ;   in Loop: Header=BB2_353 Depth=4
	s_or_b64 exec, exec, s[40:41]
	v_mov_b32_e32 v16, v9
	v_mov_b32_e32 v17, v3
	s_and_saveexec_b64 s[36:37], s[28:29]
	s_cbranch_execz .LBB2_499
; %bb.498:                              ;   in Loop: Header=BB2_353 Depth=4
	v_and_b32_e32 v18, 3, v9
	v_and_b32_e32 v4, 0x7c, v9
	v_cmp_eq_u32_e64 s[28:29], s71, v4
	v_ffbh_u32_e32 v4, v18
	v_min_u32_e32 v24, 32, v4
	v_subrev_u32_e32 v4, 29, v24
	v_bfe_u32 v20, v9, 2, 5
	v_lshlrev_b64 v[4:5], v4, v[16:17]
	v_cmp_eq_u32_e64 s[40:41], 0, v20
	v_sub_u32_e32 v5, 30, v24
	v_lshlrev_b32_e32 v17, 24, v9
	v_and_b32_e32 v4, 3, v4
	v_cndmask_b32_e64 v5, v20, v5, s[40:41]
	v_and_b32_e32 v17, 0x80000000, v17
	v_cndmask_b32_e64 v4, v18, v4, s[40:41]
	v_lshl_add_u32 v5, v5, 23, v17
	v_cmp_gt_i16_sdwa s[42:43], sext(v9), v26 src0_sel:BYTE_0 src1_sel:DWORD
	v_lshl_or_b32 v4, v4, 21, v5
	v_cmp_eq_u32_e64 s[40:41], 0, v18
	v_cndmask_b32_e64 v5, v27, v6, s[42:43]
	v_add_u32_e32 v4, 0x38000000, v4
	v_cndmask_b32_e64 v5, v7, v5, s[40:41]
	v_cndmask_b32_e64 v4, v4, v5, s[28:29]
.LBB2_499:                              ;   in Loop: Header=BB2_353 Depth=4
	s_or_b64 exec, exec, s[36:37]
	v_mul_f32_e32 v1, v1, v4
	v_and_b32_e32 v4, 0x7f800000, v1
	v_mov_b32_e32 v5, v3
	v_cmp_ne_u64_e64 s[28:29], s[62:63], v[4:5]
	v_and_b32_e32 v17, 0x7fffff, v1
	v_mov_b32_e32 v18, v3
                                        ; implicit-def: $vgpr20
	s_and_saveexec_b64 s[40:41], s[28:29]
	s_xor_b64 s[42:43], exec, s[40:41]
	s_cbranch_execz .LBB2_513
; %bb.500:                              ;   in Loop: Header=BB2_353 Depth=4
	v_and_b32_e32 v4, 0x7fffffff, v1
	v_mov_b32_e32 v5, v3
	v_cmp_gt_u64_e64 s[28:29], s[78:79], v[4:5]
	v_and_b32_sdwa v24, v1, s82 dst_sel:DWORD dst_unused:UNUSED_PAD src0_sel:BYTE_3 src1_sel:DWORD
                                        ; implicit-def: $vgpr20
	s_and_saveexec_b64 s[40:41], s[28:29]
	s_xor_b64 s[36:37], exec, s[40:41]
	s_cbranch_execz .LBB2_510
; %bb.501:                              ;   in Loop: Header=BB2_353 Depth=4
	v_mov_b32_e32 v20, 0
	v_cmp_ne_u32_e64 s[28:29], 0, v1
	s_and_saveexec_b64 s[38:39], s[28:29]
	s_cbranch_execz .LBB2_509
; %bb.502:                              ;   in Loop: Header=BB2_353 Depth=4
	v_bfe_u32 v1, v1, 23, 8
	v_cmp_gt_u32_e64 s[40:41], s44, v1
	v_sub_u32_e32 v4, 0x71, v1
	v_cmp_eq_u32_e64 s[28:29], 0, v1
	v_cndmask_b32_e64 v4, 0, v4, s[40:41]
	v_mov_b32_e32 v20, 0x70
	v_cndmask_b32_e64 v20, v4, v20, s[28:29]
	v_or_b32_e32 v5, 0x800000, v17
	v_add_u32_e32 v4, 21, v20
	v_cndmask_b32_e64 v17, v5, v17, s[28:29]
	v_lshlrev_b64 v[4:5], v4, -1
	v_add_u32_e32 v25, 20, v20
	v_lshlrev_b64 v[39:40], v25, 1
	v_bfi_b32 v5, v5, 0, 0
	v_bfi_b32 v4, v4, 0, v17
	v_lshrrev_b64 v[17:18], v20, v[17:18]
	v_cmp_eq_u64_e64 s[40:41], v[4:5], v[39:40]
	v_mov_b32_e32 v4, v17
	v_mov_b32_e32 v5, v18
	s_and_saveexec_b64 s[48:49], s[40:41]
; %bb.503:                              ;   in Loop: Header=BB2_353 Depth=4
	v_bfe_u32 v4, v17, 21, 1
	v_add_co_u32_e64 v4, s[40:41], v17, v4
	v_add_co_u32_e64 v4, s[40:41], -1, v4
; %bb.504:                              ;   in Loop: Header=BB2_353 Depth=4
	s_or_b64 exec, exec, s[48:49]
	v_add_u32_e32 v1, 0xffffff81, v1
	v_mov_b32_e32 v5, 0xffffff82
	v_cndmask_b32_e64 v1, v1, v5, s[28:29]
	v_lshrrev_b32_e32 v5, 23, v17
	v_add3_u32 v20, v20, v1, v5
	v_add_u32_e32 v5, 14, v20
	v_and_b32_e32 v1, 0x1fffff, v4
	v_add_u32_e32 v17, v1, v17
	v_mov_b32_e32 v18, v3
	v_cmp_ne_u32_e64 s[28:29], 0, v5
                                        ; implicit-def: $vgpr1
	s_and_saveexec_b64 s[40:41], s[28:29]
	s_xor_b64 s[40:41], exec, s[40:41]
; %bb.505:                              ;   in Loop: Header=BB2_353 Depth=4
	v_cmp_lt_u64_e64 s[28:29], s[88:89], v[17:18]
	v_add_u32_e32 v1, 15, v20
	v_cndmask_b32_e64 v4, 0, 1, s[28:29]
	v_cndmask_b32_e64 v1, v5, v1, s[28:29]
	v_lshrrev_b64 v[17:18], v4, v[17:18]
; %bb.506:                              ;   in Loop: Header=BB2_353 Depth=4
	s_andn2_saveexec_b64 s[28:29], s[40:41]
; %bb.507:                              ;   in Loop: Header=BB2_353 Depth=4
	v_bfe_u32 v1, v17, 23, 1
; %bb.508:                              ;   in Loop: Header=BB2_353 Depth=4
	s_or_b64 exec, exec, s[28:29]
	v_lshrrev_b64 v[4:5], 21, v[17:18]
	v_cmp_gt_i32_e64 s[28:29], 32, v1
	v_cndmask_b32_e64 v5, 0, v5, s[28:29]
	v_cndmask_b32_e64 v4, 3, v4, s[28:29]
	v_cmp_eq_u32_e64 s[28:29], 0, v1
	v_min_i32_e32 v1, 31, v1
	v_cmp_eq_u64_e64 s[40:41], 0, v[4:5]
	v_lshlrev_b32_e32 v1, 2, v1
	v_and_b32_e32 v1, 0xfc, v1
	v_and_or_b32 v1, v4, 3, v1
	s_and_b64 s[28:29], s[28:29], s[40:41]
	v_cndmask_b32_e64 v1, v1, 0, s[28:29]
	v_or_b32_e32 v20, v1, v24
.LBB2_509:                              ;   in Loop: Header=BB2_353 Depth=4
	s_or_b64 exec, exec, s[38:39]
                                        ; implicit-def: $vgpr24
.LBB2_510:                              ;   in Loop: Header=BB2_353 Depth=4
	s_andn2_saveexec_b64 s[28:29], s[36:37]
; %bb.511:                              ;   in Loop: Header=BB2_353 Depth=4
	v_or_b32_e32 v20, 0x7b, v24
; %bb.512:                              ;   in Loop: Header=BB2_353 Depth=4
	s_or_b64 exec, exec, s[28:29]
                                        ; implicit-def: $vgpr1
                                        ; implicit-def: $vgpr17_vgpr18
.LBB2_513:                              ;   in Loop: Header=BB2_353 Depth=4
	s_andn2_saveexec_b64 s[40:41], s[42:43]
	s_cbranch_execz .LBB2_519
; %bb.514:                              ;   in Loop: Header=BB2_353 Depth=4
	v_cmp_ne_u64_e64 s[28:29], 0, v[17:18]
                                        ; implicit-def: $vgpr20
	s_and_saveexec_b64 s[42:43], s[28:29]
	s_xor_b64 s[28:29], exec, s[42:43]
; %bb.515:                              ;   in Loop: Header=BB2_353 Depth=4
	v_or_b32_sdwa v20, v1, s81 dst_sel:DWORD dst_unused:UNUSED_PAD src0_sel:BYTE_3 src1_sel:DWORD
                                        ; implicit-def: $vgpr1
; %bb.516:                              ;   in Loop: Header=BB2_353 Depth=4
	s_andn2_saveexec_b64 s[42:43], s[28:29]
; %bb.517:                              ;   in Loop: Header=BB2_353 Depth=4
	v_cmp_lt_i32_e64 s[28:29], -1, v1
	v_cndmask_b32_e64 v20, v0, v49, s[28:29]
; %bb.518:                              ;   in Loop: Header=BB2_353 Depth=4
	s_or_b64 exec, exec, s[42:43]
.LBB2_519:                              ;   in Loop: Header=BB2_353 Depth=4
	s_or_b64 exec, exec, s[40:41]
	v_lshrrev_b16_e32 v17, 8, v2
	v_cmp_ne_u16_e64 s[28:29], 0, v17
	v_mov_b32_e32 v1, 0
	s_and_saveexec_b64 s[40:41], s[28:29]
	s_cbranch_execz .LBB2_527
; %bb.520:                              ;   in Loop: Header=BB2_353 Depth=4
	v_cmp_ne_u16_e64 s[28:29], s82, v17
	v_bfrev_b32_e32 v1, 1
	s_and_saveexec_b64 s[42:43], s[28:29]
	s_cbranch_execz .LBB2_526
; %bb.521:                              ;   in Loop: Header=BB2_353 Depth=4
	v_and_b32_e32 v1, 0x7c, v17
	v_and_b32_e32 v4, 3, v17
	v_cmp_ne_u32_e64 s[28:29], s71, v1
                                        ; implicit-def: $vgpr1
	s_and_saveexec_b64 s[36:37], s[28:29]
	s_xor_b64 s[36:37], exec, s[36:37]
	s_cbranch_execz .LBB2_523
; %bb.522:                              ;   in Loop: Header=BB2_353 Depth=4
	v_ffbh_u32_e32 v5, v4
	v_min_u32_e32 v5, 32, v5
	v_mov_b32_e32 v18, v3
	v_subrev_u32_e32 v24, 29, v5
	v_bfe_u32 v1, v17, 2, 5
	v_lshlrev_b64 v[17:18], v24, v[17:18]
	v_sub_u32_e32 v5, 30, v5
	v_cmp_eq_u32_e64 s[28:29], 0, v1
	v_lshlrev_b32_e32 v2, 16, v2
	v_and_b32_e32 v17, 3, v17
	v_cndmask_b32_e64 v1, v1, v5, s[28:29]
	v_and_b32_e32 v2, 0x80000000, v2
	v_cndmask_b32_e64 v4, v4, v17, s[28:29]
	v_lshl_add_u32 v1, v1, 23, v2
	v_lshl_or_b32 v1, v4, 21, v1
	v_add_u32_e32 v1, 0x38000000, v1
                                        ; implicit-def: $vgpr4
.LBB2_523:                              ;   in Loop: Header=BB2_353 Depth=4
	s_andn2_saveexec_b64 s[36:37], s[36:37]
; %bb.524:                              ;   in Loop: Header=BB2_353 Depth=4
	v_cmp_lt_i16_e64 s[28:29], -1, v2
	v_cndmask_b32_e64 v1, v27, v6, s[28:29]
	v_cmp_eq_u32_e64 s[28:29], 0, v4
	v_cndmask_b32_e64 v1, v7, v1, s[28:29]
; %bb.525:                              ;   in Loop: Header=BB2_353 Depth=4
	s_or_b64 exec, exec, s[36:37]
.LBB2_526:                              ;   in Loop: Header=BB2_353 Depth=4
	s_or_b64 exec, exec, s[42:43]
.LBB2_527:                              ;   in Loop: Header=BB2_353 Depth=4
	s_or_b64 exec, exec, s[40:41]
	v_lshrrev_b16_e32 v2, 8, v16
	v_cmp_lt_i16_e64 s[28:29], s81, v2
	s_mov_b64 s[40:41], 0
	s_and_saveexec_b64 s[42:43], s[28:29]
	s_xor_b64 s[42:43], exec, s[42:43]
	s_cbranch_execz .LBB2_882
; %bb.528:                              ;   in Loop: Header=BB2_353 Depth=4
	v_cmp_eq_u16_e64 s[28:29], s82, v2
	s_mov_b64 s[40:41], -1
	s_and_saveexec_b64 s[36:37], s[28:29]
; %bb.529:                              ;   in Loop: Header=BB2_353 Depth=4
	s_xor_b64 s[40:41], exec, -1
; %bb.530:                              ;   in Loop: Header=BB2_353 Depth=4
	s_or_b64 exec, exec, s[36:37]
	s_and_b64 s[40:41], s[40:41], exec
	s_or_saveexec_b64 s[42:43], s[42:43]
	v_bfrev_b32_e32 v4, 1
	s_xor_b64 exec, exec, s[42:43]
	s_cbranch_execnz .LBB2_883
.LBB2_531:                              ;   in Loop: Header=BB2_353 Depth=4
	s_or_b64 exec, exec, s[42:43]
	s_and_saveexec_b64 s[36:37], s[40:41]
	s_cbranch_execz .LBB2_533
.LBB2_532:                              ;   in Loop: Header=BB2_353 Depth=4
	v_and_b32_e32 v17, 3, v2
	v_and_b32_e32 v4, 0x7c, v2
	v_cmp_eq_u32_e64 s[28:29], s71, v4
	v_ffbh_u32_e32 v4, v17
	v_min_u32_e32 v24, 32, v4
	v_subrev_u32_e32 v4, 29, v24
	v_bfe_u32 v18, v2, 2, 5
	v_lshlrev_b64 v[4:5], v4, v[2:3]
	v_cmp_eq_u32_e64 s[40:41], 0, v18
	v_sub_u32_e32 v5, 30, v24
	v_lshlrev_b32_e32 v2, 24, v2
	v_and_b32_e32 v4, 3, v4
	v_cndmask_b32_e64 v5, v18, v5, s[40:41]
	v_and_b32_e32 v2, 0x80000000, v2
	v_cndmask_b32_e64 v4, v17, v4, s[40:41]
	v_lshl_add_u32 v2, v5, 23, v2
	v_cmp_lt_i16_e64 s[42:43], -1, v16
	v_lshl_or_b32 v2, v4, 21, v2
	v_cmp_eq_u32_e64 s[40:41], 0, v17
	v_cndmask_b32_e64 v4, v27, v6, s[42:43]
	v_add_u32_e32 v2, 0x38000000, v2
	v_cndmask_b32_e64 v4, v7, v4, s[40:41]
	v_cndmask_b32_e64 v4, v2, v4, s[28:29]
.LBB2_533:                              ;   in Loop: Header=BB2_353 Depth=4
	s_or_b64 exec, exec, s[36:37]
	v_mul_f32_e32 v1, v1, v4
	v_and_b32_e32 v4, 0x7f800000, v1
	v_mov_b32_e32 v5, v3
	v_cmp_ne_u64_e64 s[28:29], s[62:63], v[4:5]
	v_and_b32_e32 v2, 0x7fffff, v1
                                        ; implicit-def: $vgpr18
	s_and_saveexec_b64 s[40:41], s[28:29]
	s_xor_b64 s[42:43], exec, s[40:41]
	s_cbranch_execz .LBB2_547
; %bb.534:                              ;   in Loop: Header=BB2_353 Depth=4
	v_and_b32_e32 v4, 0x7fffffff, v1
	v_mov_b32_e32 v5, v3
	v_cmp_gt_u64_e64 s[28:29], s[78:79], v[4:5]
	v_and_b32_sdwa v24, v1, s82 dst_sel:DWORD dst_unused:UNUSED_PAD src0_sel:BYTE_3 src1_sel:DWORD
                                        ; implicit-def: $vgpr18
	s_and_saveexec_b64 s[40:41], s[28:29]
	s_xor_b64 s[36:37], exec, s[40:41]
	s_cbranch_execz .LBB2_544
; %bb.535:                              ;   in Loop: Header=BB2_353 Depth=4
	v_mov_b32_e32 v18, 0
	v_cmp_ne_u32_e64 s[28:29], 0, v1
	s_and_saveexec_b64 s[38:39], s[28:29]
	s_cbranch_execz .LBB2_543
; %bb.536:                              ;   in Loop: Header=BB2_353 Depth=4
	v_bfe_u32 v1, v1, 23, 8
	v_cmp_gt_u32_e64 s[40:41], s44, v1
	v_sub_u32_e32 v4, 0x71, v1
	v_cmp_eq_u32_e64 s[28:29], 0, v1
	v_cndmask_b32_e64 v4, 0, v4, s[40:41]
	v_mov_b32_e32 v16, 0x70
	v_cndmask_b32_e64 v18, v4, v16, s[28:29]
	v_or_b32_e32 v5, 0x800000, v2
	v_add_u32_e32 v4, 21, v18
	v_cndmask_b32_e64 v2, v5, v2, s[28:29]
	v_lshlrev_b64 v[4:5], v4, -1
	v_add_u32_e32 v16, 20, v18
	v_lshlrev_b64 v[16:17], v16, 1
	v_bfi_b32 v5, v5, 0, 0
	v_bfi_b32 v4, v4, 0, v2
	v_cmp_eq_u64_e64 s[40:41], v[4:5], v[16:17]
	v_lshrrev_b64 v[16:17], v18, v[2:3]
	v_mov_b32_e32 v4, v16
	v_mov_b32_e32 v5, v17
	s_and_saveexec_b64 s[48:49], s[40:41]
; %bb.537:                              ;   in Loop: Header=BB2_353 Depth=4
	v_bfe_u32 v2, v16, 21, 1
	v_add_co_u32_e64 v2, s[40:41], v16, v2
	v_add_co_u32_e64 v4, s[40:41], -1, v2
; %bb.538:                              ;   in Loop: Header=BB2_353 Depth=4
	s_or_b64 exec, exec, s[48:49]
	v_add_u32_e32 v1, 0xffffff81, v1
	v_mov_b32_e32 v2, 0xffffff82
	v_cndmask_b32_e64 v1, v1, v2, s[28:29]
	v_lshrrev_b32_e32 v2, 23, v16
	v_add3_u32 v18, v18, v1, v2
	v_add_u32_e32 v5, 14, v18
	v_and_b32_e32 v1, 0x1fffff, v4
	v_add_u32_e32 v2, v1, v16
	v_cmp_ne_u32_e64 s[28:29], 0, v5
                                        ; implicit-def: $vgpr16_vgpr17
                                        ; implicit-def: $vgpr1
	s_and_saveexec_b64 s[40:41], s[28:29]
	s_xor_b64 s[40:41], exec, s[40:41]
; %bb.539:                              ;   in Loop: Header=BB2_353 Depth=4
	v_cmp_lt_u64_e64 s[28:29], s[88:89], v[2:3]
	v_add_u32_e32 v1, 15, v18
	v_cndmask_b32_e64 v4, 0, 1, s[28:29]
	v_cndmask_b32_e64 v1, v5, v1, s[28:29]
	v_lshrrev_b64 v[16:17], v4, v[2:3]
; %bb.540:                              ;   in Loop: Header=BB2_353 Depth=4
	s_andn2_saveexec_b64 s[28:29], s[40:41]
; %bb.541:                              ;   in Loop: Header=BB2_353 Depth=4
	v_mov_b32_e32 v17, v3
	v_bfe_u32 v1, v2, 23, 1
	v_mov_b32_e32 v16, v2
; %bb.542:                              ;   in Loop: Header=BB2_353 Depth=4
	s_or_b64 exec, exec, s[28:29]
	v_lshrrev_b64 v[4:5], 21, v[16:17]
	v_cmp_gt_i32_e64 s[28:29], 32, v1
	v_cndmask_b32_e64 v5, 0, v5, s[28:29]
	v_cndmask_b32_e64 v4, 3, v4, s[28:29]
	v_cmp_eq_u32_e64 s[28:29], 0, v1
	v_min_i32_e32 v1, 31, v1
	v_cmp_eq_u64_e64 s[40:41], 0, v[4:5]
	v_lshlrev_b32_e32 v1, 2, v1
	v_and_b32_e32 v1, 0xfc, v1
	v_and_or_b32 v1, v4, 3, v1
	s_and_b64 s[28:29], s[28:29], s[40:41]
	v_cndmask_b32_e64 v1, v1, 0, s[28:29]
	v_or_b32_e32 v18, v1, v24
.LBB2_543:                              ;   in Loop: Header=BB2_353 Depth=4
	s_or_b64 exec, exec, s[38:39]
                                        ; implicit-def: $vgpr24
.LBB2_544:                              ;   in Loop: Header=BB2_353 Depth=4
	s_andn2_saveexec_b64 s[28:29], s[36:37]
; %bb.545:                              ;   in Loop: Header=BB2_353 Depth=4
	v_or_b32_e32 v18, 0x7b, v24
; %bb.546:                              ;   in Loop: Header=BB2_353 Depth=4
	s_or_b64 exec, exec, s[28:29]
                                        ; implicit-def: $vgpr1
.LBB2_547:                              ;   in Loop: Header=BB2_353 Depth=4
	s_andn2_saveexec_b64 s[40:41], s[42:43]
	s_cbranch_execz .LBB2_553
; %bb.548:                              ;   in Loop: Header=BB2_353 Depth=4
	v_cmp_ne_u64_e64 s[28:29], 0, v[2:3]
                                        ; implicit-def: $vgpr18
	s_and_saveexec_b64 s[42:43], s[28:29]
	s_xor_b64 s[28:29], exec, s[42:43]
; %bb.549:                              ;   in Loop: Header=BB2_353 Depth=4
	v_or_b32_sdwa v18, v1, s81 dst_sel:DWORD dst_unused:UNUSED_PAD src0_sel:BYTE_3 src1_sel:DWORD
                                        ; implicit-def: $vgpr1
; %bb.550:                              ;   in Loop: Header=BB2_353 Depth=4
	s_andn2_saveexec_b64 s[42:43], s[28:29]
; %bb.551:                              ;   in Loop: Header=BB2_353 Depth=4
	v_cmp_lt_i32_e64 s[28:29], -1, v1
	v_cndmask_b32_e64 v18, v0, v49, s[28:29]
; %bb.552:                              ;   in Loop: Header=BB2_353 Depth=4
	s_or_b64 exec, exec, s[42:43]
.LBB2_553:                              ;   in Loop: Header=BB2_353 Depth=4
	s_or_b64 exec, exec, s[40:41]
	v_lshrrev_b32_e32 v2, 16, v13
	v_cmp_ne_u16_sdwa s[28:29], v2, v3 src0_sel:BYTE_0 src1_sel:DWORD
	v_mov_b32_e32 v1, 0
	s_and_saveexec_b64 s[40:41], s[28:29]
	s_cbranch_execz .LBB2_561
; %bb.554:                              ;   in Loop: Header=BB2_353 Depth=4
	v_cmp_ne_u16_sdwa s[28:29], v2, s82 src0_sel:BYTE_0 src1_sel:DWORD
	v_bfrev_b32_e32 v1, 1
	s_and_saveexec_b64 s[42:43], s[28:29]
	s_cbranch_execz .LBB2_560
; %bb.555:                              ;   in Loop: Header=BB2_353 Depth=4
	v_and_b32_e32 v1, 0x7c0000, v13
	v_bfe_u32 v4, v13, 16, 2
	v_cmp_ne_u32_e64 s[28:29], s45, v1
                                        ; implicit-def: $vgpr1
	s_and_saveexec_b64 s[36:37], s[28:29]
	s_xor_b64 s[36:37], exec, s[36:37]
	s_cbranch_execz .LBB2_557
; %bb.556:                              ;   in Loop: Header=BB2_353 Depth=4
	v_ffbh_u32_e32 v1, v4
	v_min_u32_e32 v16, 32, v1
	v_subrev_u32_e32 v1, 29, v16
	v_lshlrev_b64 v[1:2], v1, v[2:3]
	v_bfe_u32 v5, v13, 18, 5
	v_and_b32_e32 v1, 3, v1
	v_cmp_eq_u32_e64 s[28:29], 0, v5
	v_sub_u32_e32 v2, 30, v16
	v_cndmask_b32_e64 v1, v4, v1, s[28:29]
	v_lshlrev_b32_e32 v4, 8, v13
	v_cndmask_b32_e64 v2, v5, v2, s[28:29]
	v_and_b32_e32 v4, 0x80000000, v4
	v_lshl_add_u32 v2, v2, 23, v4
	v_lshl_or_b32 v1, v1, 21, v2
	v_add_u32_e32 v1, 0x38000000, v1
                                        ; implicit-def: $vgpr4
                                        ; implicit-def: $vgpr2
.LBB2_557:                              ;   in Loop: Header=BB2_353 Depth=4
	s_andn2_saveexec_b64 s[36:37], s[36:37]
; %bb.558:                              ;   in Loop: Header=BB2_353 Depth=4
	v_cmp_gt_i16_sdwa s[28:29], sext(v2), v26 src0_sel:BYTE_0 src1_sel:DWORD
	v_cndmask_b32_e64 v1, v27, v6, s[28:29]
	v_cmp_eq_u32_e64 s[28:29], 0, v4
	v_cndmask_b32_e64 v1, v7, v1, s[28:29]
; %bb.559:                              ;   in Loop: Header=BB2_353 Depth=4
	s_or_b64 exec, exec, s[36:37]
.LBB2_560:                              ;   in Loop: Header=BB2_353 Depth=4
	s_or_b64 exec, exec, s[42:43]
.LBB2_561:                              ;   in Loop: Header=BB2_353 Depth=4
	s_or_b64 exec, exec, s[40:41]
	v_lshrrev_b32_e32 v2, 16, v9
	v_cmp_gt_i16_sdwa s[40:41], v2, s81 src0_sel:BYTE_0 src1_sel:DWORD
	s_mov_b64 s[28:29], 0
	s_and_saveexec_b64 s[42:43], s[40:41]
	s_xor_b64 s[40:41], exec, s[42:43]
	s_cbranch_execz .LBB2_884
; %bb.562:                              ;   in Loop: Header=BB2_353 Depth=4
	v_cmp_eq_u16_sdwa s[36:37], v2, s82 src0_sel:BYTE_0 src1_sel:DWORD
	s_mov_b64 s[28:29], -1
	s_and_saveexec_b64 s[42:43], s[36:37]
; %bb.563:                              ;   in Loop: Header=BB2_353 Depth=4
	s_xor_b64 s[28:29], exec, -1
; %bb.564:                              ;   in Loop: Header=BB2_353 Depth=4
	s_or_b64 exec, exec, s[42:43]
	s_and_b64 s[28:29], s[28:29], exec
	s_or_saveexec_b64 s[40:41], s[40:41]
	v_bfrev_b32_e32 v4, 1
	s_xor_b64 exec, exec, s[40:41]
	s_cbranch_execnz .LBB2_885
.LBB2_565:                              ;   in Loop: Header=BB2_353 Depth=4
	s_or_b64 exec, exec, s[40:41]
	s_and_saveexec_b64 s[36:37], s[28:29]
	s_cbranch_execz .LBB2_567
.LBB2_566:                              ;   in Loop: Header=BB2_353 Depth=4
	v_and_b32_e32 v16, 3, v2
	v_and_b32_e32 v4, 0x7c0000, v9
	v_cmp_eq_u32_e64 s[28:29], s45, v4
	v_ffbh_u32_e32 v4, v16
	v_min_u32_e32 v24, 32, v4
	v_subrev_u32_e32 v4, 29, v24
	v_bfe_u32 v17, v9, 18, 5
	v_lshlrev_b64 v[4:5], v4, v[2:3]
	v_cmp_eq_u32_e64 s[40:41], 0, v17
	v_sub_u32_e32 v5, 30, v24
	v_cndmask_b32_e64 v5, v17, v5, s[40:41]
	v_lshlrev_b32_e32 v17, 24, v2
	v_and_b32_e32 v4, 3, v4
	v_and_b32_e32 v17, 0x80000000, v17
	v_cndmask_b32_e64 v4, v16, v4, s[40:41]
	v_lshl_add_u32 v5, v5, 23, v17
	v_cmp_gt_i16_sdwa s[42:43], sext(v2), v26 src0_sel:BYTE_0 src1_sel:DWORD
	v_lshl_or_b32 v4, v4, 21, v5
	v_cmp_eq_u32_e64 s[40:41], 0, v16
	v_cndmask_b32_e64 v2, v27, v6, s[42:43]
	v_add_u32_e32 v4, 0x38000000, v4
	v_cndmask_b32_e64 v2, v7, v2, s[40:41]
	v_cndmask_b32_e64 v4, v4, v2, s[28:29]
.LBB2_567:                              ;   in Loop: Header=BB2_353 Depth=4
	s_or_b64 exec, exec, s[36:37]
	v_mul_f32_e32 v1, v1, v4
	v_and_b32_e32 v4, 0x7f800000, v1
	v_mov_b32_e32 v5, v3
	v_cmp_ne_u64_e64 s[28:29], s[62:63], v[4:5]
	v_and_b32_e32 v2, 0x7fffff, v1
                                        ; implicit-def: $vgpr16
	s_and_saveexec_b64 s[40:41], s[28:29]
	s_xor_b64 s[42:43], exec, s[40:41]
	s_cbranch_execz .LBB2_581
; %bb.568:                              ;   in Loop: Header=BB2_353 Depth=4
	v_and_b32_e32 v4, 0x7fffffff, v1
	v_mov_b32_e32 v5, v3
	v_cmp_gt_u64_e64 s[28:29], s[78:79], v[4:5]
	v_and_b32_sdwa v24, v1, s82 dst_sel:DWORD dst_unused:UNUSED_PAD src0_sel:BYTE_3 src1_sel:DWORD
                                        ; implicit-def: $vgpr16
	s_and_saveexec_b64 s[40:41], s[28:29]
	s_xor_b64 s[36:37], exec, s[40:41]
	s_cbranch_execz .LBB2_578
; %bb.569:                              ;   in Loop: Header=BB2_353 Depth=4
	v_mov_b32_e32 v16, 0
	v_cmp_ne_u32_e64 s[28:29], 0, v1
	s_and_saveexec_b64 s[38:39], s[28:29]
	s_cbranch_execz .LBB2_577
; %bb.570:                              ;   in Loop: Header=BB2_353 Depth=4
	v_bfe_u32 v1, v1, 23, 8
	v_cmp_gt_u32_e64 s[40:41], s44, v1
	v_sub_u32_e32 v4, 0x71, v1
	v_cmp_eq_u32_e64 s[28:29], 0, v1
	v_cndmask_b32_e64 v4, 0, v4, s[40:41]
	v_mov_b32_e32 v16, 0x70
	v_cndmask_b32_e64 v25, v4, v16, s[28:29]
	v_or_b32_e32 v5, 0x800000, v2
	v_add_u32_e32 v4, 21, v25
	v_cndmask_b32_e64 v2, v5, v2, s[28:29]
	v_lshlrev_b64 v[4:5], v4, -1
	v_add_u32_e32 v16, 20, v25
	v_lshlrev_b64 v[16:17], v16, 1
	v_bfi_b32 v5, v5, 0, 0
	v_bfi_b32 v4, v4, 0, v2
	v_cmp_eq_u64_e64 s[40:41], v[4:5], v[16:17]
	v_lshrrev_b64 v[16:17], v25, v[2:3]
	v_mov_b32_e32 v4, v16
	v_mov_b32_e32 v5, v17
	s_and_saveexec_b64 s[48:49], s[40:41]
; %bb.571:                              ;   in Loop: Header=BB2_353 Depth=4
	v_bfe_u32 v2, v16, 21, 1
	v_add_co_u32_e64 v2, s[40:41], v16, v2
	v_add_co_u32_e64 v4, s[40:41], -1, v2
; %bb.572:                              ;   in Loop: Header=BB2_353 Depth=4
	s_or_b64 exec, exec, s[48:49]
	v_add_u32_e32 v1, 0xffffff81, v1
	v_mov_b32_e32 v2, 0xffffff82
	v_cndmask_b32_e64 v1, v1, v2, s[28:29]
	v_lshrrev_b32_e32 v2, 23, v16
	v_add3_u32 v25, v25, v1, v2
	v_add_u32_e32 v5, 14, v25
	v_and_b32_e32 v1, 0x1fffff, v4
	v_add_u32_e32 v2, v1, v16
	v_cmp_ne_u32_e64 s[28:29], 0, v5
                                        ; implicit-def: $vgpr16_vgpr17
                                        ; implicit-def: $vgpr1
	s_and_saveexec_b64 s[40:41], s[28:29]
	s_xor_b64 s[40:41], exec, s[40:41]
; %bb.573:                              ;   in Loop: Header=BB2_353 Depth=4
	v_cmp_lt_u64_e64 s[28:29], s[88:89], v[2:3]
	v_add_u32_e32 v1, 15, v25
	v_cndmask_b32_e64 v4, 0, 1, s[28:29]
	v_cndmask_b32_e64 v1, v5, v1, s[28:29]
	v_lshrrev_b64 v[16:17], v4, v[2:3]
; %bb.574:                              ;   in Loop: Header=BB2_353 Depth=4
	s_andn2_saveexec_b64 s[28:29], s[40:41]
; %bb.575:                              ;   in Loop: Header=BB2_353 Depth=4
	v_mov_b32_e32 v17, v3
	v_bfe_u32 v1, v2, 23, 1
	v_mov_b32_e32 v16, v2
; %bb.576:                              ;   in Loop: Header=BB2_353 Depth=4
	s_or_b64 exec, exec, s[28:29]
	v_lshrrev_b64 v[4:5], 21, v[16:17]
	v_cmp_gt_i32_e64 s[28:29], 32, v1
	v_cndmask_b32_e64 v5, 0, v5, s[28:29]
	v_cndmask_b32_e64 v4, 3, v4, s[28:29]
	v_cmp_eq_u32_e64 s[28:29], 0, v1
	v_min_i32_e32 v1, 31, v1
	v_cmp_eq_u64_e64 s[40:41], 0, v[4:5]
	v_lshlrev_b32_e32 v1, 2, v1
	v_and_b32_e32 v1, 0xfc, v1
	v_and_or_b32 v1, v4, 3, v1
	s_and_b64 s[28:29], s[28:29], s[40:41]
	v_cndmask_b32_e64 v1, v1, 0, s[28:29]
	v_or_b32_e32 v16, v1, v24
.LBB2_577:                              ;   in Loop: Header=BB2_353 Depth=4
	s_or_b64 exec, exec, s[38:39]
                                        ; implicit-def: $vgpr24
.LBB2_578:                              ;   in Loop: Header=BB2_353 Depth=4
	s_andn2_saveexec_b64 s[28:29], s[36:37]
; %bb.579:                              ;   in Loop: Header=BB2_353 Depth=4
	v_or_b32_e32 v16, 0x7b, v24
; %bb.580:                              ;   in Loop: Header=BB2_353 Depth=4
	s_or_b64 exec, exec, s[28:29]
                                        ; implicit-def: $vgpr1
.LBB2_581:                              ;   in Loop: Header=BB2_353 Depth=4
	s_andn2_saveexec_b64 s[40:41], s[42:43]
	s_cbranch_execz .LBB2_587
; %bb.582:                              ;   in Loop: Header=BB2_353 Depth=4
	v_cmp_ne_u64_e64 s[28:29], 0, v[2:3]
                                        ; implicit-def: $vgpr16
	s_and_saveexec_b64 s[42:43], s[28:29]
	s_xor_b64 s[28:29], exec, s[42:43]
; %bb.583:                              ;   in Loop: Header=BB2_353 Depth=4
	v_or_b32_sdwa v16, v1, s81 dst_sel:DWORD dst_unused:UNUSED_PAD src0_sel:BYTE_3 src1_sel:DWORD
                                        ; implicit-def: $vgpr1
; %bb.584:                              ;   in Loop: Header=BB2_353 Depth=4
	s_andn2_saveexec_b64 s[42:43], s[28:29]
; %bb.585:                              ;   in Loop: Header=BB2_353 Depth=4
	v_cmp_lt_i32_e64 s[28:29], -1, v1
	v_cndmask_b32_e64 v16, v0, v49, s[28:29]
; %bb.586:                              ;   in Loop: Header=BB2_353 Depth=4
	s_or_b64 exec, exec, s[42:43]
.LBB2_587:                              ;   in Loop: Header=BB2_353 Depth=4
	s_or_b64 exec, exec, s[40:41]
	v_cmp_lt_u64_e64 s[28:29], s[56:57], v[12:13]
	v_mov_b32_e32 v1, 0
	s_and_saveexec_b64 s[40:41], s[28:29]
	s_cbranch_execz .LBB2_595
; %bb.588:                              ;   in Loop: Header=BB2_353 Depth=4
	v_lshrrev_b32_e32 v2, 24, v13
	v_cmp_ne_u32_e64 s[28:29], s82, v2
	v_bfrev_b32_e32 v1, 1
	s_and_saveexec_b64 s[42:43], s[28:29]
	s_cbranch_execz .LBB2_594
; %bb.589:                              ;   in Loop: Header=BB2_353 Depth=4
	v_and_b32_e32 v1, 0x7c000000, v13
	v_bfe_u32 v4, v13, 24, 2
	v_cmp_ne_u32_e64 s[28:29], s83, v1
                                        ; implicit-def: $vgpr1
	s_and_saveexec_b64 s[36:37], s[28:29]
	s_xor_b64 s[36:37], exec, s[36:37]
	s_cbranch_execz .LBB2_591
; %bb.590:                              ;   in Loop: Header=BB2_353 Depth=4
	v_ffbh_u32_e32 v1, v4
	v_min_u32_e32 v17, 32, v1
	v_subrev_u32_e32 v1, 29, v17
	v_lshlrev_b64 v[1:2], v1, v[2:3]
	v_bfe_u32 v5, v13, 26, 5
	v_sub_u32_e32 v2, 30, v17
	v_and_b32_e32 v1, 3, v1
	v_cmp_eq_u32_e64 s[28:29], 0, v5
	v_cndmask_b32_e64 v2, v5, v2, s[28:29]
	v_cndmask_b32_e64 v1, v4, v1, s[28:29]
	v_and_b32_e32 v4, 0x80000000, v13
	v_lshl_add_u32 v2, v2, 23, v4
	v_lshl_or_b32 v1, v1, 21, v2
	v_add_u32_e32 v1, 0x38000000, v1
                                        ; implicit-def: $vgpr4
.LBB2_591:                              ;   in Loop: Header=BB2_353 Depth=4
	s_andn2_saveexec_b64 s[36:37], s[36:37]
; %bb.592:                              ;   in Loop: Header=BB2_353 Depth=4
	v_cmp_lt_i64_e64 s[28:29], -1, v[12:13]
	v_cndmask_b32_e64 v1, v27, v6, s[28:29]
	v_cmp_eq_u32_e64 s[28:29], 0, v4
	v_cndmask_b32_e64 v1, v7, v1, s[28:29]
; %bb.593:                              ;   in Loop: Header=BB2_353 Depth=4
	s_or_b64 exec, exec, s[36:37]
.LBB2_594:                              ;   in Loop: Header=BB2_353 Depth=4
	s_or_b64 exec, exec, s[42:43]
.LBB2_595:                              ;   in Loop: Header=BB2_353 Depth=4
	s_or_b64 exec, exec, s[40:41]
	v_bfe_u32 v12, v9, 24, 2
	v_and_b32_e32 v4, 0x7c000000, v9
	v_cmp_eq_u32_e64 s[28:29], s83, v4
	v_ffbh_u32_e32 v4, v12
	v_min_u32_e32 v17, 32, v4
	v_lshrrev_b32_e32 v2, 24, v9
	v_subrev_u32_e32 v4, 29, v17
	v_bfe_u32 v13, v9, 26, 5
	v_lshlrev_b64 v[4:5], v4, v[2:3]
	v_cmp_eq_u32_e64 s[40:41], 0, v13
	v_sub_u32_e32 v5, 30, v17
	v_and_b32_e32 v4, 3, v4
	v_cndmask_b32_e64 v5, v13, v5, s[40:41]
	v_and_b32_e32 v13, 0x80000000, v9
	v_cmp_lt_i64_e64 s[42:43], -1, v[8:9]
	v_cndmask_b32_e64 v4, v12, v4, s[40:41]
	v_lshl_add_u32 v5, v5, 23, v13
	v_lshl_or_b32 v4, v4, 21, v5
	v_cmp_eq_u32_e64 s[40:41], 0, v12
	v_cndmask_b32_e64 v5, v27, v6, s[42:43]
	v_add_u32_e32 v4, 0x38000000, v4
	v_cndmask_b32_e64 v5, v7, v5, s[40:41]
	v_cndmask_b32_e64 v4, v4, v5, s[28:29]
	v_cmp_ne_u32_e64 s[28:29], s82, v2
	v_cndmask_b32_e64 v2, v53, v4, s[28:29]
	v_cmp_lt_u64_e64 s[28:29], s[56:57], v[8:9]
	v_mov_b32_e32 v5, v3
	v_cndmask_b32_e64 v2, 0, v2, s[28:29]
	v_mul_f32_e32 v1, v2, v1
	v_and_b32_e32 v4, 0x7f800000, v1
	v_cmp_ne_u64_e64 s[28:29], s[62:63], v[4:5]
	v_and_b32_e32 v2, 0x7fffff, v1
                                        ; implicit-def: $vgpr17
	s_and_saveexec_b64 s[40:41], s[28:29]
	s_xor_b64 s[42:43], exec, s[40:41]
	s_cbranch_execz .LBB2_609
; %bb.596:                              ;   in Loop: Header=BB2_353 Depth=4
	v_and_b32_e32 v4, 0x7fffffff, v1
	v_mov_b32_e32 v5, v3
	v_cmp_gt_u64_e64 s[28:29], s[78:79], v[4:5]
	v_and_b32_sdwa v12, v1, s82 dst_sel:DWORD dst_unused:UNUSED_PAD src0_sel:BYTE_3 src1_sel:DWORD
                                        ; implicit-def: $vgpr17
	s_and_saveexec_b64 s[40:41], s[28:29]
	s_xor_b64 s[36:37], exec, s[40:41]
	s_cbranch_execz .LBB2_606
; %bb.597:                              ;   in Loop: Header=BB2_353 Depth=4
	v_mov_b32_e32 v17, 0
	v_cmp_ne_u32_e64 s[28:29], 0, v1
	s_and_saveexec_b64 s[38:39], s[28:29]
	s_cbranch_execz .LBB2_605
; %bb.598:                              ;   in Loop: Header=BB2_353 Depth=4
	v_bfe_u32 v1, v1, 23, 8
	v_cmp_gt_u32_e64 s[40:41], s44, v1
	v_sub_u32_e32 v4, 0x71, v1
	v_cmp_eq_u32_e64 s[28:29], 0, v1
	v_cndmask_b32_e64 v4, 0, v4, s[40:41]
	v_mov_b32_e32 v8, 0x70
	v_cndmask_b32_e64 v13, v4, v8, s[28:29]
	v_or_b32_e32 v5, 0x800000, v2
	v_add_u32_e32 v4, 21, v13
	v_cndmask_b32_e64 v2, v5, v2, s[28:29]
	v_lshlrev_b64 v[4:5], v4, -1
	v_add_u32_e32 v8, 20, v13
	v_lshlrev_b64 v[8:9], v8, 1
	v_bfi_b32 v5, v5, 0, 0
	v_bfi_b32 v4, v4, 0, v2
	v_cmp_eq_u64_e64 s[40:41], v[4:5], v[8:9]
	v_lshrrev_b64 v[8:9], v13, v[2:3]
	v_mov_b32_e32 v4, v8
	v_mov_b32_e32 v5, v9
	s_and_saveexec_b64 s[48:49], s[40:41]
; %bb.599:                              ;   in Loop: Header=BB2_353 Depth=4
	v_bfe_u32 v2, v8, 21, 1
	v_add_co_u32_e64 v2, s[40:41], v8, v2
	v_add_co_u32_e64 v4, s[40:41], -1, v2
; %bb.600:                              ;   in Loop: Header=BB2_353 Depth=4
	s_or_b64 exec, exec, s[48:49]
	v_add_u32_e32 v1, 0xffffff81, v1
	v_mov_b32_e32 v2, 0xffffff82
	v_cndmask_b32_e64 v1, v1, v2, s[28:29]
	v_lshrrev_b32_e32 v2, 23, v8
	v_add3_u32 v13, v13, v1, v2
	v_add_u32_e32 v5, 14, v13
	v_and_b32_e32 v1, 0x1fffff, v4
	v_add_u32_e32 v2, v1, v8
	v_cmp_ne_u32_e64 s[28:29], 0, v5
                                        ; implicit-def: $vgpr8_vgpr9
                                        ; implicit-def: $vgpr1
	s_and_saveexec_b64 s[40:41], s[28:29]
	s_xor_b64 s[40:41], exec, s[40:41]
; %bb.601:                              ;   in Loop: Header=BB2_353 Depth=4
	v_cmp_lt_u64_e64 s[28:29], s[88:89], v[2:3]
	v_add_u32_e32 v1, 15, v13
	v_cndmask_b32_e64 v4, 0, 1, s[28:29]
	v_cndmask_b32_e64 v1, v5, v1, s[28:29]
	v_lshrrev_b64 v[8:9], v4, v[2:3]
; %bb.602:                              ;   in Loop: Header=BB2_353 Depth=4
	s_andn2_saveexec_b64 s[28:29], s[40:41]
; %bb.603:                              ;   in Loop: Header=BB2_353 Depth=4
	v_mov_b32_e32 v9, v3
	v_bfe_u32 v1, v2, 23, 1
	v_mov_b32_e32 v8, v2
; %bb.604:                              ;   in Loop: Header=BB2_353 Depth=4
	s_or_b64 exec, exec, s[28:29]
	v_lshrrev_b64 v[4:5], 21, v[8:9]
	v_cmp_gt_i32_e64 s[28:29], 32, v1
	v_cndmask_b32_e64 v5, 0, v5, s[28:29]
	v_cndmask_b32_e64 v4, 3, v4, s[28:29]
	v_cmp_eq_u32_e64 s[28:29], 0, v1
	v_min_i32_e32 v1, 31, v1
	v_cmp_eq_u64_e64 s[40:41], 0, v[4:5]
	v_lshlrev_b32_e32 v1, 2, v1
	v_and_b32_e32 v1, 0xfc, v1
	v_and_or_b32 v1, v4, 3, v1
	s_and_b64 s[28:29], s[28:29], s[40:41]
	v_cndmask_b32_e64 v1, v1, 0, s[28:29]
	v_or_b32_e32 v17, v1, v12
.LBB2_605:                              ;   in Loop: Header=BB2_353 Depth=4
	s_or_b64 exec, exec, s[38:39]
                                        ; implicit-def: $vgpr12
.LBB2_606:                              ;   in Loop: Header=BB2_353 Depth=4
	s_andn2_saveexec_b64 s[28:29], s[36:37]
; %bb.607:                              ;   in Loop: Header=BB2_353 Depth=4
	v_or_b32_e32 v17, 0x7b, v12
; %bb.608:                              ;   in Loop: Header=BB2_353 Depth=4
	s_or_b64 exec, exec, s[28:29]
                                        ; implicit-def: $vgpr1
.LBB2_609:                              ;   in Loop: Header=BB2_353 Depth=4
	s_andn2_saveexec_b64 s[40:41], s[42:43]
	s_cbranch_execz .LBB2_615
; %bb.610:                              ;   in Loop: Header=BB2_353 Depth=4
	v_cmp_ne_u64_e64 s[28:29], 0, v[2:3]
                                        ; implicit-def: $vgpr17
	s_and_saveexec_b64 s[42:43], s[28:29]
	s_xor_b64 s[28:29], exec, s[42:43]
; %bb.611:                              ;   in Loop: Header=BB2_353 Depth=4
	v_or_b32_sdwa v17, v1, s81 dst_sel:DWORD dst_unused:UNUSED_PAD src0_sel:BYTE_3 src1_sel:DWORD
                                        ; implicit-def: $vgpr1
; %bb.612:                              ;   in Loop: Header=BB2_353 Depth=4
	s_andn2_saveexec_b64 s[42:43], s[28:29]
; %bb.613:                              ;   in Loop: Header=BB2_353 Depth=4
	v_cmp_lt_i32_e64 s[28:29], -1, v1
	v_cndmask_b32_e64 v17, v0, v49, s[28:29]
; %bb.614:                              ;   in Loop: Header=BB2_353 Depth=4
	s_or_b64 exec, exec, s[42:43]
.LBB2_615:                              ;   in Loop: Header=BB2_353 Depth=4
	s_or_b64 exec, exec, s[40:41]
	v_cmp_ne_u16_sdwa s[28:29], v14, v3 src0_sel:BYTE_0 src1_sel:DWORD
	v_mov_b32_e32 v1, 0
	s_and_saveexec_b64 s[40:41], s[28:29]
	s_cbranch_execz .LBB2_623
; %bb.616:                              ;   in Loop: Header=BB2_353 Depth=4
	v_cmp_ne_u16_sdwa s[28:29], sext(v14), s70 src0_sel:BYTE_0 src1_sel:DWORD
	v_bfrev_b32_e32 v1, 1
	s_and_saveexec_b64 s[42:43], s[28:29]
	s_cbranch_execz .LBB2_622
; %bb.617:                              ;   in Loop: Header=BB2_353 Depth=4
	v_and_b32_e32 v1, 0x7c, v14
	v_and_b32_e32 v2, 3, v14
	v_cmp_ne_u32_e64 s[28:29], s71, v1
                                        ; implicit-def: $vgpr1
	s_and_saveexec_b64 s[36:37], s[28:29]
	s_xor_b64 s[36:37], exec, s[36:37]
	s_cbranch_execz .LBB2_619
; %bb.618:                              ;   in Loop: Header=BB2_353 Depth=4
	v_ffbh_u32_e32 v4, v2
	v_min_u32_e32 v8, 32, v4
	v_subrev_u32_e32 v4, 29, v8
	v_lshlrev_b64 v[4:5], v4, v[14:15]
	v_bfe_u32 v1, v14, 2, 5
	v_and_b32_e32 v4, 3, v4
	v_cmp_eq_u32_e64 s[28:29], 0, v1
	v_sub_u32_e32 v5, 30, v8
	v_cndmask_b32_e64 v2, v2, v4, s[28:29]
	v_lshlrev_b32_e32 v4, 24, v14
	v_cndmask_b32_e64 v1, v1, v5, s[28:29]
	v_and_b32_e32 v4, 0x80000000, v4
	v_lshl_add_u32 v1, v1, 23, v4
	v_lshl_or_b32 v1, v2, 21, v1
	v_add_u32_e32 v1, 0x38000000, v1
                                        ; implicit-def: $vgpr2
.LBB2_619:                              ;   in Loop: Header=BB2_353 Depth=4
	s_andn2_saveexec_b64 s[36:37], s[36:37]
; %bb.620:                              ;   in Loop: Header=BB2_353 Depth=4
	v_cmp_gt_i16_sdwa s[28:29], sext(v14), v26 src0_sel:BYTE_0 src1_sel:DWORD
	v_cndmask_b32_e64 v1, v27, v6, s[28:29]
	v_cmp_eq_u32_e64 s[28:29], 0, v2
	v_cndmask_b32_e64 v1, v7, v1, s[28:29]
; %bb.621:                              ;   in Loop: Header=BB2_353 Depth=4
	s_or_b64 exec, exec, s[36:37]
.LBB2_622:                              ;   in Loop: Header=BB2_353 Depth=4
	s_or_b64 exec, exec, s[42:43]
.LBB2_623:                              ;   in Loop: Header=BB2_353 Depth=4
	s_or_b64 exec, exec, s[40:41]
	v_cmp_gt_i16_sdwa s[40:41], v10, s81 src0_sel:BYTE_0 src1_sel:DWORD
	s_mov_b64 s[28:29], 0
	s_and_saveexec_b64 s[42:43], s[40:41]
	s_xor_b64 s[40:41], exec, s[42:43]
	s_cbranch_execz .LBB2_886
; %bb.624:                              ;   in Loop: Header=BB2_353 Depth=4
	v_cmp_eq_u16_sdwa s[36:37], v10, s82 src0_sel:BYTE_0 src1_sel:DWORD
	s_mov_b64 s[28:29], -1
	s_and_saveexec_b64 s[42:43], s[36:37]
; %bb.625:                              ;   in Loop: Header=BB2_353 Depth=4
	s_xor_b64 s[28:29], exec, -1
; %bb.626:                              ;   in Loop: Header=BB2_353 Depth=4
	s_or_b64 exec, exec, s[42:43]
	s_and_b64 s[28:29], s[28:29], exec
	s_or_saveexec_b64 s[40:41], s[40:41]
	v_bfrev_b32_e32 v2, 1
	s_xor_b64 exec, exec, s[40:41]
	s_cbranch_execnz .LBB2_887
.LBB2_627:                              ;   in Loop: Header=BB2_353 Depth=4
	s_or_b64 exec, exec, s[40:41]
	s_and_saveexec_b64 s[36:37], s[28:29]
	s_cbranch_execz .LBB2_629
.LBB2_628:                              ;   in Loop: Header=BB2_353 Depth=4
	v_and_b32_e32 v2, 3, v10
	v_and_b32_e32 v4, 0x7c, v10
	v_cmp_eq_u32_e64 s[28:29], s71, v4
	v_ffbh_u32_e32 v4, v2
	v_min_u32_e32 v9, 32, v4
	v_subrev_u32_e32 v4, 29, v9
	v_bfe_u32 v8, v10, 2, 5
	v_lshlrev_b64 v[4:5], v4, v[10:11]
	v_cmp_eq_u32_e64 s[40:41], 0, v8
	v_sub_u32_e32 v5, 30, v9
	v_cndmask_b32_e64 v5, v8, v5, s[40:41]
	v_lshlrev_b32_e32 v8, 24, v10
	v_and_b32_e32 v4, 3, v4
	v_and_b32_e32 v8, 0x80000000, v8
	v_cndmask_b32_e64 v4, v2, v4, s[40:41]
	v_lshl_add_u32 v5, v5, 23, v8
	v_cmp_gt_i16_sdwa s[42:43], sext(v10), v26 src0_sel:BYTE_0 src1_sel:DWORD
	v_lshl_or_b32 v4, v4, 21, v5
	v_cmp_eq_u32_e64 s[40:41], 0, v2
	v_cndmask_b32_e64 v2, v27, v6, s[42:43]
	v_add_u32_e32 v4, 0x38000000, v4
	v_cndmask_b32_e64 v2, v7, v2, s[40:41]
	v_cndmask_b32_e64 v2, v4, v2, s[28:29]
.LBB2_629:                              ;   in Loop: Header=BB2_353 Depth=4
	s_or_b64 exec, exec, s[36:37]
	v_mul_f32_e32 v1, v1, v2
	v_and_b32_e32 v4, 0x7f800000, v1
	v_mov_b32_e32 v5, v3
	v_cmp_ne_u64_e64 s[28:29], s[62:63], v[4:5]
	v_and_b32_e32 v2, 0x7fffff, v1
                                        ; implicit-def: $vgpr24
	s_and_saveexec_b64 s[40:41], s[28:29]
	s_xor_b64 s[42:43], exec, s[40:41]
	s_cbranch_execz .LBB2_643
; %bb.630:                              ;   in Loop: Header=BB2_353 Depth=4
	v_and_b32_e32 v4, 0x7fffffff, v1
	v_mov_b32_e32 v5, v3
	v_cmp_gt_u64_e64 s[28:29], s[78:79], v[4:5]
	v_and_b32_sdwa v12, v1, s82 dst_sel:DWORD dst_unused:UNUSED_PAD src0_sel:BYTE_3 src1_sel:DWORD
                                        ; implicit-def: $vgpr24
	s_and_saveexec_b64 s[40:41], s[28:29]
	s_xor_b64 s[36:37], exec, s[40:41]
	s_cbranch_execz .LBB2_640
; %bb.631:                              ;   in Loop: Header=BB2_353 Depth=4
	v_mov_b32_e32 v24, 0
	v_cmp_ne_u32_e64 s[28:29], 0, v1
	s_and_saveexec_b64 s[38:39], s[28:29]
	s_cbranch_execz .LBB2_639
; %bb.632:                              ;   in Loop: Header=BB2_353 Depth=4
	v_bfe_u32 v1, v1, 23, 8
	v_cmp_gt_u32_e64 s[40:41], s44, v1
	v_sub_u32_e32 v4, 0x71, v1
	v_cmp_eq_u32_e64 s[28:29], 0, v1
	v_cndmask_b32_e64 v4, 0, v4, s[40:41]
	v_mov_b32_e32 v8, 0x70
	v_cndmask_b32_e64 v13, v4, v8, s[28:29]
	v_or_b32_e32 v5, 0x800000, v2
	v_add_u32_e32 v4, 21, v13
	v_cndmask_b32_e64 v2, v5, v2, s[28:29]
	v_lshlrev_b64 v[4:5], v4, -1
	v_add_u32_e32 v8, 20, v13
	v_lshlrev_b64 v[8:9], v8, 1
	v_bfi_b32 v5, v5, 0, 0
	v_bfi_b32 v4, v4, 0, v2
	v_cmp_eq_u64_e64 s[40:41], v[4:5], v[8:9]
	v_lshrrev_b64 v[8:9], v13, v[2:3]
	v_mov_b32_e32 v4, v8
	v_mov_b32_e32 v5, v9
	s_and_saveexec_b64 s[48:49], s[40:41]
; %bb.633:                              ;   in Loop: Header=BB2_353 Depth=4
	v_bfe_u32 v2, v8, 21, 1
	v_add_co_u32_e64 v2, s[40:41], v8, v2
	v_add_co_u32_e64 v4, s[40:41], -1, v2
; %bb.634:                              ;   in Loop: Header=BB2_353 Depth=4
	s_or_b64 exec, exec, s[48:49]
	v_add_u32_e32 v1, 0xffffff81, v1
	v_mov_b32_e32 v2, 0xffffff82
	v_cndmask_b32_e64 v1, v1, v2, s[28:29]
	v_lshrrev_b32_e32 v2, 23, v8
	v_add3_u32 v13, v13, v1, v2
	v_add_u32_e32 v5, 14, v13
	v_and_b32_e32 v1, 0x1fffff, v4
	v_add_u32_e32 v2, v1, v8
	v_cmp_ne_u32_e64 s[28:29], 0, v5
                                        ; implicit-def: $vgpr8_vgpr9
                                        ; implicit-def: $vgpr1
	s_and_saveexec_b64 s[40:41], s[28:29]
	s_xor_b64 s[40:41], exec, s[40:41]
; %bb.635:                              ;   in Loop: Header=BB2_353 Depth=4
	v_cmp_lt_u64_e64 s[28:29], s[88:89], v[2:3]
	v_add_u32_e32 v1, 15, v13
	v_cndmask_b32_e64 v4, 0, 1, s[28:29]
	v_cndmask_b32_e64 v1, v5, v1, s[28:29]
	v_lshrrev_b64 v[8:9], v4, v[2:3]
; %bb.636:                              ;   in Loop: Header=BB2_353 Depth=4
	s_andn2_saveexec_b64 s[28:29], s[40:41]
; %bb.637:                              ;   in Loop: Header=BB2_353 Depth=4
	v_mov_b32_e32 v9, v3
	v_bfe_u32 v1, v2, 23, 1
	v_mov_b32_e32 v8, v2
; %bb.638:                              ;   in Loop: Header=BB2_353 Depth=4
	s_or_b64 exec, exec, s[28:29]
	v_lshrrev_b64 v[4:5], 21, v[8:9]
	v_cmp_gt_i32_e64 s[28:29], 32, v1
	v_cndmask_b32_e64 v5, 0, v5, s[28:29]
	v_cndmask_b32_e64 v4, 3, v4, s[28:29]
	v_cmp_eq_u32_e64 s[28:29], 0, v1
	v_min_i32_e32 v1, 31, v1
	v_cmp_eq_u64_e64 s[40:41], 0, v[4:5]
	v_lshlrev_b32_e32 v1, 2, v1
	v_and_b32_e32 v1, 0xfc, v1
	v_and_or_b32 v1, v4, 3, v1
	s_and_b64 s[28:29], s[28:29], s[40:41]
	v_cndmask_b32_e64 v1, v1, 0, s[28:29]
	v_or_b32_e32 v24, v1, v12
.LBB2_639:                              ;   in Loop: Header=BB2_353 Depth=4
	s_or_b64 exec, exec, s[38:39]
                                        ; implicit-def: $vgpr12
.LBB2_640:                              ;   in Loop: Header=BB2_353 Depth=4
	s_andn2_saveexec_b64 s[28:29], s[36:37]
; %bb.641:                              ;   in Loop: Header=BB2_353 Depth=4
	v_or_b32_e32 v24, 0x7b, v12
; %bb.642:                              ;   in Loop: Header=BB2_353 Depth=4
	s_or_b64 exec, exec, s[28:29]
                                        ; implicit-def: $vgpr1
.LBB2_643:                              ;   in Loop: Header=BB2_353 Depth=4
	s_andn2_saveexec_b64 s[40:41], s[42:43]
	s_cbranch_execz .LBB2_649
; %bb.644:                              ;   in Loop: Header=BB2_353 Depth=4
	v_cmp_ne_u64_e64 s[28:29], 0, v[2:3]
                                        ; implicit-def: $vgpr24
	s_and_saveexec_b64 s[42:43], s[28:29]
	s_xor_b64 s[28:29], exec, s[42:43]
; %bb.645:                              ;   in Loop: Header=BB2_353 Depth=4
	v_or_b32_sdwa v24, v1, s81 dst_sel:DWORD dst_unused:UNUSED_PAD src0_sel:BYTE_3 src1_sel:DWORD
                                        ; implicit-def: $vgpr1
; %bb.646:                              ;   in Loop: Header=BB2_353 Depth=4
	s_andn2_saveexec_b64 s[42:43], s[28:29]
; %bb.647:                              ;   in Loop: Header=BB2_353 Depth=4
	v_cmp_lt_i32_e64 s[28:29], -1, v1
	v_cndmask_b32_e64 v24, v0, v49, s[28:29]
; %bb.648:                              ;   in Loop: Header=BB2_353 Depth=4
	s_or_b64 exec, exec, s[42:43]
.LBB2_649:                              ;   in Loop: Header=BB2_353 Depth=4
	s_or_b64 exec, exec, s[40:41]
	v_lshrrev_b16_e32 v2, 8, v14
	v_cmp_ne_u16_e64 s[28:29], 0, v2
	v_mov_b32_e32 v1, 0
	s_and_saveexec_b64 s[40:41], s[28:29]
	s_cbranch_execz .LBB2_657
; %bb.650:                              ;   in Loop: Header=BB2_353 Depth=4
	v_cmp_ne_u16_e64 s[28:29], s82, v2
	v_bfrev_b32_e32 v1, 1
	s_and_saveexec_b64 s[42:43], s[28:29]
	s_cbranch_execz .LBB2_656
; %bb.651:                              ;   in Loop: Header=BB2_353 Depth=4
	v_and_b32_e32 v1, 0x7c, v2
	v_and_b32_e32 v4, 3, v2
	v_cmp_ne_u32_e64 s[28:29], s71, v1
                                        ; implicit-def: $vgpr1
	s_and_saveexec_b64 s[36:37], s[28:29]
	s_xor_b64 s[36:37], exec, s[36:37]
	s_cbranch_execz .LBB2_653
; %bb.652:                              ;   in Loop: Header=BB2_353 Depth=4
	v_ffbh_u32_e32 v1, v4
	v_min_u32_e32 v8, 32, v1
	v_subrev_u32_e32 v1, 29, v8
	v_bfe_u32 v5, v2, 2, 5
	v_lshlrev_b64 v[1:2], v1, v[2:3]
	v_cmp_eq_u32_e64 s[28:29], 0, v5
	v_and_b32_e32 v1, 3, v1
	v_sub_u32_e32 v2, 30, v8
	v_cndmask_b32_e64 v1, v4, v1, s[28:29]
	v_lshlrev_b32_e32 v4, 16, v14
	v_cndmask_b32_e64 v2, v5, v2, s[28:29]
	v_and_b32_e32 v4, 0x80000000, v4
	v_lshl_add_u32 v2, v2, 23, v4
	v_lshl_or_b32 v1, v1, 21, v2
	v_add_u32_e32 v1, 0x38000000, v1
                                        ; implicit-def: $vgpr4
.LBB2_653:                              ;   in Loop: Header=BB2_353 Depth=4
	s_andn2_saveexec_b64 s[36:37], s[36:37]
; %bb.654:                              ;   in Loop: Header=BB2_353 Depth=4
	v_cmp_lt_i16_e64 s[28:29], -1, v14
	v_cndmask_b32_e64 v1, v27, v6, s[28:29]
	v_cmp_eq_u32_e64 s[28:29], 0, v4
	v_cndmask_b32_e64 v1, v7, v1, s[28:29]
; %bb.655:                              ;   in Loop: Header=BB2_353 Depth=4
	s_or_b64 exec, exec, s[36:37]
.LBB2_656:                              ;   in Loop: Header=BB2_353 Depth=4
	s_or_b64 exec, exec, s[42:43]
.LBB2_657:                              ;   in Loop: Header=BB2_353 Depth=4
	s_or_b64 exec, exec, s[40:41]
	v_lshrrev_b16_e32 v2, 8, v10
	v_cmp_lt_i16_e64 s[28:29], s81, v2
	s_mov_b64 s[40:41], 0
	s_and_saveexec_b64 s[42:43], s[28:29]
	s_xor_b64 s[42:43], exec, s[42:43]
	s_cbranch_execz .LBB2_888
; %bb.658:                              ;   in Loop: Header=BB2_353 Depth=4
	v_cmp_eq_u16_e64 s[28:29], s82, v2
	s_mov_b64 s[40:41], -1
	s_and_saveexec_b64 s[36:37], s[28:29]
; %bb.659:                              ;   in Loop: Header=BB2_353 Depth=4
	s_xor_b64 s[40:41], exec, -1
; %bb.660:                              ;   in Loop: Header=BB2_353 Depth=4
	s_or_b64 exec, exec, s[36:37]
	s_and_b64 s[40:41], s[40:41], exec
	s_or_saveexec_b64 s[42:43], s[42:43]
	v_bfrev_b32_e32 v4, 1
	s_xor_b64 exec, exec, s[42:43]
	s_cbranch_execnz .LBB2_889
.LBB2_661:                              ;   in Loop: Header=BB2_353 Depth=4
	s_or_b64 exec, exec, s[42:43]
	s_and_saveexec_b64 s[36:37], s[40:41]
	s_cbranch_execz .LBB2_663
.LBB2_662:                              ;   in Loop: Header=BB2_353 Depth=4
	v_and_b32_e32 v8, 3, v2
	v_and_b32_e32 v4, 0x7c, v2
	v_cmp_eq_u32_e64 s[28:29], s71, v4
	v_ffbh_u32_e32 v4, v8
	v_min_u32_e32 v12, 32, v4
	v_subrev_u32_e32 v4, 29, v12
	v_bfe_u32 v9, v2, 2, 5
	v_lshlrev_b64 v[4:5], v4, v[2:3]
	v_cmp_eq_u32_e64 s[40:41], 0, v9
	v_sub_u32_e32 v5, 30, v12
	v_lshlrev_b32_e32 v2, 24, v2
	v_and_b32_e32 v4, 3, v4
	v_cndmask_b32_e64 v5, v9, v5, s[40:41]
	v_and_b32_e32 v2, 0x80000000, v2
	v_cndmask_b32_e64 v4, v8, v4, s[40:41]
	v_lshl_add_u32 v2, v5, 23, v2
	v_cmp_lt_i16_e64 s[42:43], -1, v10
	v_lshl_or_b32 v2, v4, 21, v2
	v_cmp_eq_u32_e64 s[40:41], 0, v8
	v_cndmask_b32_e64 v4, v27, v6, s[42:43]
	v_add_u32_e32 v2, 0x38000000, v2
	v_cndmask_b32_e64 v4, v7, v4, s[40:41]
	v_cndmask_b32_e64 v4, v2, v4, s[28:29]
.LBB2_663:                              ;   in Loop: Header=BB2_353 Depth=4
	s_or_b64 exec, exec, s[36:37]
	v_mul_f32_e32 v1, v1, v4
	v_and_b32_e32 v4, 0x7f800000, v1
	v_mov_b32_e32 v5, v3
	v_cmp_ne_u64_e64 s[28:29], s[62:63], v[4:5]
	v_and_b32_e32 v2, 0x7fffff, v1
                                        ; implicit-def: $vgpr25
	s_and_saveexec_b64 s[40:41], s[28:29]
	s_xor_b64 s[42:43], exec, s[40:41]
	s_cbranch_execz .LBB2_677
; %bb.664:                              ;   in Loop: Header=BB2_353 Depth=4
	v_and_b32_e32 v4, 0x7fffffff, v1
	v_mov_b32_e32 v5, v3
	v_cmp_gt_u64_e64 s[28:29], s[78:79], v[4:5]
	v_and_b32_sdwa v12, v1, s82 dst_sel:DWORD dst_unused:UNUSED_PAD src0_sel:BYTE_3 src1_sel:DWORD
                                        ; implicit-def: $vgpr25
	s_and_saveexec_b64 s[40:41], s[28:29]
	s_xor_b64 s[36:37], exec, s[40:41]
	s_cbranch_execz .LBB2_674
; %bb.665:                              ;   in Loop: Header=BB2_353 Depth=4
	v_mov_b32_e32 v25, 0
	v_cmp_ne_u32_e64 s[28:29], 0, v1
	s_and_saveexec_b64 s[38:39], s[28:29]
	s_cbranch_execz .LBB2_673
; %bb.666:                              ;   in Loop: Header=BB2_353 Depth=4
	v_bfe_u32 v1, v1, 23, 8
	v_cmp_gt_u32_e64 s[40:41], s44, v1
	v_sub_u32_e32 v4, 0x71, v1
	v_cmp_eq_u32_e64 s[28:29], 0, v1
	v_cndmask_b32_e64 v4, 0, v4, s[40:41]
	v_mov_b32_e32 v8, 0x70
	v_cndmask_b32_e64 v13, v4, v8, s[28:29]
	v_or_b32_e32 v5, 0x800000, v2
	v_add_u32_e32 v4, 21, v13
	v_cndmask_b32_e64 v2, v5, v2, s[28:29]
	v_lshlrev_b64 v[4:5], v4, -1
	v_add_u32_e32 v8, 20, v13
	v_lshlrev_b64 v[8:9], v8, 1
	v_bfi_b32 v5, v5, 0, 0
	v_bfi_b32 v4, v4, 0, v2
	v_cmp_eq_u64_e64 s[40:41], v[4:5], v[8:9]
	v_lshrrev_b64 v[8:9], v13, v[2:3]
	v_mov_b32_e32 v4, v8
	v_mov_b32_e32 v5, v9
	s_and_saveexec_b64 s[48:49], s[40:41]
; %bb.667:                              ;   in Loop: Header=BB2_353 Depth=4
	v_bfe_u32 v2, v8, 21, 1
	v_add_co_u32_e64 v2, s[40:41], v8, v2
	v_add_co_u32_e64 v4, s[40:41], -1, v2
; %bb.668:                              ;   in Loop: Header=BB2_353 Depth=4
	s_or_b64 exec, exec, s[48:49]
	v_add_u32_e32 v1, 0xffffff81, v1
	v_mov_b32_e32 v2, 0xffffff82
	v_cndmask_b32_e64 v1, v1, v2, s[28:29]
	v_lshrrev_b32_e32 v2, 23, v8
	v_add3_u32 v13, v13, v1, v2
	v_add_u32_e32 v5, 14, v13
	v_and_b32_e32 v1, 0x1fffff, v4
	v_add_u32_e32 v2, v1, v8
	v_cmp_ne_u32_e64 s[28:29], 0, v5
                                        ; implicit-def: $vgpr8_vgpr9
                                        ; implicit-def: $vgpr1
	s_and_saveexec_b64 s[40:41], s[28:29]
	s_xor_b64 s[40:41], exec, s[40:41]
; %bb.669:                              ;   in Loop: Header=BB2_353 Depth=4
	v_cmp_lt_u64_e64 s[28:29], s[88:89], v[2:3]
	v_add_u32_e32 v1, 15, v13
	v_cndmask_b32_e64 v4, 0, 1, s[28:29]
	v_cndmask_b32_e64 v1, v5, v1, s[28:29]
	v_lshrrev_b64 v[8:9], v4, v[2:3]
; %bb.670:                              ;   in Loop: Header=BB2_353 Depth=4
	s_andn2_saveexec_b64 s[28:29], s[40:41]
; %bb.671:                              ;   in Loop: Header=BB2_353 Depth=4
	v_mov_b32_e32 v9, v3
	v_bfe_u32 v1, v2, 23, 1
	v_mov_b32_e32 v8, v2
; %bb.672:                              ;   in Loop: Header=BB2_353 Depth=4
	s_or_b64 exec, exec, s[28:29]
	v_lshrrev_b64 v[4:5], 21, v[8:9]
	v_cmp_gt_i32_e64 s[28:29], 32, v1
	v_cndmask_b32_e64 v5, 0, v5, s[28:29]
	v_cndmask_b32_e64 v4, 3, v4, s[28:29]
	v_cmp_eq_u32_e64 s[28:29], 0, v1
	v_min_i32_e32 v1, 31, v1
	v_cmp_eq_u64_e64 s[40:41], 0, v[4:5]
	v_lshlrev_b32_e32 v1, 2, v1
	v_and_b32_e32 v1, 0xfc, v1
	v_and_or_b32 v1, v4, 3, v1
	s_and_b64 s[28:29], s[28:29], s[40:41]
	v_cndmask_b32_e64 v1, v1, 0, s[28:29]
	v_or_b32_e32 v25, v1, v12
.LBB2_673:                              ;   in Loop: Header=BB2_353 Depth=4
	s_or_b64 exec, exec, s[38:39]
                                        ; implicit-def: $vgpr12
.LBB2_674:                              ;   in Loop: Header=BB2_353 Depth=4
	s_andn2_saveexec_b64 s[28:29], s[36:37]
; %bb.675:                              ;   in Loop: Header=BB2_353 Depth=4
	v_or_b32_e32 v25, 0x7b, v12
; %bb.676:                              ;   in Loop: Header=BB2_353 Depth=4
	s_or_b64 exec, exec, s[28:29]
                                        ; implicit-def: $vgpr1
.LBB2_677:                              ;   in Loop: Header=BB2_353 Depth=4
	s_andn2_saveexec_b64 s[40:41], s[42:43]
	s_cbranch_execz .LBB2_683
; %bb.678:                              ;   in Loop: Header=BB2_353 Depth=4
	v_cmp_ne_u64_e64 s[28:29], 0, v[2:3]
                                        ; implicit-def: $vgpr25
	s_and_saveexec_b64 s[42:43], s[28:29]
	s_xor_b64 s[28:29], exec, s[42:43]
; %bb.679:                              ;   in Loop: Header=BB2_353 Depth=4
	v_or_b32_sdwa v25, v1, s81 dst_sel:DWORD dst_unused:UNUSED_PAD src0_sel:BYTE_3 src1_sel:DWORD
                                        ; implicit-def: $vgpr1
; %bb.680:                              ;   in Loop: Header=BB2_353 Depth=4
	s_andn2_saveexec_b64 s[42:43], s[28:29]
; %bb.681:                              ;   in Loop: Header=BB2_353 Depth=4
	v_cmp_lt_i32_e64 s[28:29], -1, v1
	v_cndmask_b32_e64 v25, v0, v49, s[28:29]
; %bb.682:                              ;   in Loop: Header=BB2_353 Depth=4
	s_or_b64 exec, exec, s[42:43]
.LBB2_683:                              ;   in Loop: Header=BB2_353 Depth=4
	s_or_b64 exec, exec, s[40:41]
	v_lshrrev_b32_e32 v2, 16, v14
	v_cmp_ne_u16_sdwa s[28:29], v2, v3 src0_sel:BYTE_0 src1_sel:DWORD
	v_mov_b32_e32 v1, 0
	s_and_saveexec_b64 s[40:41], s[28:29]
	s_cbranch_execz .LBB2_691
; %bb.684:                              ;   in Loop: Header=BB2_353 Depth=4
	v_cmp_ne_u16_sdwa s[28:29], v2, s82 src0_sel:BYTE_0 src1_sel:DWORD
	v_bfrev_b32_e32 v1, 1
	s_and_saveexec_b64 s[42:43], s[28:29]
	s_cbranch_execz .LBB2_690
; %bb.685:                              ;   in Loop: Header=BB2_353 Depth=4
	v_and_b32_e32 v1, 0x7c0000, v14
	v_bfe_u32 v4, v14, 16, 2
	v_cmp_ne_u32_e64 s[28:29], s45, v1
                                        ; implicit-def: $vgpr1
	s_and_saveexec_b64 s[36:37], s[28:29]
	s_xor_b64 s[36:37], exec, s[36:37]
	s_cbranch_execz .LBB2_687
; %bb.686:                              ;   in Loop: Header=BB2_353 Depth=4
	v_ffbh_u32_e32 v1, v4
	v_min_u32_e32 v8, 32, v1
	v_subrev_u32_e32 v1, 29, v8
	v_lshlrev_b64 v[1:2], v1, v[2:3]
	v_bfe_u32 v5, v14, 18, 5
	v_and_b32_e32 v1, 3, v1
	v_cmp_eq_u32_e64 s[28:29], 0, v5
	v_sub_u32_e32 v2, 30, v8
	v_cndmask_b32_e64 v1, v4, v1, s[28:29]
	v_lshlrev_b32_e32 v4, 8, v14
	v_cndmask_b32_e64 v2, v5, v2, s[28:29]
	v_and_b32_e32 v4, 0x80000000, v4
	v_lshl_add_u32 v2, v2, 23, v4
	v_lshl_or_b32 v1, v1, 21, v2
	v_add_u32_e32 v1, 0x38000000, v1
                                        ; implicit-def: $vgpr4
                                        ; implicit-def: $vgpr2
.LBB2_687:                              ;   in Loop: Header=BB2_353 Depth=4
	s_andn2_saveexec_b64 s[36:37], s[36:37]
; %bb.688:                              ;   in Loop: Header=BB2_353 Depth=4
	v_cmp_gt_i16_sdwa s[28:29], sext(v2), v26 src0_sel:BYTE_0 src1_sel:DWORD
	v_cndmask_b32_e64 v1, v27, v6, s[28:29]
	v_cmp_eq_u32_e64 s[28:29], 0, v4
	v_cndmask_b32_e64 v1, v7, v1, s[28:29]
; %bb.689:                              ;   in Loop: Header=BB2_353 Depth=4
	s_or_b64 exec, exec, s[36:37]
.LBB2_690:                              ;   in Loop: Header=BB2_353 Depth=4
	s_or_b64 exec, exec, s[42:43]
.LBB2_691:                              ;   in Loop: Header=BB2_353 Depth=4
	s_or_b64 exec, exec, s[40:41]
	v_lshrrev_b32_e32 v2, 16, v10
	v_cmp_gt_i16_sdwa s[40:41], v2, s81 src0_sel:BYTE_0 src1_sel:DWORD
	s_mov_b64 s[28:29], 0
	s_and_saveexec_b64 s[42:43], s[40:41]
	s_xor_b64 s[40:41], exec, s[42:43]
	s_cbranch_execz .LBB2_890
; %bb.692:                              ;   in Loop: Header=BB2_353 Depth=4
	v_cmp_eq_u16_sdwa s[36:37], v2, s82 src0_sel:BYTE_0 src1_sel:DWORD
	s_mov_b64 s[28:29], -1
	s_and_saveexec_b64 s[42:43], s[36:37]
; %bb.693:                              ;   in Loop: Header=BB2_353 Depth=4
	s_xor_b64 s[28:29], exec, -1
; %bb.694:                              ;   in Loop: Header=BB2_353 Depth=4
	s_or_b64 exec, exec, s[42:43]
	s_and_b64 s[28:29], s[28:29], exec
	s_or_saveexec_b64 s[40:41], s[40:41]
	v_bfrev_b32_e32 v4, 1
	s_xor_b64 exec, exec, s[40:41]
	s_cbranch_execnz .LBB2_891
.LBB2_695:                              ;   in Loop: Header=BB2_353 Depth=4
	s_or_b64 exec, exec, s[40:41]
	s_and_saveexec_b64 s[36:37], s[28:29]
	s_cbranch_execz .LBB2_697
.LBB2_696:                              ;   in Loop: Header=BB2_353 Depth=4
	v_and_b32_e32 v8, 3, v2
	v_and_b32_e32 v4, 0x7c0000, v10
	v_cmp_eq_u32_e64 s[28:29], s45, v4
	v_ffbh_u32_e32 v4, v8
	v_min_u32_e32 v12, 32, v4
	v_subrev_u32_e32 v4, 29, v12
	v_bfe_u32 v9, v10, 18, 5
	v_lshlrev_b64 v[4:5], v4, v[2:3]
	v_cmp_eq_u32_e64 s[40:41], 0, v9
	v_sub_u32_e32 v5, 30, v12
	v_cndmask_b32_e64 v5, v9, v5, s[40:41]
	v_lshlrev_b32_e32 v9, 24, v2
	v_and_b32_e32 v4, 3, v4
	v_and_b32_e32 v9, 0x80000000, v9
	v_cndmask_b32_e64 v4, v8, v4, s[40:41]
	v_lshl_add_u32 v5, v5, 23, v9
	v_cmp_gt_i16_sdwa s[42:43], sext(v2), v26 src0_sel:BYTE_0 src1_sel:DWORD
	v_lshl_or_b32 v4, v4, 21, v5
	v_cmp_eq_u32_e64 s[40:41], 0, v8
	v_cndmask_b32_e64 v2, v27, v6, s[42:43]
	v_add_u32_e32 v4, 0x38000000, v4
	v_cndmask_b32_e64 v2, v7, v2, s[40:41]
	v_cndmask_b32_e64 v4, v4, v2, s[28:29]
.LBB2_697:                              ;   in Loop: Header=BB2_353 Depth=4
	s_or_b64 exec, exec, s[36:37]
	v_mul_f32_e32 v1, v1, v4
	v_and_b32_e32 v4, 0x7f800000, v1
	v_mov_b32_e32 v5, v3
	v_cmp_ne_u64_e64 s[28:29], s[62:63], v[4:5]
	v_and_b32_e32 v2, 0x7fffff, v1
                                        ; implicit-def: $vgpr52
	s_and_saveexec_b64 s[40:41], s[28:29]
	s_xor_b64 s[42:43], exec, s[40:41]
	s_cbranch_execz .LBB2_711
; %bb.698:                              ;   in Loop: Header=BB2_353 Depth=4
	v_and_b32_e32 v4, 0x7fffffff, v1
	v_mov_b32_e32 v5, v3
	v_cmp_gt_u64_e64 s[28:29], s[78:79], v[4:5]
	v_and_b32_sdwa v12, v1, s82 dst_sel:DWORD dst_unused:UNUSED_PAD src0_sel:BYTE_3 src1_sel:DWORD
                                        ; implicit-def: $vgpr52
	s_and_saveexec_b64 s[40:41], s[28:29]
	s_xor_b64 s[36:37], exec, s[40:41]
	s_cbranch_execz .LBB2_708
; %bb.699:                              ;   in Loop: Header=BB2_353 Depth=4
	v_mov_b32_e32 v52, 0
	v_cmp_ne_u32_e64 s[28:29], 0, v1
	s_and_saveexec_b64 s[38:39], s[28:29]
	s_cbranch_execz .LBB2_707
; %bb.700:                              ;   in Loop: Header=BB2_353 Depth=4
	v_bfe_u32 v1, v1, 23, 8
	v_cmp_gt_u32_e64 s[40:41], s44, v1
	v_sub_u32_e32 v4, 0x71, v1
	v_cmp_eq_u32_e64 s[28:29], 0, v1
	v_cndmask_b32_e64 v4, 0, v4, s[40:41]
	v_mov_b32_e32 v8, 0x70
	v_cndmask_b32_e64 v13, v4, v8, s[28:29]
	v_or_b32_e32 v5, 0x800000, v2
	v_add_u32_e32 v4, 21, v13
	v_cndmask_b32_e64 v2, v5, v2, s[28:29]
	v_lshlrev_b64 v[4:5], v4, -1
	v_add_u32_e32 v8, 20, v13
	v_lshlrev_b64 v[8:9], v8, 1
	v_bfi_b32 v5, v5, 0, 0
	v_bfi_b32 v4, v4, 0, v2
	v_cmp_eq_u64_e64 s[40:41], v[4:5], v[8:9]
	v_lshrrev_b64 v[8:9], v13, v[2:3]
	v_mov_b32_e32 v4, v8
	v_mov_b32_e32 v5, v9
	s_and_saveexec_b64 s[48:49], s[40:41]
; %bb.701:                              ;   in Loop: Header=BB2_353 Depth=4
	v_bfe_u32 v2, v8, 21, 1
	v_add_co_u32_e64 v2, s[40:41], v8, v2
	v_add_co_u32_e64 v4, s[40:41], -1, v2
; %bb.702:                              ;   in Loop: Header=BB2_353 Depth=4
	s_or_b64 exec, exec, s[48:49]
	v_add_u32_e32 v1, 0xffffff81, v1
	v_mov_b32_e32 v2, 0xffffff82
	v_cndmask_b32_e64 v1, v1, v2, s[28:29]
	v_lshrrev_b32_e32 v2, 23, v8
	v_add3_u32 v13, v13, v1, v2
	v_add_u32_e32 v5, 14, v13
	v_and_b32_e32 v1, 0x1fffff, v4
	v_add_u32_e32 v2, v1, v8
	v_cmp_ne_u32_e64 s[28:29], 0, v5
                                        ; implicit-def: $vgpr8_vgpr9
                                        ; implicit-def: $vgpr1
	s_and_saveexec_b64 s[40:41], s[28:29]
	s_xor_b64 s[40:41], exec, s[40:41]
; %bb.703:                              ;   in Loop: Header=BB2_353 Depth=4
	v_cmp_lt_u64_e64 s[28:29], s[88:89], v[2:3]
	v_add_u32_e32 v1, 15, v13
	v_cndmask_b32_e64 v4, 0, 1, s[28:29]
	v_cndmask_b32_e64 v1, v5, v1, s[28:29]
	v_lshrrev_b64 v[8:9], v4, v[2:3]
; %bb.704:                              ;   in Loop: Header=BB2_353 Depth=4
	s_andn2_saveexec_b64 s[28:29], s[40:41]
; %bb.705:                              ;   in Loop: Header=BB2_353 Depth=4
	v_mov_b32_e32 v9, v3
	v_bfe_u32 v1, v2, 23, 1
	v_mov_b32_e32 v8, v2
; %bb.706:                              ;   in Loop: Header=BB2_353 Depth=4
	s_or_b64 exec, exec, s[28:29]
	v_lshrrev_b64 v[4:5], 21, v[8:9]
	v_cmp_gt_i32_e64 s[28:29], 32, v1
	v_cndmask_b32_e64 v5, 0, v5, s[28:29]
	v_cndmask_b32_e64 v4, 3, v4, s[28:29]
	v_cmp_eq_u32_e64 s[28:29], 0, v1
	v_min_i32_e32 v1, 31, v1
	v_cmp_eq_u64_e64 s[40:41], 0, v[4:5]
	v_lshlrev_b32_e32 v1, 2, v1
	v_and_b32_e32 v1, 0xfc, v1
	v_and_or_b32 v1, v4, 3, v1
	s_and_b64 s[28:29], s[28:29], s[40:41]
	v_cndmask_b32_e64 v1, v1, 0, s[28:29]
	v_or_b32_e32 v52, v1, v12
.LBB2_707:                              ;   in Loop: Header=BB2_353 Depth=4
	s_or_b64 exec, exec, s[38:39]
                                        ; implicit-def: $vgpr12
.LBB2_708:                              ;   in Loop: Header=BB2_353 Depth=4
	s_andn2_saveexec_b64 s[28:29], s[36:37]
; %bb.709:                              ;   in Loop: Header=BB2_353 Depth=4
	v_or_b32_e32 v52, 0x7b, v12
; %bb.710:                              ;   in Loop: Header=BB2_353 Depth=4
	s_or_b64 exec, exec, s[28:29]
                                        ; implicit-def: $vgpr1
.LBB2_711:                              ;   in Loop: Header=BB2_353 Depth=4
	s_andn2_saveexec_b64 s[40:41], s[42:43]
	s_cbranch_execz .LBB2_717
; %bb.712:                              ;   in Loop: Header=BB2_353 Depth=4
	v_cmp_ne_u64_e64 s[28:29], 0, v[2:3]
                                        ; implicit-def: $vgpr52
	s_and_saveexec_b64 s[42:43], s[28:29]
	s_xor_b64 s[28:29], exec, s[42:43]
; %bb.713:                              ;   in Loop: Header=BB2_353 Depth=4
	v_or_b32_sdwa v52, v1, s81 dst_sel:DWORD dst_unused:UNUSED_PAD src0_sel:BYTE_3 src1_sel:DWORD
                                        ; implicit-def: $vgpr1
; %bb.714:                              ;   in Loop: Header=BB2_353 Depth=4
	s_andn2_saveexec_b64 s[42:43], s[28:29]
; %bb.715:                              ;   in Loop: Header=BB2_353 Depth=4
	v_cmp_lt_i32_e64 s[28:29], -1, v1
	v_cndmask_b32_e64 v52, v0, v49, s[28:29]
; %bb.716:                              ;   in Loop: Header=BB2_353 Depth=4
	s_or_b64 exec, exec, s[42:43]
.LBB2_717:                              ;   in Loop: Header=BB2_353 Depth=4
	s_or_b64 exec, exec, s[40:41]
	v_cmp_lt_u32_e64 s[28:29], s57, v14
	v_mov_b32_e32 v1, 0
	s_and_saveexec_b64 s[40:41], s[28:29]
	s_cbranch_execz .LBB2_725
; %bb.718:                              ;   in Loop: Header=BB2_353 Depth=4
	v_lshrrev_b32_e32 v2, 24, v14
	v_cmp_ne_u32_e64 s[28:29], s82, v2
	v_bfrev_b32_e32 v1, 1
	s_and_saveexec_b64 s[42:43], s[28:29]
	s_cbranch_execz .LBB2_724
; %bb.719:                              ;   in Loop: Header=BB2_353 Depth=4
	v_and_b32_e32 v1, 0x7c000000, v14
	v_bfe_u32 v4, v14, 24, 2
	v_cmp_ne_u32_e64 s[28:29], s83, v1
                                        ; implicit-def: $vgpr1
	s_and_saveexec_b64 s[36:37], s[28:29]
	s_xor_b64 s[36:37], exec, s[36:37]
	s_cbranch_execz .LBB2_721
; %bb.720:                              ;   in Loop: Header=BB2_353 Depth=4
	v_ffbh_u32_e32 v1, v4
	v_min_u32_e32 v8, 32, v1
	v_subrev_u32_e32 v1, 29, v8
	v_lshlrev_b64 v[1:2], v1, v[2:3]
	v_bfe_u32 v5, v14, 26, 5
	v_sub_u32_e32 v2, 30, v8
	v_and_b32_e32 v1, 3, v1
	v_cmp_eq_u32_e64 s[28:29], 0, v5
	v_cndmask_b32_e64 v2, v5, v2, s[28:29]
	v_cndmask_b32_e64 v1, v4, v1, s[28:29]
	v_and_b32_e32 v4, 0x80000000, v14
	v_lshl_add_u32 v2, v2, 23, v4
	v_lshl_or_b32 v1, v1, 21, v2
	v_add_u32_e32 v1, 0x38000000, v1
                                        ; implicit-def: $vgpr4
.LBB2_721:                              ;   in Loop: Header=BB2_353 Depth=4
	s_andn2_saveexec_b64 s[36:37], s[36:37]
; %bb.722:                              ;   in Loop: Header=BB2_353 Depth=4
	v_cmp_lt_i32_e64 s[28:29], -1, v14
	v_cndmask_b32_e64 v1, v27, v6, s[28:29]
	v_cmp_eq_u32_e64 s[28:29], 0, v4
	v_cndmask_b32_e64 v1, v7, v1, s[28:29]
; %bb.723:                              ;   in Loop: Header=BB2_353 Depth=4
	s_or_b64 exec, exec, s[36:37]
.LBB2_724:                              ;   in Loop: Header=BB2_353 Depth=4
	s_or_b64 exec, exec, s[42:43]
.LBB2_725:                              ;   in Loop: Header=BB2_353 Depth=4
	s_or_b64 exec, exec, s[40:41]
	v_bfe_u32 v8, v10, 24, 2
	v_and_b32_e32 v4, 0x7c000000, v10
	v_cmp_eq_u32_e64 s[28:29], s83, v4
	v_ffbh_u32_e32 v4, v8
	v_min_u32_e32 v12, 32, v4
	v_lshrrev_b32_e32 v2, 24, v10
	v_subrev_u32_e32 v4, 29, v12
	v_bfe_u32 v9, v10, 26, 5
	v_lshlrev_b64 v[4:5], v4, v[2:3]
	v_cmp_eq_u32_e64 s[40:41], 0, v9
	v_sub_u32_e32 v5, 30, v12
	v_and_b32_e32 v4, 3, v4
	v_cndmask_b32_e64 v5, v9, v5, s[40:41]
	v_and_b32_e32 v9, 0x80000000, v10
	v_cndmask_b32_e64 v4, v8, v4, s[40:41]
	v_lshl_add_u32 v5, v5, 23, v9
	v_cmp_lt_i32_e64 s[42:43], -1, v10
	v_lshl_or_b32 v4, v4, 21, v5
	v_cmp_eq_u32_e64 s[40:41], 0, v8
	v_cndmask_b32_e64 v5, v27, v6, s[42:43]
	v_add_u32_e32 v4, 0x38000000, v4
	v_cndmask_b32_e64 v5, v7, v5, s[40:41]
	v_cndmask_b32_e64 v4, v4, v5, s[28:29]
	v_cmp_ne_u32_e64 s[28:29], s82, v2
	v_cndmask_b32_e64 v2, v53, v4, s[28:29]
	v_cmp_lt_u32_e64 s[28:29], s57, v10
	v_cndmask_b32_e64 v2, 0, v2, s[28:29]
	v_mul_f32_e32 v1, v2, v1
	v_and_b32_e32 v4, 0x7f800000, v1
	v_mov_b32_e32 v5, v3
	v_cmp_ne_u64_e64 s[28:29], s[62:63], v[4:5]
	v_and_b32_e32 v2, 0x7fffff, v1
                                        ; implicit-def: $vgpr40
	s_and_saveexec_b64 s[40:41], s[28:29]
	s_xor_b64 s[42:43], exec, s[40:41]
	s_cbranch_execz .LBB2_739
; %bb.726:                              ;   in Loop: Header=BB2_353 Depth=4
	v_and_b32_e32 v4, 0x7fffffff, v1
	v_mov_b32_e32 v5, v3
	v_cmp_gt_u64_e64 s[28:29], s[78:79], v[4:5]
	v_and_b32_sdwa v12, v1, s82 dst_sel:DWORD dst_unused:UNUSED_PAD src0_sel:BYTE_3 src1_sel:DWORD
                                        ; implicit-def: $vgpr40
	s_and_saveexec_b64 s[40:41], s[28:29]
	s_xor_b64 s[36:37], exec, s[40:41]
	s_cbranch_execz .LBB2_736
; %bb.727:                              ;   in Loop: Header=BB2_353 Depth=4
	v_mov_b32_e32 v40, 0
	v_cmp_ne_u32_e64 s[28:29], 0, v1
	s_and_saveexec_b64 s[38:39], s[28:29]
	s_cbranch_execz .LBB2_735
; %bb.728:                              ;   in Loop: Header=BB2_353 Depth=4
	v_bfe_u32 v1, v1, 23, 8
	v_cmp_gt_u32_e64 s[40:41], s44, v1
	v_sub_u32_e32 v4, 0x71, v1
	v_cmp_eq_u32_e64 s[28:29], 0, v1
	v_cndmask_b32_e64 v4, 0, v4, s[40:41]
	v_mov_b32_e32 v8, 0x70
	v_cndmask_b32_e64 v13, v4, v8, s[28:29]
	v_or_b32_e32 v5, 0x800000, v2
	v_add_u32_e32 v4, 21, v13
	v_cndmask_b32_e64 v2, v5, v2, s[28:29]
	v_lshlrev_b64 v[4:5], v4, -1
	v_add_u32_e32 v8, 20, v13
	v_lshlrev_b64 v[8:9], v8, 1
	v_bfi_b32 v5, v5, 0, 0
	v_bfi_b32 v4, v4, 0, v2
	v_cmp_eq_u64_e64 s[40:41], v[4:5], v[8:9]
	v_lshrrev_b64 v[8:9], v13, v[2:3]
	v_mov_b32_e32 v4, v8
	v_mov_b32_e32 v5, v9
	s_and_saveexec_b64 s[48:49], s[40:41]
; %bb.729:                              ;   in Loop: Header=BB2_353 Depth=4
	v_bfe_u32 v2, v8, 21, 1
	v_add_co_u32_e64 v2, s[40:41], v8, v2
	v_add_co_u32_e64 v4, s[40:41], -1, v2
; %bb.730:                              ;   in Loop: Header=BB2_353 Depth=4
	s_or_b64 exec, exec, s[48:49]
	v_add_u32_e32 v1, 0xffffff81, v1
	v_mov_b32_e32 v2, 0xffffff82
	v_cndmask_b32_e64 v1, v1, v2, s[28:29]
	v_lshrrev_b32_e32 v2, 23, v8
	v_add3_u32 v13, v13, v1, v2
	v_add_u32_e32 v5, 14, v13
	v_and_b32_e32 v1, 0x1fffff, v4
	v_add_u32_e32 v2, v1, v8
	v_cmp_ne_u32_e64 s[28:29], 0, v5
                                        ; implicit-def: $vgpr8_vgpr9
                                        ; implicit-def: $vgpr1
	s_and_saveexec_b64 s[40:41], s[28:29]
	s_xor_b64 s[40:41], exec, s[40:41]
; %bb.731:                              ;   in Loop: Header=BB2_353 Depth=4
	v_cmp_lt_u64_e64 s[28:29], s[88:89], v[2:3]
	v_add_u32_e32 v1, 15, v13
	v_cndmask_b32_e64 v4, 0, 1, s[28:29]
	v_cndmask_b32_e64 v1, v5, v1, s[28:29]
	v_lshrrev_b64 v[8:9], v4, v[2:3]
; %bb.732:                              ;   in Loop: Header=BB2_353 Depth=4
	s_andn2_saveexec_b64 s[28:29], s[40:41]
; %bb.733:                              ;   in Loop: Header=BB2_353 Depth=4
	v_mov_b32_e32 v9, v3
	v_bfe_u32 v1, v2, 23, 1
	v_mov_b32_e32 v8, v2
; %bb.734:                              ;   in Loop: Header=BB2_353 Depth=4
	s_or_b64 exec, exec, s[28:29]
	v_lshrrev_b64 v[4:5], 21, v[8:9]
	v_cmp_gt_i32_e64 s[28:29], 32, v1
	v_cndmask_b32_e64 v5, 0, v5, s[28:29]
	v_cndmask_b32_e64 v4, 3, v4, s[28:29]
	v_cmp_eq_u32_e64 s[28:29], 0, v1
	v_min_i32_e32 v1, 31, v1
	v_cmp_eq_u64_e64 s[40:41], 0, v[4:5]
	v_lshlrev_b32_e32 v1, 2, v1
	v_and_b32_e32 v1, 0xfc, v1
	v_and_or_b32 v1, v4, 3, v1
	s_and_b64 s[28:29], s[28:29], s[40:41]
	v_cndmask_b32_e64 v1, v1, 0, s[28:29]
	v_or_b32_e32 v40, v1, v12
.LBB2_735:                              ;   in Loop: Header=BB2_353 Depth=4
	s_or_b64 exec, exec, s[38:39]
                                        ; implicit-def: $vgpr12
.LBB2_736:                              ;   in Loop: Header=BB2_353 Depth=4
	s_andn2_saveexec_b64 s[28:29], s[36:37]
; %bb.737:                              ;   in Loop: Header=BB2_353 Depth=4
	v_or_b32_e32 v40, 0x7b, v12
; %bb.738:                              ;   in Loop: Header=BB2_353 Depth=4
	s_or_b64 exec, exec, s[28:29]
                                        ; implicit-def: $vgpr1
.LBB2_739:                              ;   in Loop: Header=BB2_353 Depth=4
	s_andn2_saveexec_b64 s[40:41], s[42:43]
	s_cbranch_execz .LBB2_745
; %bb.740:                              ;   in Loop: Header=BB2_353 Depth=4
	v_cmp_ne_u64_e64 s[28:29], 0, v[2:3]
                                        ; implicit-def: $vgpr40
	s_and_saveexec_b64 s[42:43], s[28:29]
	s_xor_b64 s[28:29], exec, s[42:43]
; %bb.741:                              ;   in Loop: Header=BB2_353 Depth=4
	v_or_b32_sdwa v40, v1, s81 dst_sel:DWORD dst_unused:UNUSED_PAD src0_sel:BYTE_3 src1_sel:DWORD
                                        ; implicit-def: $vgpr1
; %bb.742:                              ;   in Loop: Header=BB2_353 Depth=4
	s_andn2_saveexec_b64 s[42:43], s[28:29]
; %bb.743:                              ;   in Loop: Header=BB2_353 Depth=4
	v_cmp_lt_i32_e64 s[28:29], -1, v1
	v_cndmask_b32_e64 v40, v0, v49, s[28:29]
; %bb.744:                              ;   in Loop: Header=BB2_353 Depth=4
	s_or_b64 exec, exec, s[42:43]
.LBB2_745:                              ;   in Loop: Header=BB2_353 Depth=4
	s_or_b64 exec, exec, s[40:41]
	v_mov_b32_e32 v2, v15
	v_cmp_ne_u16_sdwa s[28:29], v15, v3 src0_sel:BYTE_0 src1_sel:DWORD
	v_mov_b32_e32 v1, 0
	s_and_saveexec_b64 s[40:41], s[28:29]
	s_cbranch_execz .LBB2_753
; %bb.746:                              ;   in Loop: Header=BB2_353 Depth=4
	v_cmp_ne_u16_sdwa s[28:29], v15, s82 src0_sel:BYTE_0 src1_sel:DWORD
	v_bfrev_b32_e32 v1, 1
	s_and_saveexec_b64 s[42:43], s[28:29]
	s_cbranch_execz .LBB2_752
; %bb.747:                              ;   in Loop: Header=BB2_353 Depth=4
	v_and_b32_e32 v1, 0x7c, v15
	v_and_b32_e32 v4, 3, v15
	v_cmp_ne_u32_e64 s[28:29], s71, v1
                                        ; implicit-def: $vgpr1
	s_and_saveexec_b64 s[36:37], s[28:29]
	s_xor_b64 s[36:37], exec, s[36:37]
	s_cbranch_execz .LBB2_749
; %bb.748:                              ;   in Loop: Header=BB2_353 Depth=4
	v_ffbh_u32_e32 v5, v4
	v_min_u32_e32 v5, 32, v5
	v_bfe_u32 v1, v15, 2, 5
	v_subrev_u32_e32 v8, 29, v5
	v_lshlrev_b64 v[8:9], v8, v[2:3]
	v_sub_u32_e32 v5, 30, v5
	v_cmp_eq_u32_e64 s[28:29], 0, v1
	v_cndmask_b32_e64 v1, v1, v5, s[28:29]
	v_lshlrev_b32_e32 v5, 24, v15
	v_and_b32_e32 v8, 3, v8
	v_and_b32_e32 v5, 0x80000000, v5
	v_cndmask_b32_e64 v4, v4, v8, s[28:29]
	v_lshl_add_u32 v1, v1, 23, v5
	v_lshl_or_b32 v1, v4, 21, v1
	v_add_u32_e32 v1, 0x38000000, v1
                                        ; implicit-def: $vgpr4
.LBB2_749:                              ;   in Loop: Header=BB2_353 Depth=4
	s_andn2_saveexec_b64 s[36:37], s[36:37]
; %bb.750:                              ;   in Loop: Header=BB2_353 Depth=4
	v_cmp_gt_i16_sdwa s[28:29], sext(v15), v26 src0_sel:BYTE_0 src1_sel:DWORD
	v_cndmask_b32_e64 v1, v27, v6, s[28:29]
	v_cmp_eq_u32_e64 s[28:29], 0, v4
	v_cndmask_b32_e64 v1, v7, v1, s[28:29]
; %bb.751:                              ;   in Loop: Header=BB2_353 Depth=4
	s_or_b64 exec, exec, s[36:37]
.LBB2_752:                              ;   in Loop: Header=BB2_353 Depth=4
	s_or_b64 exec, exec, s[42:43]
.LBB2_753:                              ;   in Loop: Header=BB2_353 Depth=4
	s_or_b64 exec, exec, s[40:41]
	v_cmp_gt_i16_sdwa s[40:41], v11, s81 src0_sel:BYTE_0 src1_sel:DWORD
	s_mov_b64 s[28:29], 0
	s_and_saveexec_b64 s[42:43], s[40:41]
	s_xor_b64 s[40:41], exec, s[42:43]
	s_cbranch_execz .LBB2_757
; %bb.754:                              ;   in Loop: Header=BB2_353 Depth=4
	v_cmp_eq_u16_sdwa s[36:37], v11, s82 src0_sel:BYTE_0 src1_sel:DWORD
	s_mov_b64 s[28:29], -1
	s_and_saveexec_b64 s[42:43], s[36:37]
; %bb.755:                              ;   in Loop: Header=BB2_353 Depth=4
	s_xor_b64 s[28:29], exec, -1
; %bb.756:                              ;   in Loop: Header=BB2_353 Depth=4
	s_or_b64 exec, exec, s[42:43]
	s_and_b64 s[28:29], s[28:29], exec
.LBB2_757:                              ;   in Loop: Header=BB2_353 Depth=4
	s_or_saveexec_b64 s[40:41], s[40:41]
	v_bfrev_b32_e32 v4, 1
	s_xor_b64 exec, exec, s[40:41]
; %bb.758:                              ;   in Loop: Header=BB2_353 Depth=4
	v_cmp_ne_u16_sdwa s[42:43], v11, v3 src0_sel:BYTE_0 src1_sel:DWORD
	s_andn2_b64 s[28:29], s[28:29], exec
	s_and_b64 s[42:43], s[42:43], exec
	v_mov_b32_e32 v4, 0
	s_or_b64 s[28:29], s[28:29], s[42:43]
; %bb.759:                              ;   in Loop: Header=BB2_353 Depth=4
	s_or_b64 exec, exec, s[40:41]
	v_mov_b32_e32 v8, v11
	v_mov_b32_e32 v9, v3
	s_and_saveexec_b64 s[36:37], s[28:29]
	s_cbranch_execz .LBB2_761
; %bb.760:                              ;   in Loop: Header=BB2_353 Depth=4
	v_and_b32_e32 v12, 3, v11
	v_and_b32_e32 v4, 0x7c, v11
	v_cmp_eq_u32_e64 s[28:29], s71, v4
	v_ffbh_u32_e32 v4, v12
	v_min_u32_e32 v39, 32, v4
	v_subrev_u32_e32 v4, 29, v39
	v_bfe_u32 v13, v11, 2, 5
	v_lshlrev_b64 v[4:5], v4, v[8:9]
	v_cmp_eq_u32_e64 s[40:41], 0, v13
	v_sub_u32_e32 v5, 30, v39
	v_lshlrev_b32_e32 v9, 24, v11
	v_and_b32_e32 v4, 3, v4
	v_cndmask_b32_e64 v5, v13, v5, s[40:41]
	v_and_b32_e32 v9, 0x80000000, v9
	v_cndmask_b32_e64 v4, v12, v4, s[40:41]
	v_lshl_add_u32 v5, v5, 23, v9
	v_cmp_gt_i16_sdwa s[42:43], sext(v11), v26 src0_sel:BYTE_0 src1_sel:DWORD
	v_lshl_or_b32 v4, v4, 21, v5
	v_cmp_eq_u32_e64 s[40:41], 0, v12
	v_cndmask_b32_e64 v5, v27, v6, s[42:43]
	v_add_u32_e32 v4, 0x38000000, v4
	v_cndmask_b32_e64 v5, v7, v5, s[40:41]
	v_cndmask_b32_e64 v4, v4, v5, s[28:29]
.LBB2_761:                              ;   in Loop: Header=BB2_353 Depth=4
	s_or_b64 exec, exec, s[36:37]
	v_mul_f32_e32 v1, v1, v4
	v_and_b32_e32 v4, 0x7f800000, v1
	v_mov_b32_e32 v5, v3
	v_cmp_ne_u64_e64 s[28:29], s[62:63], v[4:5]
	v_and_b32_e32 v12, 0x7fffff, v1
	v_mov_b32_e32 v13, v3
                                        ; implicit-def: $vgpr41
	s_and_saveexec_b64 s[40:41], s[28:29]
	s_xor_b64 s[42:43], exec, s[40:41]
	s_cbranch_execz .LBB2_775
; %bb.762:                              ;   in Loop: Header=BB2_353 Depth=4
	v_and_b32_e32 v4, 0x7fffffff, v1
	v_mov_b32_e32 v5, v3
	v_cmp_gt_u64_e64 s[28:29], s[78:79], v[4:5]
	v_and_b32_sdwa v9, v1, s82 dst_sel:DWORD dst_unused:UNUSED_PAD src0_sel:BYTE_3 src1_sel:DWORD
                                        ; implicit-def: $vgpr41
	s_and_saveexec_b64 s[40:41], s[28:29]
	s_xor_b64 s[36:37], exec, s[40:41]
	s_cbranch_execz .LBB2_772
; %bb.763:                              ;   in Loop: Header=BB2_353 Depth=4
	v_mov_b32_e32 v41, 0
	v_cmp_ne_u32_e64 s[28:29], 0, v1
	s_and_saveexec_b64 s[38:39], s[28:29]
	s_cbranch_execz .LBB2_771
; %bb.764:                              ;   in Loop: Header=BB2_353 Depth=4
	v_bfe_u32 v1, v1, 23, 8
	v_cmp_gt_u32_e64 s[40:41], s44, v1
	v_sub_u32_e32 v4, 0x71, v1
	v_cmp_eq_u32_e64 s[28:29], 0, v1
	v_cndmask_b32_e64 v4, 0, v4, s[40:41]
	v_mov_b32_e32 v39, 0x70
	v_cndmask_b32_e64 v39, v4, v39, s[28:29]
	v_or_b32_e32 v5, 0x800000, v12
	v_add_u32_e32 v4, 21, v39
	v_cndmask_b32_e64 v12, v5, v12, s[28:29]
	v_lshlrev_b64 v[4:5], v4, -1
	v_add_u32_e32 v41, 20, v39
	v_lshlrev_b64 v[41:42], v41, 1
	v_bfi_b32 v5, v5, 0, 0
	v_bfi_b32 v4, v4, 0, v12
	v_lshrrev_b64 v[12:13], v39, v[12:13]
	v_cmp_eq_u64_e64 s[40:41], v[4:5], v[41:42]
	v_mov_b32_e32 v4, v12
	v_mov_b32_e32 v5, v13
	s_and_saveexec_b64 s[48:49], s[40:41]
; %bb.765:                              ;   in Loop: Header=BB2_353 Depth=4
	v_bfe_u32 v4, v12, 21, 1
	v_add_co_u32_e64 v4, s[40:41], v12, v4
	v_add_co_u32_e64 v4, s[40:41], -1, v4
; %bb.766:                              ;   in Loop: Header=BB2_353 Depth=4
	s_or_b64 exec, exec, s[48:49]
	v_add_u32_e32 v1, 0xffffff81, v1
	v_mov_b32_e32 v5, 0xffffff82
	v_cndmask_b32_e64 v1, v1, v5, s[28:29]
	v_lshrrev_b32_e32 v5, 23, v12
	v_add3_u32 v39, v39, v1, v5
	v_add_u32_e32 v5, 14, v39
	v_and_b32_e32 v1, 0x1fffff, v4
	v_add_u32_e32 v12, v1, v12
	v_mov_b32_e32 v13, v3
	v_cmp_ne_u32_e64 s[28:29], 0, v5
                                        ; implicit-def: $vgpr1
	s_and_saveexec_b64 s[40:41], s[28:29]
	s_xor_b64 s[40:41], exec, s[40:41]
; %bb.767:                              ;   in Loop: Header=BB2_353 Depth=4
	v_cmp_lt_u64_e64 s[28:29], s[88:89], v[12:13]
	v_add_u32_e32 v1, 15, v39
	v_cndmask_b32_e64 v4, 0, 1, s[28:29]
	v_cndmask_b32_e64 v1, v5, v1, s[28:29]
	v_lshrrev_b64 v[12:13], v4, v[12:13]
; %bb.768:                              ;   in Loop: Header=BB2_353 Depth=4
	s_andn2_saveexec_b64 s[28:29], s[40:41]
; %bb.769:                              ;   in Loop: Header=BB2_353 Depth=4
	v_bfe_u32 v1, v12, 23, 1
; %bb.770:                              ;   in Loop: Header=BB2_353 Depth=4
	s_or_b64 exec, exec, s[28:29]
	v_lshrrev_b64 v[4:5], 21, v[12:13]
	v_cmp_gt_i32_e64 s[28:29], 32, v1
	v_cndmask_b32_e64 v5, 0, v5, s[28:29]
	v_cndmask_b32_e64 v4, 3, v4, s[28:29]
	v_cmp_eq_u32_e64 s[28:29], 0, v1
	v_min_i32_e32 v1, 31, v1
	v_cmp_eq_u64_e64 s[40:41], 0, v[4:5]
	v_lshlrev_b32_e32 v1, 2, v1
	v_and_b32_e32 v1, 0xfc, v1
	v_and_or_b32 v1, v4, 3, v1
	s_and_b64 s[28:29], s[28:29], s[40:41]
	v_cndmask_b32_e64 v1, v1, 0, s[28:29]
	v_or_b32_e32 v41, v1, v9
.LBB2_771:                              ;   in Loop: Header=BB2_353 Depth=4
	s_or_b64 exec, exec, s[38:39]
                                        ; implicit-def: $vgpr9
.LBB2_772:                              ;   in Loop: Header=BB2_353 Depth=4
	s_andn2_saveexec_b64 s[28:29], s[36:37]
; %bb.773:                              ;   in Loop: Header=BB2_353 Depth=4
	v_or_b32_e32 v41, 0x7b, v9
; %bb.774:                              ;   in Loop: Header=BB2_353 Depth=4
	s_or_b64 exec, exec, s[28:29]
                                        ; implicit-def: $vgpr1
                                        ; implicit-def: $vgpr12_vgpr13
.LBB2_775:                              ;   in Loop: Header=BB2_353 Depth=4
	s_andn2_saveexec_b64 s[40:41], s[42:43]
	s_cbranch_execz .LBB2_781
; %bb.776:                              ;   in Loop: Header=BB2_353 Depth=4
	v_cmp_ne_u64_e64 s[28:29], 0, v[12:13]
                                        ; implicit-def: $vgpr41
	s_and_saveexec_b64 s[42:43], s[28:29]
	s_xor_b64 s[28:29], exec, s[42:43]
; %bb.777:                              ;   in Loop: Header=BB2_353 Depth=4
	v_or_b32_sdwa v41, v1, s81 dst_sel:DWORD dst_unused:UNUSED_PAD src0_sel:BYTE_3 src1_sel:DWORD
                                        ; implicit-def: $vgpr1
; %bb.778:                              ;   in Loop: Header=BB2_353 Depth=4
	s_andn2_saveexec_b64 s[42:43], s[28:29]
; %bb.779:                              ;   in Loop: Header=BB2_353 Depth=4
	v_cmp_lt_i32_e64 s[28:29], -1, v1
	v_cndmask_b32_e64 v41, v0, v49, s[28:29]
; %bb.780:                              ;   in Loop: Header=BB2_353 Depth=4
	s_or_b64 exec, exec, s[42:43]
.LBB2_781:                              ;   in Loop: Header=BB2_353 Depth=4
	s_or_b64 exec, exec, s[40:41]
	v_lshrrev_b16_e32 v12, 8, v2
	v_cmp_ne_u16_e64 s[28:29], 0, v12
	v_mov_b32_e32 v1, 0
	s_and_saveexec_b64 s[40:41], s[28:29]
	s_cbranch_execz .LBB2_789
; %bb.782:                              ;   in Loop: Header=BB2_353 Depth=4
	v_cmp_ne_u16_e64 s[28:29], s82, v12
	v_bfrev_b32_e32 v1, 1
	s_and_saveexec_b64 s[42:43], s[28:29]
	s_cbranch_execz .LBB2_788
; %bb.783:                              ;   in Loop: Header=BB2_353 Depth=4
	v_and_b32_e32 v1, 0x7c, v12
	v_and_b32_e32 v4, 3, v12
	v_cmp_ne_u32_e64 s[28:29], s71, v1
                                        ; implicit-def: $vgpr1
	s_and_saveexec_b64 s[36:37], s[28:29]
	s_xor_b64 s[36:37], exec, s[36:37]
	s_cbranch_execz .LBB2_785
; %bb.784:                              ;   in Loop: Header=BB2_353 Depth=4
	v_ffbh_u32_e32 v5, v4
	v_min_u32_e32 v5, 32, v5
	v_mov_b32_e32 v13, v3
	v_subrev_u32_e32 v9, 29, v5
	v_bfe_u32 v1, v12, 2, 5
	v_lshlrev_b64 v[12:13], v9, v[12:13]
	v_sub_u32_e32 v5, 30, v5
	v_cmp_eq_u32_e64 s[28:29], 0, v1
	v_lshlrev_b32_e32 v2, 16, v2
	v_and_b32_e32 v9, 3, v12
	v_cndmask_b32_e64 v1, v1, v5, s[28:29]
	v_and_b32_e32 v2, 0x80000000, v2
	v_cndmask_b32_e64 v4, v4, v9, s[28:29]
	v_lshl_add_u32 v1, v1, 23, v2
	v_lshl_or_b32 v1, v4, 21, v1
	v_add_u32_e32 v1, 0x38000000, v1
                                        ; implicit-def: $vgpr4
.LBB2_785:                              ;   in Loop: Header=BB2_353 Depth=4
	s_andn2_saveexec_b64 s[36:37], s[36:37]
; %bb.786:                              ;   in Loop: Header=BB2_353 Depth=4
	v_cmp_lt_i16_e64 s[28:29], -1, v2
	v_cndmask_b32_e64 v1, v27, v6, s[28:29]
	v_cmp_eq_u32_e64 s[28:29], 0, v4
	v_cndmask_b32_e64 v1, v7, v1, s[28:29]
; %bb.787:                              ;   in Loop: Header=BB2_353 Depth=4
	s_or_b64 exec, exec, s[36:37]
.LBB2_788:                              ;   in Loop: Header=BB2_353 Depth=4
	s_or_b64 exec, exec, s[42:43]
.LBB2_789:                              ;   in Loop: Header=BB2_353 Depth=4
	s_or_b64 exec, exec, s[40:41]
	v_lshrrev_b16_e32 v2, 8, v8
	v_cmp_lt_i16_e64 s[28:29], s81, v2
	s_mov_b64 s[40:41], 0
	s_and_saveexec_b64 s[42:43], s[28:29]
	s_xor_b64 s[42:43], exec, s[42:43]
	s_cbranch_execz .LBB2_892
; %bb.790:                              ;   in Loop: Header=BB2_353 Depth=4
	v_cmp_eq_u16_e64 s[28:29], s82, v2
	s_mov_b64 s[40:41], -1
	s_and_saveexec_b64 s[36:37], s[28:29]
; %bb.791:                              ;   in Loop: Header=BB2_353 Depth=4
	s_xor_b64 s[40:41], exec, -1
; %bb.792:                              ;   in Loop: Header=BB2_353 Depth=4
	s_or_b64 exec, exec, s[36:37]
	s_and_b64 s[40:41], s[40:41], exec
	s_or_saveexec_b64 s[42:43], s[42:43]
	v_bfrev_b32_e32 v4, 1
	s_xor_b64 exec, exec, s[42:43]
	s_cbranch_execnz .LBB2_893
.LBB2_793:                              ;   in Loop: Header=BB2_353 Depth=4
	s_or_b64 exec, exec, s[42:43]
	s_and_saveexec_b64 s[36:37], s[40:41]
	s_cbranch_execz .LBB2_795
.LBB2_794:                              ;   in Loop: Header=BB2_353 Depth=4
	v_and_b32_e32 v9, 3, v2
	v_and_b32_e32 v4, 0x7c, v2
	v_cmp_eq_u32_e64 s[28:29], s71, v4
	v_ffbh_u32_e32 v4, v9
	v_min_u32_e32 v13, 32, v4
	v_subrev_u32_e32 v4, 29, v13
	v_bfe_u32 v12, v2, 2, 5
	v_lshlrev_b64 v[4:5], v4, v[2:3]
	v_cmp_eq_u32_e64 s[40:41], 0, v12
	v_sub_u32_e32 v5, 30, v13
	v_lshlrev_b32_e32 v2, 24, v2
	v_and_b32_e32 v4, 3, v4
	v_cndmask_b32_e64 v5, v12, v5, s[40:41]
	v_and_b32_e32 v2, 0x80000000, v2
	v_cndmask_b32_e64 v4, v9, v4, s[40:41]
	v_lshl_add_u32 v2, v5, 23, v2
	v_cmp_lt_i16_e64 s[42:43], -1, v8
	v_lshl_or_b32 v2, v4, 21, v2
	v_cmp_eq_u32_e64 s[40:41], 0, v9
	v_cndmask_b32_e64 v4, v27, v6, s[42:43]
	v_add_u32_e32 v2, 0x38000000, v2
	v_cndmask_b32_e64 v4, v7, v4, s[40:41]
	v_cndmask_b32_e64 v4, v2, v4, s[28:29]
.LBB2_795:                              ;   in Loop: Header=BB2_353 Depth=4
	s_or_b64 exec, exec, s[36:37]
	v_mul_f32_e32 v1, v1, v4
	v_and_b32_e32 v4, 0x7f800000, v1
	v_mov_b32_e32 v5, v3
	v_cmp_ne_u64_e64 s[28:29], s[62:63], v[4:5]
	v_and_b32_e32 v2, 0x7fffff, v1
                                        ; implicit-def: $vgpr12
	s_and_saveexec_b64 s[40:41], s[28:29]
	s_xor_b64 s[42:43], exec, s[40:41]
	s_cbranch_execz .LBB2_809
; %bb.796:                              ;   in Loop: Header=BB2_353 Depth=4
	v_and_b32_e32 v4, 0x7fffffff, v1
	v_mov_b32_e32 v5, v3
	v_cmp_gt_u64_e64 s[28:29], s[78:79], v[4:5]
	v_and_b32_sdwa v13, v1, s82 dst_sel:DWORD dst_unused:UNUSED_PAD src0_sel:BYTE_3 src1_sel:DWORD
                                        ; implicit-def: $vgpr12
	s_and_saveexec_b64 s[40:41], s[28:29]
	s_xor_b64 s[36:37], exec, s[40:41]
	s_cbranch_execz .LBB2_806
; %bb.797:                              ;   in Loop: Header=BB2_353 Depth=4
	v_mov_b32_e32 v12, 0
	v_cmp_ne_u32_e64 s[28:29], 0, v1
	s_and_saveexec_b64 s[38:39], s[28:29]
	s_cbranch_execz .LBB2_805
; %bb.798:                              ;   in Loop: Header=BB2_353 Depth=4
	v_bfe_u32 v1, v1, 23, 8
	v_cmp_gt_u32_e64 s[40:41], s44, v1
	v_sub_u32_e32 v4, 0x71, v1
	v_cmp_eq_u32_e64 s[28:29], 0, v1
	v_cndmask_b32_e64 v4, 0, v4, s[40:41]
	v_mov_b32_e32 v8, 0x70
	v_cndmask_b32_e64 v12, v4, v8, s[28:29]
	v_or_b32_e32 v5, 0x800000, v2
	v_add_u32_e32 v4, 21, v12
	v_cndmask_b32_e64 v2, v5, v2, s[28:29]
	v_lshlrev_b64 v[4:5], v4, -1
	v_add_u32_e32 v8, 20, v12
	v_lshlrev_b64 v[8:9], v8, 1
	v_bfi_b32 v5, v5, 0, 0
	v_bfi_b32 v4, v4, 0, v2
	v_cmp_eq_u64_e64 s[40:41], v[4:5], v[8:9]
	v_lshrrev_b64 v[8:9], v12, v[2:3]
	v_mov_b32_e32 v4, v8
	v_mov_b32_e32 v5, v9
	s_and_saveexec_b64 s[48:49], s[40:41]
; %bb.799:                              ;   in Loop: Header=BB2_353 Depth=4
	v_bfe_u32 v2, v8, 21, 1
	v_add_co_u32_e64 v2, s[40:41], v8, v2
	v_add_co_u32_e64 v4, s[40:41], -1, v2
; %bb.800:                              ;   in Loop: Header=BB2_353 Depth=4
	s_or_b64 exec, exec, s[48:49]
	v_add_u32_e32 v1, 0xffffff81, v1
	v_mov_b32_e32 v2, 0xffffff82
	v_cndmask_b32_e64 v1, v1, v2, s[28:29]
	v_lshrrev_b32_e32 v2, 23, v8
	v_add3_u32 v12, v12, v1, v2
	v_add_u32_e32 v5, 14, v12
	v_and_b32_e32 v1, 0x1fffff, v4
	v_add_u32_e32 v2, v1, v8
	v_cmp_ne_u32_e64 s[28:29], 0, v5
                                        ; implicit-def: $vgpr8_vgpr9
                                        ; implicit-def: $vgpr1
	s_and_saveexec_b64 s[40:41], s[28:29]
	s_xor_b64 s[40:41], exec, s[40:41]
; %bb.801:                              ;   in Loop: Header=BB2_353 Depth=4
	v_cmp_lt_u64_e64 s[28:29], s[88:89], v[2:3]
	v_add_u32_e32 v1, 15, v12
	v_cndmask_b32_e64 v4, 0, 1, s[28:29]
	v_cndmask_b32_e64 v1, v5, v1, s[28:29]
	v_lshrrev_b64 v[8:9], v4, v[2:3]
; %bb.802:                              ;   in Loop: Header=BB2_353 Depth=4
	s_andn2_saveexec_b64 s[28:29], s[40:41]
; %bb.803:                              ;   in Loop: Header=BB2_353 Depth=4
	v_mov_b32_e32 v9, v3
	v_bfe_u32 v1, v2, 23, 1
	v_mov_b32_e32 v8, v2
; %bb.804:                              ;   in Loop: Header=BB2_353 Depth=4
	s_or_b64 exec, exec, s[28:29]
	v_lshrrev_b64 v[4:5], 21, v[8:9]
	v_cmp_gt_i32_e64 s[28:29], 32, v1
	v_cndmask_b32_e64 v5, 0, v5, s[28:29]
	v_cndmask_b32_e64 v4, 3, v4, s[28:29]
	v_cmp_eq_u32_e64 s[28:29], 0, v1
	v_min_i32_e32 v1, 31, v1
	v_cmp_eq_u64_e64 s[40:41], 0, v[4:5]
	v_lshlrev_b32_e32 v1, 2, v1
	v_and_b32_e32 v1, 0xfc, v1
	v_and_or_b32 v1, v4, 3, v1
	s_and_b64 s[28:29], s[28:29], s[40:41]
	v_cndmask_b32_e64 v1, v1, 0, s[28:29]
	v_or_b32_e32 v12, v1, v13
.LBB2_805:                              ;   in Loop: Header=BB2_353 Depth=4
	s_or_b64 exec, exec, s[38:39]
                                        ; implicit-def: $vgpr13
.LBB2_806:                              ;   in Loop: Header=BB2_353 Depth=4
	s_andn2_saveexec_b64 s[28:29], s[36:37]
; %bb.807:                              ;   in Loop: Header=BB2_353 Depth=4
	v_or_b32_e32 v12, 0x7b, v13
; %bb.808:                              ;   in Loop: Header=BB2_353 Depth=4
	s_or_b64 exec, exec, s[28:29]
                                        ; implicit-def: $vgpr1
.LBB2_809:                              ;   in Loop: Header=BB2_353 Depth=4
	s_andn2_saveexec_b64 s[40:41], s[42:43]
	s_cbranch_execz .LBB2_815
; %bb.810:                              ;   in Loop: Header=BB2_353 Depth=4
	v_cmp_ne_u64_e64 s[28:29], 0, v[2:3]
                                        ; implicit-def: $vgpr12
	s_and_saveexec_b64 s[42:43], s[28:29]
	s_xor_b64 s[28:29], exec, s[42:43]
; %bb.811:                              ;   in Loop: Header=BB2_353 Depth=4
	v_or_b32_sdwa v12, v1, s81 dst_sel:DWORD dst_unused:UNUSED_PAD src0_sel:BYTE_3 src1_sel:DWORD
                                        ; implicit-def: $vgpr1
; %bb.812:                              ;   in Loop: Header=BB2_353 Depth=4
	s_andn2_saveexec_b64 s[42:43], s[28:29]
; %bb.813:                              ;   in Loop: Header=BB2_353 Depth=4
	v_cmp_lt_i32_e64 s[28:29], -1, v1
	v_cndmask_b32_e64 v12, v0, v49, s[28:29]
; %bb.814:                              ;   in Loop: Header=BB2_353 Depth=4
	s_or_b64 exec, exec, s[42:43]
.LBB2_815:                              ;   in Loop: Header=BB2_353 Depth=4
	s_or_b64 exec, exec, s[40:41]
	v_lshrrev_b32_e32 v2, 16, v15
	v_cmp_ne_u16_sdwa s[28:29], v2, v3 src0_sel:BYTE_0 src1_sel:DWORD
	v_mov_b32_e32 v1, 0
	s_and_saveexec_b64 s[40:41], s[28:29]
	s_cbranch_execz .LBB2_823
; %bb.816:                              ;   in Loop: Header=BB2_353 Depth=4
	v_cmp_ne_u16_sdwa s[28:29], v2, s82 src0_sel:BYTE_0 src1_sel:DWORD
	v_bfrev_b32_e32 v1, 1
	s_and_saveexec_b64 s[42:43], s[28:29]
	s_cbranch_execz .LBB2_822
; %bb.817:                              ;   in Loop: Header=BB2_353 Depth=4
	v_and_b32_e32 v1, 0x7c0000, v15
	v_bfe_u32 v4, v15, 16, 2
	v_cmp_ne_u32_e64 s[28:29], s45, v1
                                        ; implicit-def: $vgpr1
	s_and_saveexec_b64 s[36:37], s[28:29]
	s_xor_b64 s[36:37], exec, s[36:37]
	s_cbranch_execz .LBB2_819
; %bb.818:                              ;   in Loop: Header=BB2_353 Depth=4
	v_ffbh_u32_e32 v1, v4
	v_min_u32_e32 v8, 32, v1
	v_subrev_u32_e32 v1, 29, v8
	v_lshlrev_b64 v[1:2], v1, v[2:3]
	v_bfe_u32 v5, v15, 18, 5
	v_and_b32_e32 v1, 3, v1
	v_cmp_eq_u32_e64 s[28:29], 0, v5
	v_sub_u32_e32 v2, 30, v8
	v_cndmask_b32_e64 v1, v4, v1, s[28:29]
	v_lshlrev_b32_e32 v4, 8, v15
	v_cndmask_b32_e64 v2, v5, v2, s[28:29]
	v_and_b32_e32 v4, 0x80000000, v4
	v_lshl_add_u32 v2, v2, 23, v4
	v_lshl_or_b32 v1, v1, 21, v2
	v_add_u32_e32 v1, 0x38000000, v1
                                        ; implicit-def: $vgpr4
                                        ; implicit-def: $vgpr2
.LBB2_819:                              ;   in Loop: Header=BB2_353 Depth=4
	s_andn2_saveexec_b64 s[36:37], s[36:37]
; %bb.820:                              ;   in Loop: Header=BB2_353 Depth=4
	v_cmp_gt_i16_sdwa s[28:29], sext(v2), v26 src0_sel:BYTE_0 src1_sel:DWORD
	v_cndmask_b32_e64 v1, v27, v6, s[28:29]
	v_cmp_eq_u32_e64 s[28:29], 0, v4
	v_cndmask_b32_e64 v1, v7, v1, s[28:29]
; %bb.821:                              ;   in Loop: Header=BB2_353 Depth=4
	s_or_b64 exec, exec, s[36:37]
.LBB2_822:                              ;   in Loop: Header=BB2_353 Depth=4
	s_or_b64 exec, exec, s[42:43]
.LBB2_823:                              ;   in Loop: Header=BB2_353 Depth=4
	s_or_b64 exec, exec, s[40:41]
	v_lshrrev_b32_e32 v2, 16, v11
	v_cmp_gt_i16_sdwa s[40:41], v2, s81 src0_sel:BYTE_0 src1_sel:DWORD
	s_mov_b64 s[28:29], 0
	s_and_saveexec_b64 s[42:43], s[40:41]
	s_xor_b64 s[40:41], exec, s[42:43]
	s_cbranch_execz .LBB2_894
; %bb.824:                              ;   in Loop: Header=BB2_353 Depth=4
	v_cmp_eq_u16_sdwa s[36:37], v2, s82 src0_sel:BYTE_0 src1_sel:DWORD
	s_mov_b64 s[28:29], -1
	s_and_saveexec_b64 s[42:43], s[36:37]
; %bb.825:                              ;   in Loop: Header=BB2_353 Depth=4
	s_xor_b64 s[28:29], exec, -1
; %bb.826:                              ;   in Loop: Header=BB2_353 Depth=4
	s_or_b64 exec, exec, s[42:43]
	s_and_b64 s[28:29], s[28:29], exec
	s_or_saveexec_b64 s[40:41], s[40:41]
	v_bfrev_b32_e32 v4, 1
	s_xor_b64 exec, exec, s[40:41]
	s_cbranch_execnz .LBB2_895
.LBB2_827:                              ;   in Loop: Header=BB2_353 Depth=4
	s_or_b64 exec, exec, s[40:41]
	s_and_saveexec_b64 s[36:37], s[28:29]
	s_cbranch_execz .LBB2_829
.LBB2_828:                              ;   in Loop: Header=BB2_353 Depth=4
	v_and_b32_e32 v8, 3, v2
	v_and_b32_e32 v4, 0x7c0000, v11
	v_cmp_eq_u32_e64 s[28:29], s45, v4
	v_ffbh_u32_e32 v4, v8
	v_min_u32_e32 v13, 32, v4
	v_subrev_u32_e32 v4, 29, v13
	v_bfe_u32 v9, v11, 18, 5
	v_lshlrev_b64 v[4:5], v4, v[2:3]
	v_cmp_eq_u32_e64 s[40:41], 0, v9
	v_sub_u32_e32 v5, 30, v13
	v_cndmask_b32_e64 v5, v9, v5, s[40:41]
	v_lshlrev_b32_e32 v9, 24, v2
	v_and_b32_e32 v4, 3, v4
	v_and_b32_e32 v9, 0x80000000, v9
	v_cndmask_b32_e64 v4, v8, v4, s[40:41]
	v_lshl_add_u32 v5, v5, 23, v9
	v_cmp_gt_i16_sdwa s[42:43], sext(v2), v26 src0_sel:BYTE_0 src1_sel:DWORD
	v_lshl_or_b32 v4, v4, 21, v5
	v_cmp_eq_u32_e64 s[40:41], 0, v8
	v_cndmask_b32_e64 v2, v27, v6, s[42:43]
	v_add_u32_e32 v4, 0x38000000, v4
	v_cndmask_b32_e64 v2, v7, v2, s[40:41]
	v_cndmask_b32_e64 v4, v4, v2, s[28:29]
.LBB2_829:                              ;   in Loop: Header=BB2_353 Depth=4
	s_or_b64 exec, exec, s[36:37]
	v_mul_f32_e32 v1, v1, v4
	v_and_b32_e32 v4, 0x7f800000, v1
	v_mov_b32_e32 v5, v3
	v_cmp_ne_u64_e64 s[28:29], s[62:63], v[4:5]
	v_and_b32_e32 v2, 0x7fffff, v1
                                        ; implicit-def: $vgpr13
	s_and_saveexec_b64 s[40:41], s[28:29]
	s_xor_b64 s[42:43], exec, s[40:41]
	s_cbranch_execz .LBB2_843
; %bb.830:                              ;   in Loop: Header=BB2_353 Depth=4
	v_and_b32_e32 v4, 0x7fffffff, v1
	v_mov_b32_e32 v5, v3
	v_cmp_gt_u64_e64 s[28:29], s[78:79], v[4:5]
	v_and_b32_sdwa v39, v1, s82 dst_sel:DWORD dst_unused:UNUSED_PAD src0_sel:BYTE_3 src1_sel:DWORD
                                        ; implicit-def: $vgpr13
	s_and_saveexec_b64 s[40:41], s[28:29]
	s_xor_b64 s[36:37], exec, s[40:41]
	s_cbranch_execz .LBB2_840
; %bb.831:                              ;   in Loop: Header=BB2_353 Depth=4
	v_mov_b32_e32 v13, 0
	v_cmp_ne_u32_e64 s[28:29], 0, v1
	s_and_saveexec_b64 s[38:39], s[28:29]
	s_cbranch_execz .LBB2_839
; %bb.832:                              ;   in Loop: Header=BB2_353 Depth=4
	v_bfe_u32 v1, v1, 23, 8
	v_cmp_gt_u32_e64 s[40:41], s44, v1
	v_sub_u32_e32 v4, 0x71, v1
	v_cmp_eq_u32_e64 s[28:29], 0, v1
	v_cndmask_b32_e64 v4, 0, v4, s[40:41]
	v_mov_b32_e32 v8, 0x70
	v_cndmask_b32_e64 v13, v4, v8, s[28:29]
	v_or_b32_e32 v5, 0x800000, v2
	v_add_u32_e32 v4, 21, v13
	v_cndmask_b32_e64 v2, v5, v2, s[28:29]
	v_lshlrev_b64 v[4:5], v4, -1
	v_add_u32_e32 v8, 20, v13
	v_lshlrev_b64 v[8:9], v8, 1
	v_bfi_b32 v5, v5, 0, 0
	v_bfi_b32 v4, v4, 0, v2
	v_cmp_eq_u64_e64 s[40:41], v[4:5], v[8:9]
	v_lshrrev_b64 v[8:9], v13, v[2:3]
	v_mov_b32_e32 v4, v8
	v_mov_b32_e32 v5, v9
	s_and_saveexec_b64 s[48:49], s[40:41]
; %bb.833:                              ;   in Loop: Header=BB2_353 Depth=4
	v_bfe_u32 v2, v8, 21, 1
	v_add_co_u32_e64 v2, s[40:41], v8, v2
	v_add_co_u32_e64 v4, s[40:41], -1, v2
; %bb.834:                              ;   in Loop: Header=BB2_353 Depth=4
	s_or_b64 exec, exec, s[48:49]
	v_add_u32_e32 v1, 0xffffff81, v1
	v_mov_b32_e32 v2, 0xffffff82
	v_cndmask_b32_e64 v1, v1, v2, s[28:29]
	v_lshrrev_b32_e32 v2, 23, v8
	v_add3_u32 v13, v13, v1, v2
	v_add_u32_e32 v5, 14, v13
	v_and_b32_e32 v1, 0x1fffff, v4
	v_add_u32_e32 v2, v1, v8
	v_cmp_ne_u32_e64 s[28:29], 0, v5
                                        ; implicit-def: $vgpr8_vgpr9
                                        ; implicit-def: $vgpr1
	s_and_saveexec_b64 s[40:41], s[28:29]
	s_xor_b64 s[40:41], exec, s[40:41]
; %bb.835:                              ;   in Loop: Header=BB2_353 Depth=4
	v_cmp_lt_u64_e64 s[28:29], s[88:89], v[2:3]
	v_add_u32_e32 v1, 15, v13
	v_cndmask_b32_e64 v4, 0, 1, s[28:29]
	v_cndmask_b32_e64 v1, v5, v1, s[28:29]
	v_lshrrev_b64 v[8:9], v4, v[2:3]
; %bb.836:                              ;   in Loop: Header=BB2_353 Depth=4
	s_andn2_saveexec_b64 s[28:29], s[40:41]
; %bb.837:                              ;   in Loop: Header=BB2_353 Depth=4
	v_mov_b32_e32 v9, v3
	v_bfe_u32 v1, v2, 23, 1
	v_mov_b32_e32 v8, v2
; %bb.838:                              ;   in Loop: Header=BB2_353 Depth=4
	s_or_b64 exec, exec, s[28:29]
	v_lshrrev_b64 v[4:5], 21, v[8:9]
	v_cmp_gt_i32_e64 s[28:29], 32, v1
	v_cndmask_b32_e64 v5, 0, v5, s[28:29]
	v_cndmask_b32_e64 v4, 3, v4, s[28:29]
	v_cmp_eq_u32_e64 s[28:29], 0, v1
	v_min_i32_e32 v1, 31, v1
	v_cmp_eq_u64_e64 s[40:41], 0, v[4:5]
	v_lshlrev_b32_e32 v1, 2, v1
	v_and_b32_e32 v1, 0xfc, v1
	v_and_or_b32 v1, v4, 3, v1
	s_and_b64 s[28:29], s[28:29], s[40:41]
	v_cndmask_b32_e64 v1, v1, 0, s[28:29]
	v_or_b32_e32 v13, v1, v39
.LBB2_839:                              ;   in Loop: Header=BB2_353 Depth=4
	s_or_b64 exec, exec, s[38:39]
                                        ; implicit-def: $vgpr39
.LBB2_840:                              ;   in Loop: Header=BB2_353 Depth=4
	s_andn2_saveexec_b64 s[28:29], s[36:37]
; %bb.841:                              ;   in Loop: Header=BB2_353 Depth=4
	v_or_b32_e32 v13, 0x7b, v39
; %bb.842:                              ;   in Loop: Header=BB2_353 Depth=4
	s_or_b64 exec, exec, s[28:29]
                                        ; implicit-def: $vgpr1
.LBB2_843:                              ;   in Loop: Header=BB2_353 Depth=4
	s_andn2_saveexec_b64 s[40:41], s[42:43]
	s_cbranch_execz .LBB2_849
; %bb.844:                              ;   in Loop: Header=BB2_353 Depth=4
	v_cmp_ne_u64_e64 s[28:29], 0, v[2:3]
                                        ; implicit-def: $vgpr13
	s_and_saveexec_b64 s[42:43], s[28:29]
	s_xor_b64 s[28:29], exec, s[42:43]
; %bb.845:                              ;   in Loop: Header=BB2_353 Depth=4
	v_or_b32_sdwa v13, v1, s81 dst_sel:DWORD dst_unused:UNUSED_PAD src0_sel:BYTE_3 src1_sel:DWORD
                                        ; implicit-def: $vgpr1
; %bb.846:                              ;   in Loop: Header=BB2_353 Depth=4
	s_andn2_saveexec_b64 s[42:43], s[28:29]
; %bb.847:                              ;   in Loop: Header=BB2_353 Depth=4
	v_cmp_lt_i32_e64 s[28:29], -1, v1
	v_cndmask_b32_e64 v13, v0, v49, s[28:29]
; %bb.848:                              ;   in Loop: Header=BB2_353 Depth=4
	s_or_b64 exec, exec, s[42:43]
.LBB2_849:                              ;   in Loop: Header=BB2_353 Depth=4
	s_or_b64 exec, exec, s[40:41]
	v_cmp_lt_u64_e64 s[28:29], s[56:57], v[14:15]
	v_mov_b32_e32 v1, 0
	s_and_saveexec_b64 s[40:41], s[28:29]
	s_cbranch_execz .LBB2_857
; %bb.850:                              ;   in Loop: Header=BB2_353 Depth=4
	v_lshrrev_b32_e32 v2, 24, v15
	v_cmp_ne_u32_e64 s[28:29], s82, v2
	v_bfrev_b32_e32 v1, 1
	s_and_saveexec_b64 s[42:43], s[28:29]
	s_cbranch_execz .LBB2_856
; %bb.851:                              ;   in Loop: Header=BB2_353 Depth=4
	v_and_b32_e32 v1, 0x7c000000, v15
	v_bfe_u32 v4, v15, 24, 2
	v_cmp_ne_u32_e64 s[28:29], s83, v1
                                        ; implicit-def: $vgpr1
	s_and_saveexec_b64 s[36:37], s[28:29]
	s_xor_b64 s[36:37], exec, s[36:37]
	s_cbranch_execz .LBB2_853
; %bb.852:                              ;   in Loop: Header=BB2_353 Depth=4
	v_ffbh_u32_e32 v1, v4
	v_min_u32_e32 v8, 32, v1
	v_subrev_u32_e32 v1, 29, v8
	v_lshlrev_b64 v[1:2], v1, v[2:3]
	v_bfe_u32 v5, v15, 26, 5
	v_sub_u32_e32 v2, 30, v8
	v_and_b32_e32 v1, 3, v1
	v_cmp_eq_u32_e64 s[28:29], 0, v5
	v_cndmask_b32_e64 v2, v5, v2, s[28:29]
	v_cndmask_b32_e64 v1, v4, v1, s[28:29]
	v_and_b32_e32 v4, 0x80000000, v15
	v_lshl_add_u32 v2, v2, 23, v4
	v_lshl_or_b32 v1, v1, 21, v2
	v_add_u32_e32 v1, 0x38000000, v1
                                        ; implicit-def: $vgpr4
                                        ; implicit-def: $vgpr14_vgpr15
.LBB2_853:                              ;   in Loop: Header=BB2_353 Depth=4
	s_andn2_saveexec_b64 s[36:37], s[36:37]
; %bb.854:                              ;   in Loop: Header=BB2_353 Depth=4
	v_cmp_lt_i64_e64 s[28:29], -1, v[14:15]
	v_cndmask_b32_e64 v1, v27, v6, s[28:29]
	v_cmp_eq_u32_e64 s[28:29], 0, v4
	v_cndmask_b32_e64 v1, v7, v1, s[28:29]
; %bb.855:                              ;   in Loop: Header=BB2_353 Depth=4
	s_or_b64 exec, exec, s[36:37]
.LBB2_856:                              ;   in Loop: Header=BB2_353 Depth=4
	s_or_b64 exec, exec, s[42:43]
.LBB2_857:                              ;   in Loop: Header=BB2_353 Depth=4
	s_or_b64 exec, exec, s[40:41]
	v_bfe_u32 v8, v11, 24, 2
	v_and_b32_e32 v4, 0x7c000000, v11
	v_cmp_eq_u32_e64 s[28:29], s83, v4
	v_ffbh_u32_e32 v4, v8
	v_min_u32_e32 v14, 32, v4
	v_lshrrev_b32_e32 v2, 24, v11
	v_subrev_u32_e32 v4, 29, v14
	v_bfe_u32 v9, v11, 26, 5
	v_lshlrev_b64 v[4:5], v4, v[2:3]
	v_cmp_eq_u32_e64 s[40:41], 0, v9
	v_sub_u32_e32 v5, 30, v14
	v_and_b32_e32 v4, 3, v4
	v_cndmask_b32_e64 v5, v9, v5, s[40:41]
	v_and_b32_e32 v9, 0x80000000, v11
	v_cmp_lt_i64_e64 s[42:43], -1, v[10:11]
	v_cndmask_b32_e64 v4, v8, v4, s[40:41]
	v_lshl_add_u32 v5, v5, 23, v9
	v_lshl_or_b32 v4, v4, 21, v5
	v_cmp_eq_u32_e64 s[40:41], 0, v8
	v_cndmask_b32_e64 v5, v27, v6, s[42:43]
	v_add_u32_e32 v4, 0x38000000, v4
	v_cndmask_b32_e64 v5, v7, v5, s[40:41]
	v_cndmask_b32_e64 v4, v4, v5, s[28:29]
	v_cmp_ne_u32_e64 s[28:29], s82, v2
	v_cndmask_b32_e64 v2, v53, v4, s[28:29]
	v_cmp_lt_u64_e64 s[28:29], s[56:57], v[10:11]
	v_mov_b32_e32 v9, v3
	v_cndmask_b32_e64 v2, 0, v2, s[28:29]
	v_mul_f32_e32 v4, v2, v1
	v_and_b32_e32 v8, 0x7f800000, v4
	v_cmp_ne_u64_e64 s[28:29], s[62:63], v[8:9]
	v_and_b32_e32 v2, 0x7fffff, v4
                                        ; implicit-def: $vgpr1
	s_and_saveexec_b64 s[40:41], s[28:29]
	s_xor_b64 s[42:43], exec, s[40:41]
	s_cbranch_execz .LBB2_871
; %bb.858:                              ;   in Loop: Header=BB2_353 Depth=4
	v_and_b32_e32 v8, 0x7fffffff, v4
	v_mov_b32_e32 v9, v3
	v_cmp_gt_u64_e64 s[28:29], s[78:79], v[8:9]
	v_and_b32_sdwa v10, v4, s82 dst_sel:DWORD dst_unused:UNUSED_PAD src0_sel:BYTE_3 src1_sel:DWORD
                                        ; implicit-def: $vgpr1
	s_and_saveexec_b64 s[40:41], s[28:29]
	s_xor_b64 s[36:37], exec, s[40:41]
	s_cbranch_execz .LBB2_868
; %bb.859:                              ;   in Loop: Header=BB2_353 Depth=4
	v_mov_b32_e32 v1, 0
	v_cmp_ne_u32_e64 s[28:29], 0, v4
	s_and_saveexec_b64 s[38:39], s[28:29]
	s_cbranch_execz .LBB2_867
; %bb.860:                              ;   in Loop: Header=BB2_353 Depth=4
	v_bfe_u32 v1, v4, 23, 8
	v_cmp_gt_u32_e64 s[40:41], s44, v1
	v_sub_u32_e32 v4, 0x71, v1
	v_cmp_eq_u32_e64 s[28:29], 0, v1
	v_cndmask_b32_e64 v4, 0, v4, s[40:41]
	v_mov_b32_e32 v8, 0x70
	v_cndmask_b32_e64 v11, v4, v8, s[28:29]
	v_or_b32_e32 v5, 0x800000, v2
	v_add_u32_e32 v4, 21, v11
	v_cndmask_b32_e64 v2, v5, v2, s[28:29]
	v_lshlrev_b64 v[4:5], v4, -1
	v_add_u32_e32 v8, 20, v11
	v_lshlrev_b64 v[8:9], v8, 1
	v_bfi_b32 v5, v5, 0, 0
	v_bfi_b32 v4, v4, 0, v2
	v_cmp_eq_u64_e64 s[40:41], v[4:5], v[8:9]
	v_lshrrev_b64 v[8:9], v11, v[2:3]
	v_mov_b32_e32 v4, v8
	v_mov_b32_e32 v5, v9
	s_and_saveexec_b64 s[48:49], s[40:41]
; %bb.861:                              ;   in Loop: Header=BB2_353 Depth=4
	v_bfe_u32 v2, v8, 21, 1
	v_add_co_u32_e64 v2, s[40:41], v8, v2
	v_add_co_u32_e64 v4, s[40:41], -1, v2
; %bb.862:                              ;   in Loop: Header=BB2_353 Depth=4
	s_or_b64 exec, exec, s[48:49]
	v_add_u32_e32 v1, 0xffffff81, v1
	v_mov_b32_e32 v2, 0xffffff82
	v_cndmask_b32_e64 v1, v1, v2, s[28:29]
	v_lshrrev_b32_e32 v2, 23, v8
	v_add3_u32 v11, v11, v1, v2
	v_add_u32_e32 v5, 14, v11
	v_and_b32_e32 v1, 0x1fffff, v4
	v_add_u32_e32 v2, v1, v8
	v_cmp_ne_u32_e64 s[28:29], 0, v5
                                        ; implicit-def: $vgpr8_vgpr9
                                        ; implicit-def: $vgpr1
	s_and_saveexec_b64 s[40:41], s[28:29]
	s_xor_b64 s[40:41], exec, s[40:41]
; %bb.863:                              ;   in Loop: Header=BB2_353 Depth=4
	v_cmp_lt_u64_e64 s[28:29], s[88:89], v[2:3]
	v_add_u32_e32 v1, 15, v11
	v_cndmask_b32_e64 v4, 0, 1, s[28:29]
	v_cndmask_b32_e64 v1, v5, v1, s[28:29]
	v_lshrrev_b64 v[8:9], v4, v[2:3]
; %bb.864:                              ;   in Loop: Header=BB2_353 Depth=4
	s_andn2_saveexec_b64 s[28:29], s[40:41]
; %bb.865:                              ;   in Loop: Header=BB2_353 Depth=4
	v_mov_b32_e32 v9, v3
	v_bfe_u32 v1, v2, 23, 1
	v_mov_b32_e32 v8, v2
; %bb.866:                              ;   in Loop: Header=BB2_353 Depth=4
	s_or_b64 exec, exec, s[28:29]
	v_lshrrev_b64 v[4:5], 21, v[8:9]
	v_cmp_gt_i32_e64 s[28:29], 32, v1
	v_cndmask_b32_e64 v5, 0, v5, s[28:29]
	v_cndmask_b32_e64 v4, 3, v4, s[28:29]
	v_cmp_eq_u32_e64 s[28:29], 0, v1
	v_min_i32_e32 v1, 31, v1
	v_cmp_eq_u64_e64 s[40:41], 0, v[4:5]
	v_lshlrev_b32_e32 v1, 2, v1
	v_and_b32_e32 v1, 0xfc, v1
	v_and_or_b32 v1, v4, 3, v1
	s_and_b64 s[28:29], s[28:29], s[40:41]
	v_cndmask_b32_e64 v1, v1, 0, s[28:29]
	v_or_b32_e32 v1, v1, v10
.LBB2_867:                              ;   in Loop: Header=BB2_353 Depth=4
	s_or_b64 exec, exec, s[38:39]
                                        ; implicit-def: $vgpr10
.LBB2_868:                              ;   in Loop: Header=BB2_353 Depth=4
	s_andn2_saveexec_b64 s[28:29], s[36:37]
; %bb.869:                              ;   in Loop: Header=BB2_353 Depth=4
	v_or_b32_e32 v1, 0x7b, v10
; %bb.870:                              ;   in Loop: Header=BB2_353 Depth=4
	s_or_b64 exec, exec, s[28:29]
                                        ; implicit-def: $vgpr4
.LBB2_871:                              ;   in Loop: Header=BB2_353 Depth=4
	s_andn2_saveexec_b64 s[40:41], s[42:43]
	s_cbranch_execz .LBB2_352
; %bb.872:                              ;   in Loop: Header=BB2_353 Depth=4
	v_cmp_ne_u64_e64 s[28:29], 0, v[2:3]
                                        ; implicit-def: $vgpr1
	s_and_saveexec_b64 s[42:43], s[28:29]
	s_xor_b64 s[28:29], exec, s[42:43]
; %bb.873:                              ;   in Loop: Header=BB2_353 Depth=4
	v_or_b32_sdwa v1, v4, s81 dst_sel:DWORD dst_unused:UNUSED_PAD src0_sel:BYTE_3 src1_sel:DWORD
                                        ; implicit-def: $vgpr4
; %bb.874:                              ;   in Loop: Header=BB2_353 Depth=4
	s_andn2_saveexec_b64 s[42:43], s[28:29]
	s_cbranch_execz .LBB2_351
; %bb.875:                              ;   in Loop: Header=BB2_353 Depth=4
	v_cmp_lt_i32_e64 s[28:29], -1, v4
	v_cndmask_b32_e64 v1, v0, v49, s[28:29]
	s_branch .LBB2_351
.LBB2_876:                              ;   in Loop: Header=BB2_353 Depth=4
	s_or_saveexec_b64 s[40:41], s[40:41]
	v_bfrev_b32_e32 v2, 1
	s_xor_b64 exec, exec, s[40:41]
	s_cbranch_execz .LBB2_365
.LBB2_877:                              ;   in Loop: Header=BB2_353 Depth=4
	v_cmp_ne_u16_sdwa s[42:43], v8, v3 src0_sel:BYTE_0 src1_sel:DWORD
	s_andn2_b64 s[28:29], s[28:29], exec
	s_and_b64 s[42:43], s[42:43], exec
	v_mov_b32_e32 v2, 0
	s_or_b64 s[28:29], s[28:29], s[42:43]
	s_or_b64 exec, exec, s[40:41]
	s_and_saveexec_b64 s[36:37], s[28:29]
	s_cbranch_execnz .LBB2_366
	s_branch .LBB2_367
.LBB2_878:                              ;   in Loop: Header=BB2_353 Depth=4
	s_or_saveexec_b64 s[42:43], s[42:43]
	v_bfrev_b32_e32 v4, 1
	s_xor_b64 exec, exec, s[42:43]
	s_cbranch_execz .LBB2_399
.LBB2_879:                              ;   in Loop: Header=BB2_353 Depth=4
	v_cmp_ne_u16_e64 s[28:29], 0, v2
	s_andn2_b64 s[40:41], s[40:41], exec
	s_and_b64 s[28:29], s[28:29], exec
	v_mov_b32_e32 v4, 0
	s_or_b64 s[40:41], s[40:41], s[28:29]
	s_or_b64 exec, exec, s[42:43]
	s_and_saveexec_b64 s[36:37], s[40:41]
	s_cbranch_execnz .LBB2_400
	s_branch .LBB2_401
.LBB2_880:                              ;   in Loop: Header=BB2_353 Depth=4
	s_or_saveexec_b64 s[40:41], s[40:41]
	v_bfrev_b32_e32 v4, 1
	s_xor_b64 exec, exec, s[40:41]
	s_cbranch_execz .LBB2_433
.LBB2_881:                              ;   in Loop: Header=BB2_353 Depth=4
	v_cmp_ne_u16_sdwa s[42:43], v2, v3 src0_sel:BYTE_0 src1_sel:DWORD
	s_andn2_b64 s[28:29], s[28:29], exec
	s_and_b64 s[42:43], s[42:43], exec
	v_mov_b32_e32 v4, 0
	s_or_b64 s[28:29], s[28:29], s[42:43]
	s_or_b64 exec, exec, s[40:41]
	s_and_saveexec_b64 s[36:37], s[28:29]
	s_cbranch_execnz .LBB2_434
	s_branch .LBB2_435
.LBB2_882:                              ;   in Loop: Header=BB2_353 Depth=4
	s_or_saveexec_b64 s[42:43], s[42:43]
	v_bfrev_b32_e32 v4, 1
	s_xor_b64 exec, exec, s[42:43]
	s_cbranch_execz .LBB2_531
.LBB2_883:                              ;   in Loop: Header=BB2_353 Depth=4
	v_cmp_ne_u16_e64 s[28:29], 0, v2
	s_andn2_b64 s[40:41], s[40:41], exec
	s_and_b64 s[28:29], s[28:29], exec
	v_mov_b32_e32 v4, 0
	s_or_b64 s[40:41], s[40:41], s[28:29]
	s_or_b64 exec, exec, s[42:43]
	s_and_saveexec_b64 s[36:37], s[40:41]
	s_cbranch_execnz .LBB2_532
	s_branch .LBB2_533
.LBB2_884:                              ;   in Loop: Header=BB2_353 Depth=4
	s_or_saveexec_b64 s[40:41], s[40:41]
	v_bfrev_b32_e32 v4, 1
	s_xor_b64 exec, exec, s[40:41]
	s_cbranch_execz .LBB2_565
.LBB2_885:                              ;   in Loop: Header=BB2_353 Depth=4
	v_cmp_ne_u16_sdwa s[42:43], v2, v3 src0_sel:BYTE_0 src1_sel:DWORD
	s_andn2_b64 s[28:29], s[28:29], exec
	s_and_b64 s[42:43], s[42:43], exec
	v_mov_b32_e32 v4, 0
	s_or_b64 s[28:29], s[28:29], s[42:43]
	s_or_b64 exec, exec, s[40:41]
	s_and_saveexec_b64 s[36:37], s[28:29]
	s_cbranch_execnz .LBB2_566
	s_branch .LBB2_567
.LBB2_886:                              ;   in Loop: Header=BB2_353 Depth=4
	s_or_saveexec_b64 s[40:41], s[40:41]
	v_bfrev_b32_e32 v2, 1
	s_xor_b64 exec, exec, s[40:41]
	s_cbranch_execz .LBB2_627
.LBB2_887:                              ;   in Loop: Header=BB2_353 Depth=4
	v_cmp_ne_u16_sdwa s[42:43], v10, v3 src0_sel:BYTE_0 src1_sel:DWORD
	s_andn2_b64 s[28:29], s[28:29], exec
	s_and_b64 s[42:43], s[42:43], exec
	v_mov_b32_e32 v2, 0
	s_or_b64 s[28:29], s[28:29], s[42:43]
	s_or_b64 exec, exec, s[40:41]
	s_and_saveexec_b64 s[36:37], s[28:29]
	s_cbranch_execnz .LBB2_628
	s_branch .LBB2_629
.LBB2_888:                              ;   in Loop: Header=BB2_353 Depth=4
	s_or_saveexec_b64 s[42:43], s[42:43]
	v_bfrev_b32_e32 v4, 1
	s_xor_b64 exec, exec, s[42:43]
	s_cbranch_execz .LBB2_661
.LBB2_889:                              ;   in Loop: Header=BB2_353 Depth=4
	v_cmp_ne_u16_e64 s[28:29], 0, v2
	s_andn2_b64 s[40:41], s[40:41], exec
	s_and_b64 s[28:29], s[28:29], exec
	v_mov_b32_e32 v4, 0
	s_or_b64 s[40:41], s[40:41], s[28:29]
	s_or_b64 exec, exec, s[42:43]
	s_and_saveexec_b64 s[36:37], s[40:41]
	s_cbranch_execnz .LBB2_662
	s_branch .LBB2_663
.LBB2_890:                              ;   in Loop: Header=BB2_353 Depth=4
	s_or_saveexec_b64 s[40:41], s[40:41]
	v_bfrev_b32_e32 v4, 1
	s_xor_b64 exec, exec, s[40:41]
	s_cbranch_execz .LBB2_695
.LBB2_891:                              ;   in Loop: Header=BB2_353 Depth=4
	v_cmp_ne_u16_sdwa s[42:43], v2, v3 src0_sel:BYTE_0 src1_sel:DWORD
	s_andn2_b64 s[28:29], s[28:29], exec
	s_and_b64 s[42:43], s[42:43], exec
	v_mov_b32_e32 v4, 0
	s_or_b64 s[28:29], s[28:29], s[42:43]
	s_or_b64 exec, exec, s[40:41]
	s_and_saveexec_b64 s[36:37], s[28:29]
	s_cbranch_execnz .LBB2_696
	s_branch .LBB2_697
.LBB2_892:                              ;   in Loop: Header=BB2_353 Depth=4
	s_or_saveexec_b64 s[42:43], s[42:43]
	v_bfrev_b32_e32 v4, 1
	s_xor_b64 exec, exec, s[42:43]
	s_cbranch_execz .LBB2_793
.LBB2_893:                              ;   in Loop: Header=BB2_353 Depth=4
	v_cmp_ne_u16_e64 s[28:29], 0, v2
	s_andn2_b64 s[40:41], s[40:41], exec
	s_and_b64 s[28:29], s[28:29], exec
	v_mov_b32_e32 v4, 0
	s_or_b64 s[40:41], s[40:41], s[28:29]
	s_or_b64 exec, exec, s[42:43]
	s_and_saveexec_b64 s[36:37], s[40:41]
	s_cbranch_execnz .LBB2_794
	s_branch .LBB2_795
.LBB2_894:                              ;   in Loop: Header=BB2_353 Depth=4
	s_or_saveexec_b64 s[40:41], s[40:41]
	v_bfrev_b32_e32 v4, 1
	s_xor_b64 exec, exec, s[40:41]
	s_cbranch_execz .LBB2_827
.LBB2_895:                              ;   in Loop: Header=BB2_353 Depth=4
	v_cmp_ne_u16_sdwa s[42:43], v2, v3 src0_sel:BYTE_0 src1_sel:DWORD
	s_andn2_b64 s[28:29], s[28:29], exec
	s_and_b64 s[42:43], s[42:43], exec
	v_mov_b32_e32 v4, 0
	s_or_b64 s[28:29], s[28:29], s[42:43]
	s_or_b64 exec, exec, s[40:41]
	s_and_saveexec_b64 s[36:37], s[28:29]
	s_cbranch_execnz .LBB2_828
	s_branch .LBB2_829
.LBB2_896:                              ;   in Loop: Header=BB2_274 Depth=3
	s_or_b64 exec, exec, s[34:35]
	buffer_load_dword v47, off, s[0:3], s33 offset:168 ; 4-byte Folded Reload
	buffer_load_dword v56, off, s[0:3], s33 offset:172 ; 4-byte Folded Reload
	buffer_load_dword v43, off, s[0:3], s33 offset:148 ; 4-byte Folded Reload
	buffer_load_dword v46, off, s[0:3], s33 offset:152 ; 4-byte Folded Reload
	buffer_load_dword v39, off, s[0:3], s33 offset:156 ; 4-byte Folded Reload
	buffer_load_dword v40, off, s[0:3], s33 offset:160 ; 4-byte Folded Reload
	buffer_load_dword v12, off, s[0:3], s33 offset:176 ; 4-byte Folded Reload
	buffer_load_dword v13, off, s[0:3], s33 offset:180 ; 4-byte Folded Reload
	buffer_load_dword v4, off, s[0:3], s33 offset:188 ; 4-byte Folded Reload
	buffer_load_dword v5, off, s[0:3], s33 offset:196 ; 4-byte Folded Reload
.LBB2_897:                              ;   in Loop: Header=BB2_274 Depth=3
	s_or_b64 exec, exec, s[30:31]
	v_and_b32_e32 v2, 15, v60
	s_waitcnt vmcnt(0)
	v_cndmask_b32_e32 v8, v5, v2, vcc
	v_mov_b32_e32 v17, 0
	v_cmp_ne_u32_e64 s[28:29], 0, v8
	s_mov_b64 s[42:43], 0
                                        ; implicit-def: $vgpr24
                                        ; implicit-def: $vgpr25
                                        ; implicit-def: $vgpr1
	s_and_saveexec_b64 s[30:31], s[28:29]
	s_cbranch_execz .LBB2_1449
; %bb.898:                              ;   in Loop: Header=BB2_274 Depth=3
	v_sub_u32_e32 v1, v5, v2
	buffer_load_dword v2, off, s[0:3], s33 offset:184 ; 4-byte Folded Reload
	v_cndmask_b32_e32 v1, 0, v1, vcc
	v_cmp_lt_i32_e32 vcc, 0, v21
	v_add_u32_e32 v9, v1, v4
	v_cndmask_b32_e32 v1, 0, v35, vcc
	v_sub_u32_e32 v1, v1, v21
	s_waitcnt vmcnt(0)
	v_lshl_add_u32 v1, v1, 6, v2
	v_ashrrev_i32_e32 v2, 31, v1
	v_lshrrev_b32_e32 v2, 26, v2
	v_add_u32_e32 v2, v1, v2
	v_ashrrev_i32_e32 v4, 6, v2
	v_and_b32_e32 v2, 0xffffffc0, v2
	v_sub_u32_e32 v10, v1, v2
	v_ashrrev_i32_e32 v2, 31, v8
	v_lshrrev_b32_e32 v2, 22, v2
	v_add_u32_e32 v2, v8, v2
	v_and_b32_e32 v11, 0xfffffc00, v2
	v_lshlrev_b32_e32 v1, 4, v10
	v_sub_u32_e32 v14, v8, v11
	v_lshl_add_u32 v1, v4, 10, v1
	v_ashrrev_i32_e32 v5, 10, v2
	v_cmp_lt_i32_e32 vcc, 15, v14
	v_sub_u32_e32 v61, v8, v1
	v_addc_co_u32_e64 v2, s[28:29], 0, v5, vcc
	v_sub_u32_e32 v31, v2, v4
	v_cmp_lt_i32_e64 s[28:29], 15, v61
	s_and_saveexec_b64 s[34:35], s[28:29]
	s_cbranch_execz .LBB2_1446
; %bb.899:                              ;   in Loop: Header=BB2_274 Depth=3
	buffer_store_dword v14, off, s[0:3], s33 offset:232 ; 4-byte Folded Spill
	buffer_store_dword v11, off, s[0:3], s33 offset:228 ; 4-byte Folded Spill
	;; [unrolled: 1-line block ×5, first 2 shown]
	v_add_u32_e32 v4, v1, v9
	s_trap 2
	ds_read_b64 v[1:2], v0
	v_ashrrev_i32_e32 v5, 31, v4
	v_add_co_u32_e64 v46, s[28:29], v4, v44
	v_addc_co_u32_e64 v47, s[28:29], v5, v45, s[28:29]
	s_waitcnt lgkmcnt(0)
	v_add_co_u32_e64 v55, s[28:29], v1, v4
	v_addc_co_u32_e64 v56, s[28:29], v2, v5, s[28:29]
	v_add_co_u32_e64 v57, s[28:29], v4, v12
	buffer_store_dword v12, off, s[0:3], s33 offset:176 ; 4-byte Folded Spill
	s_nop 0
	buffer_store_dword v13, off, s[0:3], s33 offset:180 ; 4-byte Folded Spill
	s_mov_b64 s[36:37], 0
	v_addc_co_u32_e64 v58, s[28:29], v5, v13, s[28:29]
	s_branch .LBB2_902
.LBB2_900:                              ;   in Loop: Header=BB2_902 Depth=4
	s_or_b64 exec, exec, s[42:43]
.LBB2_901:                              ;   in Loop: Header=BB2_902 Depth=4
	s_or_b64 exec, exec, s[40:41]
	v_lshl_or_b32 v1, v18, 8, v24
	v_lshlrev_b32_e32 v2, 16, v16
	v_lshlrev_b32_e32 v5, 24, v17
	v_or3_b32 v9, v1, v2, v5
	v_lshl_or_b32 v1, v21, 8, v20
	v_lshlrev_b32_e32 v2, 16, v30
	v_lshlrev_b32_e32 v5, 24, v59
	v_add_co_u32_e64 v46, s[28:29], v46, v34
	v_or3_b32 v8, v1, v2, v5
	v_lshl_or_b32 v1, v52, 8, v25
	v_lshlrev_b32_e32 v2, 16, v40
	v_lshlrev_b32_e32 v5, 24, v41
	v_addc_co_u32_e64 v47, s[28:29], 0, v47, s[28:29]
	v_or3_b32 v10, v1, v2, v5
	v_lshlrev_b32_e32 v1, 24, v4
	v_lshlrev_b32_e32 v2, 16, v13
	v_lshl_or_b32 v4, v12, 8, v39
	v_add_co_u32_e64 v55, s[28:29], v55, v34
	v_or3_b32 v11, v4, v2, v1
	v_addc_co_u32_e64 v56, s[28:29], 0, v56, s[28:29]
	global_store_dwordx4 v[57:58], v[8:11], off glc slc
	v_add_co_u32_e64 v57, s[28:29], v57, v34
	v_addc_co_u32_e64 v58, s[28:29], 0, v58, s[28:29]
	v_sub_u32_e32 v61, v61, v34
	v_cmp_gt_i32_e64 s[28:29], 16, v61
	s_or_b64 s[36:37], s[28:29], s[36:37]
	v_sub_u32_e32 v31, v31, v35
	s_andn2_b64 exec, exec, s[36:37]
	s_cbranch_execz .LBB2_1445
.LBB2_902:                              ;   Parent Loop BB2_47 Depth=1
                                        ;     Parent Loop BB2_271 Depth=2
                                        ;       Parent Loop BB2_274 Depth=3
                                        ; =>      This Inner Loop Header: Depth=4
	global_load_dwordx4 v[12:15], v[46:47], off glc slc
	global_load_dwordx4 v[8:11], v[55:56], off glc slc
	v_mov_b32_e32 v1, 0
	s_waitcnt vmcnt(1)
	v_cmp_ne_u16_sdwa s[28:29], v12, v3 src0_sel:BYTE_0 src1_sel:DWORD
	s_and_saveexec_b64 s[40:41], s[28:29]
	s_cbranch_execz .LBB2_910
; %bb.903:                              ;   in Loop: Header=BB2_902 Depth=4
	v_cmp_ne_u16_sdwa s[28:29], sext(v12), s70 src0_sel:BYTE_0 src1_sel:DWORD
	v_bfrev_b32_e32 v1, 1
	s_and_saveexec_b64 s[42:43], s[28:29]
	s_cbranch_execz .LBB2_909
; %bb.904:                              ;   in Loop: Header=BB2_902 Depth=4
	v_and_b32_e32 v1, 0x7c, v12
	v_and_b32_e32 v2, 3, v12
	v_cmp_ne_u32_e64 s[28:29], s71, v1
                                        ; implicit-def: $vgpr1
	s_and_saveexec_b64 s[38:39], s[28:29]
	s_xor_b64 s[38:39], exec, s[38:39]
	s_cbranch_execz .LBB2_906
; %bb.905:                              ;   in Loop: Header=BB2_902 Depth=4
	v_ffbh_u32_e32 v4, v2
	v_min_u32_e32 v16, 32, v4
	v_subrev_u32_e32 v4, 29, v16
	v_lshlrev_b64 v[4:5], v4, v[12:13]
	v_bfe_u32 v1, v12, 2, 5
	v_and_b32_e32 v4, 3, v4
	v_cmp_eq_u32_e64 s[28:29], 0, v1
	v_sub_u32_e32 v5, 30, v16
	v_cndmask_b32_e64 v2, v2, v4, s[28:29]
	v_lshlrev_b32_e32 v4, 24, v12
	v_cndmask_b32_e64 v1, v1, v5, s[28:29]
	v_and_b32_e32 v4, 0x80000000, v4
	v_lshl_add_u32 v1, v1, 23, v4
	v_lshl_or_b32 v1, v2, 21, v1
	v_add_u32_e32 v1, 0x38000000, v1
                                        ; implicit-def: $vgpr2
.LBB2_906:                              ;   in Loop: Header=BB2_902 Depth=4
	s_andn2_saveexec_b64 s[38:39], s[38:39]
; %bb.907:                              ;   in Loop: Header=BB2_902 Depth=4
	v_cmp_gt_i16_sdwa s[28:29], sext(v12), v26 src0_sel:BYTE_0 src1_sel:DWORD
	v_cndmask_b32_e64 v1, v27, v6, s[28:29]
	v_cmp_eq_u32_e64 s[28:29], 0, v2
	v_cndmask_b32_e64 v1, v7, v1, s[28:29]
; %bb.908:                              ;   in Loop: Header=BB2_902 Depth=4
	s_or_b64 exec, exec, s[38:39]
.LBB2_909:                              ;   in Loop: Header=BB2_902 Depth=4
	s_or_b64 exec, exec, s[42:43]
.LBB2_910:                              ;   in Loop: Header=BB2_902 Depth=4
	s_or_b64 exec, exec, s[40:41]
	s_waitcnt vmcnt(0)
	v_cmp_gt_i16_sdwa s[40:41], v8, s81 src0_sel:BYTE_0 src1_sel:DWORD
	s_mov_b64 s[28:29], 0
	s_and_saveexec_b64 s[42:43], s[40:41]
	s_xor_b64 s[40:41], exec, s[42:43]
	s_cbranch_execz .LBB2_1425
; %bb.911:                              ;   in Loop: Header=BB2_902 Depth=4
	v_cmp_eq_u16_sdwa s[38:39], v8, s82 src0_sel:BYTE_0 src1_sel:DWORD
	s_mov_b64 s[28:29], -1
	s_and_saveexec_b64 s[42:43], s[38:39]
; %bb.912:                              ;   in Loop: Header=BB2_902 Depth=4
	s_xor_b64 s[28:29], exec, -1
; %bb.913:                              ;   in Loop: Header=BB2_902 Depth=4
	s_or_b64 exec, exec, s[42:43]
	s_and_b64 s[28:29], s[28:29], exec
	s_or_saveexec_b64 s[40:41], s[40:41]
	v_bfrev_b32_e32 v2, 1
	s_xor_b64 exec, exec, s[40:41]
	s_cbranch_execnz .LBB2_1426
.LBB2_914:                              ;   in Loop: Header=BB2_902 Depth=4
	s_or_b64 exec, exec, s[40:41]
	s_and_saveexec_b64 s[38:39], s[28:29]
	s_cbranch_execz .LBB2_916
.LBB2_915:                              ;   in Loop: Header=BB2_902 Depth=4
	v_and_b32_e32 v2, 3, v8
	v_and_b32_e32 v4, 0x7c, v8
	v_cmp_eq_u32_e64 s[28:29], s71, v4
	v_ffbh_u32_e32 v4, v2
	v_min_u32_e32 v17, 32, v4
	v_subrev_u32_e32 v4, 29, v17
	v_bfe_u32 v16, v8, 2, 5
	v_lshlrev_b64 v[4:5], v4, v[8:9]
	v_cmp_eq_u32_e64 s[40:41], 0, v16
	v_sub_u32_e32 v5, 30, v17
	v_cndmask_b32_e64 v5, v16, v5, s[40:41]
	v_lshlrev_b32_e32 v16, 24, v8
	v_and_b32_e32 v4, 3, v4
	v_and_b32_e32 v16, 0x80000000, v16
	v_cndmask_b32_e64 v4, v2, v4, s[40:41]
	v_lshl_add_u32 v5, v5, 23, v16
	v_cmp_gt_i16_sdwa s[42:43], sext(v8), v26 src0_sel:BYTE_0 src1_sel:DWORD
	v_lshl_or_b32 v4, v4, 21, v5
	v_cmp_eq_u32_e64 s[40:41], 0, v2
	v_cndmask_b32_e64 v2, v27, v6, s[42:43]
	v_add_u32_e32 v4, 0x38000000, v4
	v_cndmask_b32_e64 v2, v7, v2, s[40:41]
	v_cndmask_b32_e64 v2, v4, v2, s[28:29]
.LBB2_916:                              ;   in Loop: Header=BB2_902 Depth=4
	s_or_b64 exec, exec, s[38:39]
	v_mul_f32_e32 v1, v1, v2
	v_and_b32_e32 v4, 0x7f800000, v1
	v_mov_b32_e32 v5, v3
	v_cmp_ne_u64_e64 s[28:29], s[62:63], v[4:5]
	v_and_b32_e32 v2, 0x7fffff, v1
                                        ; implicit-def: $vgpr20
	s_and_saveexec_b64 s[40:41], s[28:29]
	s_xor_b64 s[42:43], exec, s[40:41]
	s_cbranch_execz .LBB2_930
; %bb.917:                              ;   in Loop: Header=BB2_902 Depth=4
	v_and_b32_e32 v4, 0x7fffffff, v1
	v_mov_b32_e32 v5, v3
	v_cmp_gt_u64_e64 s[28:29], s[78:79], v[4:5]
	v_and_b32_sdwa v18, v1, s82 dst_sel:DWORD dst_unused:UNUSED_PAD src0_sel:BYTE_3 src1_sel:DWORD
                                        ; implicit-def: $vgpr20
	s_and_saveexec_b64 s[40:41], s[28:29]
	s_xor_b64 s[38:39], exec, s[40:41]
	s_cbranch_execz .LBB2_927
; %bb.918:                              ;   in Loop: Header=BB2_902 Depth=4
	v_mov_b32_e32 v20, 0
	v_cmp_ne_u32_e64 s[28:29], 0, v1
	s_and_saveexec_b64 s[48:49], s[28:29]
	s_cbranch_execz .LBB2_926
; %bb.919:                              ;   in Loop: Header=BB2_902 Depth=4
	v_bfe_u32 v1, v1, 23, 8
	v_cmp_gt_u32_e64 s[40:41], s44, v1
	v_sub_u32_e32 v4, 0x71, v1
	v_cmp_eq_u32_e64 s[28:29], 0, v1
	v_cndmask_b32_e64 v4, 0, v4, s[40:41]
	v_mov_b32_e32 v16, 0x70
	v_cndmask_b32_e64 v20, v4, v16, s[28:29]
	v_or_b32_e32 v5, 0x800000, v2
	v_add_u32_e32 v4, 21, v20
	v_cndmask_b32_e64 v2, v5, v2, s[28:29]
	v_lshlrev_b64 v[4:5], v4, -1
	v_add_u32_e32 v16, 20, v20
	v_lshlrev_b64 v[16:17], v16, 1
	v_bfi_b32 v5, v5, 0, 0
	v_bfi_b32 v4, v4, 0, v2
	v_cmp_eq_u64_e64 s[40:41], v[4:5], v[16:17]
	v_lshrrev_b64 v[16:17], v20, v[2:3]
	v_mov_b32_e32 v4, v16
	v_mov_b32_e32 v5, v17
	s_and_saveexec_b64 s[50:51], s[40:41]
; %bb.920:                              ;   in Loop: Header=BB2_902 Depth=4
	v_bfe_u32 v2, v16, 21, 1
	v_add_co_u32_e64 v2, s[40:41], v16, v2
	v_add_co_u32_e64 v4, s[40:41], -1, v2
; %bb.921:                              ;   in Loop: Header=BB2_902 Depth=4
	s_or_b64 exec, exec, s[50:51]
	v_add_u32_e32 v1, 0xffffff81, v1
	v_mov_b32_e32 v2, 0xffffff82
	v_cndmask_b32_e64 v1, v1, v2, s[28:29]
	v_lshrrev_b32_e32 v2, 23, v16
	v_add3_u32 v19, v20, v1, v2
	v_add_u32_e32 v5, 14, v19
	v_and_b32_e32 v1, 0x1fffff, v4
	v_add_u32_e32 v2, v1, v16
	v_cmp_ne_u32_e64 s[28:29], 0, v5
                                        ; implicit-def: $vgpr16_vgpr17
                                        ; implicit-def: $vgpr1
	s_and_saveexec_b64 s[40:41], s[28:29]
	s_xor_b64 s[40:41], exec, s[40:41]
; %bb.922:                              ;   in Loop: Header=BB2_902 Depth=4
	v_cmp_lt_u64_e64 s[28:29], s[88:89], v[2:3]
	v_add_u32_e32 v1, 15, v19
	v_cndmask_b32_e64 v4, 0, 1, s[28:29]
	v_cndmask_b32_e64 v1, v5, v1, s[28:29]
	v_lshrrev_b64 v[16:17], v4, v[2:3]
; %bb.923:                              ;   in Loop: Header=BB2_902 Depth=4
	s_andn2_saveexec_b64 s[28:29], s[40:41]
; %bb.924:                              ;   in Loop: Header=BB2_902 Depth=4
	v_mov_b32_e32 v17, v3
	v_bfe_u32 v1, v2, 23, 1
	v_mov_b32_e32 v16, v2
; %bb.925:                              ;   in Loop: Header=BB2_902 Depth=4
	s_or_b64 exec, exec, s[28:29]
	v_lshrrev_b64 v[4:5], 21, v[16:17]
	v_cmp_gt_i32_e64 s[28:29], 32, v1
	v_cndmask_b32_e64 v5, 0, v5, s[28:29]
	v_cndmask_b32_e64 v4, 3, v4, s[28:29]
	v_cmp_eq_u32_e64 s[28:29], 0, v1
	v_min_i32_e32 v1, 31, v1
	v_cmp_eq_u64_e64 s[40:41], 0, v[4:5]
	v_lshlrev_b32_e32 v1, 2, v1
	v_and_b32_e32 v1, 0xfc, v1
	v_and_or_b32 v1, v4, 3, v1
	s_and_b64 s[28:29], s[28:29], s[40:41]
	v_cndmask_b32_e64 v1, v1, 0, s[28:29]
	v_or_b32_e32 v20, v1, v18
.LBB2_926:                              ;   in Loop: Header=BB2_902 Depth=4
	s_or_b64 exec, exec, s[48:49]
                                        ; implicit-def: $vgpr18
.LBB2_927:                              ;   in Loop: Header=BB2_902 Depth=4
	s_andn2_saveexec_b64 s[28:29], s[38:39]
; %bb.928:                              ;   in Loop: Header=BB2_902 Depth=4
	v_or_b32_e32 v20, 0x7b, v18
; %bb.929:                              ;   in Loop: Header=BB2_902 Depth=4
	s_or_b64 exec, exec, s[28:29]
                                        ; implicit-def: $vgpr1
.LBB2_930:                              ;   in Loop: Header=BB2_902 Depth=4
	s_andn2_saveexec_b64 s[40:41], s[42:43]
	s_cbranch_execz .LBB2_936
; %bb.931:                              ;   in Loop: Header=BB2_902 Depth=4
	v_cmp_ne_u64_e64 s[28:29], 0, v[2:3]
                                        ; implicit-def: $vgpr20
	s_and_saveexec_b64 s[42:43], s[28:29]
	s_xor_b64 s[28:29], exec, s[42:43]
; %bb.932:                              ;   in Loop: Header=BB2_902 Depth=4
	v_or_b32_sdwa v20, v1, s81 dst_sel:DWORD dst_unused:UNUSED_PAD src0_sel:BYTE_3 src1_sel:DWORD
                                        ; implicit-def: $vgpr1
; %bb.933:                              ;   in Loop: Header=BB2_902 Depth=4
	s_andn2_saveexec_b64 s[42:43], s[28:29]
; %bb.934:                              ;   in Loop: Header=BB2_902 Depth=4
	v_cmp_lt_i32_e64 s[28:29], -1, v1
	v_cndmask_b32_e64 v20, v0, v49, s[28:29]
; %bb.935:                              ;   in Loop: Header=BB2_902 Depth=4
	s_or_b64 exec, exec, s[42:43]
.LBB2_936:                              ;   in Loop: Header=BB2_902 Depth=4
	s_or_b64 exec, exec, s[40:41]
	v_lshrrev_b16_e32 v2, 8, v12
	v_cmp_ne_u16_e64 s[28:29], 0, v2
	v_mov_b32_e32 v1, 0
	s_and_saveexec_b64 s[40:41], s[28:29]
	s_cbranch_execz .LBB2_944
; %bb.937:                              ;   in Loop: Header=BB2_902 Depth=4
	v_cmp_ne_u16_e64 s[28:29], s82, v2
	v_bfrev_b32_e32 v1, 1
	s_and_saveexec_b64 s[42:43], s[28:29]
	s_cbranch_execz .LBB2_943
; %bb.938:                              ;   in Loop: Header=BB2_902 Depth=4
	v_and_b32_e32 v1, 0x7c, v2
	v_and_b32_e32 v4, 3, v2
	v_cmp_ne_u32_e64 s[28:29], s71, v1
                                        ; implicit-def: $vgpr1
	s_and_saveexec_b64 s[38:39], s[28:29]
	s_xor_b64 s[38:39], exec, s[38:39]
	s_cbranch_execz .LBB2_940
; %bb.939:                              ;   in Loop: Header=BB2_902 Depth=4
	v_ffbh_u32_e32 v1, v4
	v_min_u32_e32 v16, 32, v1
	v_subrev_u32_e32 v1, 29, v16
	v_bfe_u32 v5, v2, 2, 5
	v_lshlrev_b64 v[1:2], v1, v[2:3]
	v_cmp_eq_u32_e64 s[28:29], 0, v5
	v_and_b32_e32 v1, 3, v1
	v_sub_u32_e32 v2, 30, v16
	v_cndmask_b32_e64 v1, v4, v1, s[28:29]
	v_lshlrev_b32_e32 v4, 16, v12
	v_cndmask_b32_e64 v2, v5, v2, s[28:29]
	v_and_b32_e32 v4, 0x80000000, v4
	v_lshl_add_u32 v2, v2, 23, v4
	v_lshl_or_b32 v1, v1, 21, v2
	v_add_u32_e32 v1, 0x38000000, v1
                                        ; implicit-def: $vgpr4
.LBB2_940:                              ;   in Loop: Header=BB2_902 Depth=4
	s_andn2_saveexec_b64 s[38:39], s[38:39]
; %bb.941:                              ;   in Loop: Header=BB2_902 Depth=4
	v_cmp_lt_i16_e64 s[28:29], -1, v12
	v_cndmask_b32_e64 v1, v27, v6, s[28:29]
	v_cmp_eq_u32_e64 s[28:29], 0, v4
	v_cndmask_b32_e64 v1, v7, v1, s[28:29]
; %bb.942:                              ;   in Loop: Header=BB2_902 Depth=4
	s_or_b64 exec, exec, s[38:39]
.LBB2_943:                              ;   in Loop: Header=BB2_902 Depth=4
	s_or_b64 exec, exec, s[42:43]
.LBB2_944:                              ;   in Loop: Header=BB2_902 Depth=4
	s_or_b64 exec, exec, s[40:41]
	v_lshrrev_b16_e32 v2, 8, v8
	v_cmp_lt_i16_e64 s[28:29], s81, v2
	s_mov_b64 s[40:41], 0
	s_and_saveexec_b64 s[42:43], s[28:29]
	s_xor_b64 s[42:43], exec, s[42:43]
	s_cbranch_execz .LBB2_1427
; %bb.945:                              ;   in Loop: Header=BB2_902 Depth=4
	v_cmp_eq_u16_e64 s[28:29], s82, v2
	s_mov_b64 s[40:41], -1
	s_and_saveexec_b64 s[38:39], s[28:29]
; %bb.946:                              ;   in Loop: Header=BB2_902 Depth=4
	s_xor_b64 s[40:41], exec, -1
; %bb.947:                              ;   in Loop: Header=BB2_902 Depth=4
	s_or_b64 exec, exec, s[38:39]
	s_and_b64 s[40:41], s[40:41], exec
	s_or_saveexec_b64 s[42:43], s[42:43]
	v_bfrev_b32_e32 v4, 1
	s_xor_b64 exec, exec, s[42:43]
	s_cbranch_execnz .LBB2_1428
.LBB2_948:                              ;   in Loop: Header=BB2_902 Depth=4
	s_or_b64 exec, exec, s[42:43]
	s_and_saveexec_b64 s[38:39], s[40:41]
	s_cbranch_execz .LBB2_950
.LBB2_949:                              ;   in Loop: Header=BB2_902 Depth=4
	v_and_b32_e32 v16, 3, v2
	v_and_b32_e32 v4, 0x7c, v2
	v_cmp_eq_u32_e64 s[28:29], s71, v4
	v_ffbh_u32_e32 v4, v16
	v_min_u32_e32 v18, 32, v4
	v_subrev_u32_e32 v4, 29, v18
	v_bfe_u32 v17, v2, 2, 5
	v_lshlrev_b64 v[4:5], v4, v[2:3]
	v_cmp_eq_u32_e64 s[40:41], 0, v17
	v_sub_u32_e32 v5, 30, v18
	v_lshlrev_b32_e32 v2, 24, v2
	v_and_b32_e32 v4, 3, v4
	v_cndmask_b32_e64 v5, v17, v5, s[40:41]
	v_and_b32_e32 v2, 0x80000000, v2
	v_cndmask_b32_e64 v4, v16, v4, s[40:41]
	v_lshl_add_u32 v2, v5, 23, v2
	v_cmp_lt_i16_e64 s[42:43], -1, v8
	v_lshl_or_b32 v2, v4, 21, v2
	v_cmp_eq_u32_e64 s[40:41], 0, v16
	v_cndmask_b32_e64 v4, v27, v6, s[42:43]
	v_add_u32_e32 v2, 0x38000000, v2
	v_cndmask_b32_e64 v4, v7, v4, s[40:41]
	v_cndmask_b32_e64 v4, v2, v4, s[28:29]
.LBB2_950:                              ;   in Loop: Header=BB2_902 Depth=4
	s_or_b64 exec, exec, s[38:39]
	v_mul_f32_e32 v1, v1, v4
	v_and_b32_e32 v4, 0x7f800000, v1
	v_mov_b32_e32 v5, v3
	v_cmp_ne_u64_e64 s[28:29], s[62:63], v[4:5]
	v_and_b32_e32 v2, 0x7fffff, v1
                                        ; implicit-def: $vgpr21
	s_and_saveexec_b64 s[40:41], s[28:29]
	s_xor_b64 s[42:43], exec, s[40:41]
	s_cbranch_execz .LBB2_964
; %bb.951:                              ;   in Loop: Header=BB2_902 Depth=4
	v_and_b32_e32 v4, 0x7fffffff, v1
	v_mov_b32_e32 v5, v3
	v_cmp_gt_u64_e64 s[28:29], s[78:79], v[4:5]
	v_and_b32_sdwa v18, v1, s82 dst_sel:DWORD dst_unused:UNUSED_PAD src0_sel:BYTE_3 src1_sel:DWORD
                                        ; implicit-def: $vgpr21
	s_and_saveexec_b64 s[40:41], s[28:29]
	s_xor_b64 s[38:39], exec, s[40:41]
	s_cbranch_execz .LBB2_961
; %bb.952:                              ;   in Loop: Header=BB2_902 Depth=4
	v_mov_b32_e32 v21, 0
	v_cmp_ne_u32_e64 s[28:29], 0, v1
	s_and_saveexec_b64 s[48:49], s[28:29]
	s_cbranch_execz .LBB2_960
; %bb.953:                              ;   in Loop: Header=BB2_902 Depth=4
	v_bfe_u32 v1, v1, 23, 8
	v_cmp_gt_u32_e64 s[40:41], s44, v1
	v_sub_u32_e32 v4, 0x71, v1
	v_cmp_eq_u32_e64 s[28:29], 0, v1
	v_cndmask_b32_e64 v4, 0, v4, s[40:41]
	v_mov_b32_e32 v16, 0x70
	v_cndmask_b32_e64 v21, v4, v16, s[28:29]
	v_or_b32_e32 v5, 0x800000, v2
	v_add_u32_e32 v4, 21, v21
	v_cndmask_b32_e64 v2, v5, v2, s[28:29]
	v_lshlrev_b64 v[4:5], v4, -1
	v_add_u32_e32 v16, 20, v21
	v_lshlrev_b64 v[16:17], v16, 1
	v_bfi_b32 v5, v5, 0, 0
	v_bfi_b32 v4, v4, 0, v2
	v_cmp_eq_u64_e64 s[40:41], v[4:5], v[16:17]
	v_lshrrev_b64 v[16:17], v21, v[2:3]
	v_mov_b32_e32 v4, v16
	v_mov_b32_e32 v5, v17
	s_and_saveexec_b64 s[50:51], s[40:41]
; %bb.954:                              ;   in Loop: Header=BB2_902 Depth=4
	v_bfe_u32 v2, v16, 21, 1
	v_add_co_u32_e64 v2, s[40:41], v16, v2
	v_add_co_u32_e64 v4, s[40:41], -1, v2
; %bb.955:                              ;   in Loop: Header=BB2_902 Depth=4
	s_or_b64 exec, exec, s[50:51]
	v_add_u32_e32 v1, 0xffffff81, v1
	v_mov_b32_e32 v2, 0xffffff82
	v_cndmask_b32_e64 v1, v1, v2, s[28:29]
	v_lshrrev_b32_e32 v2, 23, v16
	v_add3_u32 v19, v21, v1, v2
	v_add_u32_e32 v5, 14, v19
	v_and_b32_e32 v1, 0x1fffff, v4
	v_add_u32_e32 v2, v1, v16
	v_cmp_ne_u32_e64 s[28:29], 0, v5
                                        ; implicit-def: $vgpr16_vgpr17
                                        ; implicit-def: $vgpr1
	s_and_saveexec_b64 s[40:41], s[28:29]
	s_xor_b64 s[40:41], exec, s[40:41]
; %bb.956:                              ;   in Loop: Header=BB2_902 Depth=4
	v_cmp_lt_u64_e64 s[28:29], s[88:89], v[2:3]
	v_add_u32_e32 v1, 15, v19
	v_cndmask_b32_e64 v4, 0, 1, s[28:29]
	v_cndmask_b32_e64 v1, v5, v1, s[28:29]
	v_lshrrev_b64 v[16:17], v4, v[2:3]
; %bb.957:                              ;   in Loop: Header=BB2_902 Depth=4
	s_andn2_saveexec_b64 s[28:29], s[40:41]
; %bb.958:                              ;   in Loop: Header=BB2_902 Depth=4
	v_mov_b32_e32 v17, v3
	v_bfe_u32 v1, v2, 23, 1
	v_mov_b32_e32 v16, v2
; %bb.959:                              ;   in Loop: Header=BB2_902 Depth=4
	s_or_b64 exec, exec, s[28:29]
	v_lshrrev_b64 v[4:5], 21, v[16:17]
	v_cmp_gt_i32_e64 s[28:29], 32, v1
	v_cndmask_b32_e64 v5, 0, v5, s[28:29]
	v_cndmask_b32_e64 v4, 3, v4, s[28:29]
	v_cmp_eq_u32_e64 s[28:29], 0, v1
	v_min_i32_e32 v1, 31, v1
	v_cmp_eq_u64_e64 s[40:41], 0, v[4:5]
	v_lshlrev_b32_e32 v1, 2, v1
	v_and_b32_e32 v1, 0xfc, v1
	v_and_or_b32 v1, v4, 3, v1
	s_and_b64 s[28:29], s[28:29], s[40:41]
	v_cndmask_b32_e64 v1, v1, 0, s[28:29]
	v_or_b32_e32 v21, v1, v18
.LBB2_960:                              ;   in Loop: Header=BB2_902 Depth=4
	s_or_b64 exec, exec, s[48:49]
                                        ; implicit-def: $vgpr18
.LBB2_961:                              ;   in Loop: Header=BB2_902 Depth=4
	s_andn2_saveexec_b64 s[28:29], s[38:39]
; %bb.962:                              ;   in Loop: Header=BB2_902 Depth=4
	v_or_b32_e32 v21, 0x7b, v18
; %bb.963:                              ;   in Loop: Header=BB2_902 Depth=4
	s_or_b64 exec, exec, s[28:29]
                                        ; implicit-def: $vgpr1
.LBB2_964:                              ;   in Loop: Header=BB2_902 Depth=4
	s_andn2_saveexec_b64 s[40:41], s[42:43]
	s_cbranch_execz .LBB2_970
; %bb.965:                              ;   in Loop: Header=BB2_902 Depth=4
	v_cmp_ne_u64_e64 s[28:29], 0, v[2:3]
                                        ; implicit-def: $vgpr21
	s_and_saveexec_b64 s[42:43], s[28:29]
	s_xor_b64 s[28:29], exec, s[42:43]
; %bb.966:                              ;   in Loop: Header=BB2_902 Depth=4
	v_or_b32_sdwa v21, v1, s81 dst_sel:DWORD dst_unused:UNUSED_PAD src0_sel:BYTE_3 src1_sel:DWORD
                                        ; implicit-def: $vgpr1
; %bb.967:                              ;   in Loop: Header=BB2_902 Depth=4
	s_andn2_saveexec_b64 s[42:43], s[28:29]
; %bb.968:                              ;   in Loop: Header=BB2_902 Depth=4
	v_cmp_lt_i32_e64 s[28:29], -1, v1
	v_cndmask_b32_e64 v21, v0, v49, s[28:29]
; %bb.969:                              ;   in Loop: Header=BB2_902 Depth=4
	s_or_b64 exec, exec, s[42:43]
.LBB2_970:                              ;   in Loop: Header=BB2_902 Depth=4
	s_or_b64 exec, exec, s[40:41]
	v_lshrrev_b32_e32 v2, 16, v12
	v_cmp_ne_u16_sdwa s[28:29], v2, v3 src0_sel:BYTE_0 src1_sel:DWORD
	v_mov_b32_e32 v1, 0
	s_and_saveexec_b64 s[40:41], s[28:29]
	s_cbranch_execz .LBB2_978
; %bb.971:                              ;   in Loop: Header=BB2_902 Depth=4
	v_cmp_ne_u16_sdwa s[28:29], v2, s82 src0_sel:BYTE_0 src1_sel:DWORD
	v_bfrev_b32_e32 v1, 1
	s_and_saveexec_b64 s[42:43], s[28:29]
	s_cbranch_execz .LBB2_977
; %bb.972:                              ;   in Loop: Header=BB2_902 Depth=4
	v_and_b32_e32 v1, 0x7c0000, v12
	v_bfe_u32 v4, v12, 16, 2
	v_cmp_ne_u32_e64 s[28:29], s45, v1
                                        ; implicit-def: $vgpr1
	s_and_saveexec_b64 s[38:39], s[28:29]
	s_xor_b64 s[38:39], exec, s[38:39]
	s_cbranch_execz .LBB2_974
; %bb.973:                              ;   in Loop: Header=BB2_902 Depth=4
	v_ffbh_u32_e32 v1, v4
	v_min_u32_e32 v16, 32, v1
	v_subrev_u32_e32 v1, 29, v16
	v_lshlrev_b64 v[1:2], v1, v[2:3]
	v_bfe_u32 v5, v12, 18, 5
	v_and_b32_e32 v1, 3, v1
	v_cmp_eq_u32_e64 s[28:29], 0, v5
	v_sub_u32_e32 v2, 30, v16
	v_cndmask_b32_e64 v1, v4, v1, s[28:29]
	v_lshlrev_b32_e32 v4, 8, v12
	v_cndmask_b32_e64 v2, v5, v2, s[28:29]
	v_and_b32_e32 v4, 0x80000000, v4
	v_lshl_add_u32 v2, v2, 23, v4
	v_lshl_or_b32 v1, v1, 21, v2
	v_add_u32_e32 v1, 0x38000000, v1
                                        ; implicit-def: $vgpr4
                                        ; implicit-def: $vgpr2
.LBB2_974:                              ;   in Loop: Header=BB2_902 Depth=4
	s_andn2_saveexec_b64 s[38:39], s[38:39]
; %bb.975:                              ;   in Loop: Header=BB2_902 Depth=4
	v_cmp_gt_i16_sdwa s[28:29], sext(v2), v26 src0_sel:BYTE_0 src1_sel:DWORD
	v_cndmask_b32_e64 v1, v27, v6, s[28:29]
	v_cmp_eq_u32_e64 s[28:29], 0, v4
	v_cndmask_b32_e64 v1, v7, v1, s[28:29]
; %bb.976:                              ;   in Loop: Header=BB2_902 Depth=4
	s_or_b64 exec, exec, s[38:39]
.LBB2_977:                              ;   in Loop: Header=BB2_902 Depth=4
	s_or_b64 exec, exec, s[42:43]
.LBB2_978:                              ;   in Loop: Header=BB2_902 Depth=4
	s_or_b64 exec, exec, s[40:41]
	v_lshrrev_b32_e32 v2, 16, v8
	v_cmp_gt_i16_sdwa s[40:41], v2, s81 src0_sel:BYTE_0 src1_sel:DWORD
	s_mov_b64 s[28:29], 0
	s_and_saveexec_b64 s[42:43], s[40:41]
	s_xor_b64 s[40:41], exec, s[42:43]
	s_cbranch_execz .LBB2_1429
; %bb.979:                              ;   in Loop: Header=BB2_902 Depth=4
	v_cmp_eq_u16_sdwa s[38:39], v2, s82 src0_sel:BYTE_0 src1_sel:DWORD
	s_mov_b64 s[28:29], -1
	s_and_saveexec_b64 s[42:43], s[38:39]
; %bb.980:                              ;   in Loop: Header=BB2_902 Depth=4
	s_xor_b64 s[28:29], exec, -1
; %bb.981:                              ;   in Loop: Header=BB2_902 Depth=4
	s_or_b64 exec, exec, s[42:43]
	s_and_b64 s[28:29], s[28:29], exec
	s_or_saveexec_b64 s[40:41], s[40:41]
	v_bfrev_b32_e32 v4, 1
	s_xor_b64 exec, exec, s[40:41]
	s_cbranch_execnz .LBB2_1430
.LBB2_982:                              ;   in Loop: Header=BB2_902 Depth=4
	s_or_b64 exec, exec, s[40:41]
	s_and_saveexec_b64 s[38:39], s[28:29]
	s_cbranch_execz .LBB2_984
.LBB2_983:                              ;   in Loop: Header=BB2_902 Depth=4
	v_and_b32_e32 v16, 3, v2
	v_and_b32_e32 v4, 0x7c0000, v8
	v_cmp_eq_u32_e64 s[28:29], s45, v4
	v_ffbh_u32_e32 v4, v16
	v_min_u32_e32 v18, 32, v4
	v_subrev_u32_e32 v4, 29, v18
	v_bfe_u32 v17, v8, 18, 5
	v_lshlrev_b64 v[4:5], v4, v[2:3]
	v_cmp_eq_u32_e64 s[40:41], 0, v17
	v_sub_u32_e32 v5, 30, v18
	v_cndmask_b32_e64 v5, v17, v5, s[40:41]
	v_lshlrev_b32_e32 v17, 24, v2
	v_and_b32_e32 v4, 3, v4
	v_and_b32_e32 v17, 0x80000000, v17
	v_cndmask_b32_e64 v4, v16, v4, s[40:41]
	v_lshl_add_u32 v5, v5, 23, v17
	v_cmp_gt_i16_sdwa s[42:43], sext(v2), v26 src0_sel:BYTE_0 src1_sel:DWORD
	v_lshl_or_b32 v4, v4, 21, v5
	v_cmp_eq_u32_e64 s[40:41], 0, v16
	v_cndmask_b32_e64 v2, v27, v6, s[42:43]
	v_add_u32_e32 v4, 0x38000000, v4
	v_cndmask_b32_e64 v2, v7, v2, s[40:41]
	v_cndmask_b32_e64 v4, v4, v2, s[28:29]
.LBB2_984:                              ;   in Loop: Header=BB2_902 Depth=4
	s_or_b64 exec, exec, s[38:39]
	v_mul_f32_e32 v1, v1, v4
	v_and_b32_e32 v4, 0x7f800000, v1
	v_mov_b32_e32 v5, v3
	v_cmp_ne_u64_e64 s[28:29], s[62:63], v[4:5]
	v_and_b32_e32 v2, 0x7fffff, v1
                                        ; implicit-def: $vgpr30
	s_and_saveexec_b64 s[40:41], s[28:29]
	s_xor_b64 s[42:43], exec, s[40:41]
	s_cbranch_execz .LBB2_998
; %bb.985:                              ;   in Loop: Header=BB2_902 Depth=4
	v_and_b32_e32 v4, 0x7fffffff, v1
	v_mov_b32_e32 v5, v3
	v_cmp_gt_u64_e64 s[28:29], s[78:79], v[4:5]
	v_and_b32_sdwa v18, v1, s82 dst_sel:DWORD dst_unused:UNUSED_PAD src0_sel:BYTE_3 src1_sel:DWORD
                                        ; implicit-def: $vgpr30
	s_and_saveexec_b64 s[40:41], s[28:29]
	s_xor_b64 s[38:39], exec, s[40:41]
	s_cbranch_execz .LBB2_995
; %bb.986:                              ;   in Loop: Header=BB2_902 Depth=4
	v_mov_b32_e32 v30, 0
	v_cmp_ne_u32_e64 s[28:29], 0, v1
	s_and_saveexec_b64 s[48:49], s[28:29]
	s_cbranch_execz .LBB2_994
; %bb.987:                              ;   in Loop: Header=BB2_902 Depth=4
	v_bfe_u32 v1, v1, 23, 8
	v_cmp_gt_u32_e64 s[40:41], s44, v1
	v_sub_u32_e32 v4, 0x71, v1
	v_cmp_eq_u32_e64 s[28:29], 0, v1
	v_cndmask_b32_e64 v4, 0, v4, s[40:41]
	v_mov_b32_e32 v16, 0x70
	v_cndmask_b32_e64 v24, v4, v16, s[28:29]
	v_or_b32_e32 v5, 0x800000, v2
	v_add_u32_e32 v4, 21, v24
	v_cndmask_b32_e64 v2, v5, v2, s[28:29]
	v_lshlrev_b64 v[4:5], v4, -1
	v_add_u32_e32 v16, 20, v24
	v_lshlrev_b64 v[16:17], v16, 1
	v_bfi_b32 v5, v5, 0, 0
	v_bfi_b32 v4, v4, 0, v2
	v_cmp_eq_u64_e64 s[40:41], v[4:5], v[16:17]
	v_lshrrev_b64 v[16:17], v24, v[2:3]
	v_mov_b32_e32 v4, v16
	v_mov_b32_e32 v5, v17
	s_and_saveexec_b64 s[50:51], s[40:41]
; %bb.988:                              ;   in Loop: Header=BB2_902 Depth=4
	v_bfe_u32 v2, v16, 21, 1
	v_add_co_u32_e64 v2, s[40:41], v16, v2
	v_add_co_u32_e64 v4, s[40:41], -1, v2
; %bb.989:                              ;   in Loop: Header=BB2_902 Depth=4
	s_or_b64 exec, exec, s[50:51]
	v_add_u32_e32 v1, 0xffffff81, v1
	v_mov_b32_e32 v2, 0xffffff82
	v_cndmask_b32_e64 v1, v1, v2, s[28:29]
	v_lshrrev_b32_e32 v2, 23, v16
	v_add3_u32 v19, v24, v1, v2
	v_add_u32_e32 v5, 14, v19
	v_and_b32_e32 v1, 0x1fffff, v4
	v_add_u32_e32 v2, v1, v16
	v_cmp_ne_u32_e64 s[28:29], 0, v5
                                        ; implicit-def: $vgpr16_vgpr17
                                        ; implicit-def: $vgpr1
	s_and_saveexec_b64 s[40:41], s[28:29]
	s_xor_b64 s[40:41], exec, s[40:41]
; %bb.990:                              ;   in Loop: Header=BB2_902 Depth=4
	v_cmp_lt_u64_e64 s[28:29], s[88:89], v[2:3]
	v_add_u32_e32 v1, 15, v19
	v_cndmask_b32_e64 v4, 0, 1, s[28:29]
	v_cndmask_b32_e64 v1, v5, v1, s[28:29]
	v_lshrrev_b64 v[16:17], v4, v[2:3]
; %bb.991:                              ;   in Loop: Header=BB2_902 Depth=4
	s_andn2_saveexec_b64 s[28:29], s[40:41]
; %bb.992:                              ;   in Loop: Header=BB2_902 Depth=4
	v_mov_b32_e32 v17, v3
	v_bfe_u32 v1, v2, 23, 1
	v_mov_b32_e32 v16, v2
; %bb.993:                              ;   in Loop: Header=BB2_902 Depth=4
	s_or_b64 exec, exec, s[28:29]
	v_lshrrev_b64 v[4:5], 21, v[16:17]
	v_cmp_gt_i32_e64 s[28:29], 32, v1
	v_cndmask_b32_e64 v5, 0, v5, s[28:29]
	v_cndmask_b32_e64 v4, 3, v4, s[28:29]
	v_cmp_eq_u32_e64 s[28:29], 0, v1
	v_min_i32_e32 v1, 31, v1
	v_cmp_eq_u64_e64 s[40:41], 0, v[4:5]
	v_lshlrev_b32_e32 v1, 2, v1
	v_and_b32_e32 v1, 0xfc, v1
	v_and_or_b32 v1, v4, 3, v1
	s_and_b64 s[28:29], s[28:29], s[40:41]
	v_cndmask_b32_e64 v1, v1, 0, s[28:29]
	v_or_b32_e32 v30, v1, v18
.LBB2_994:                              ;   in Loop: Header=BB2_902 Depth=4
	s_or_b64 exec, exec, s[48:49]
                                        ; implicit-def: $vgpr18
.LBB2_995:                              ;   in Loop: Header=BB2_902 Depth=4
	s_andn2_saveexec_b64 s[28:29], s[38:39]
; %bb.996:                              ;   in Loop: Header=BB2_902 Depth=4
	v_or_b32_e32 v30, 0x7b, v18
; %bb.997:                              ;   in Loop: Header=BB2_902 Depth=4
	s_or_b64 exec, exec, s[28:29]
                                        ; implicit-def: $vgpr1
.LBB2_998:                              ;   in Loop: Header=BB2_902 Depth=4
	s_andn2_saveexec_b64 s[40:41], s[42:43]
	s_cbranch_execz .LBB2_1004
; %bb.999:                              ;   in Loop: Header=BB2_902 Depth=4
	v_cmp_ne_u64_e64 s[28:29], 0, v[2:3]
                                        ; implicit-def: $vgpr30
	s_and_saveexec_b64 s[42:43], s[28:29]
	s_xor_b64 s[28:29], exec, s[42:43]
; %bb.1000:                             ;   in Loop: Header=BB2_902 Depth=4
	v_or_b32_sdwa v30, v1, s81 dst_sel:DWORD dst_unused:UNUSED_PAD src0_sel:BYTE_3 src1_sel:DWORD
                                        ; implicit-def: $vgpr1
; %bb.1001:                             ;   in Loop: Header=BB2_902 Depth=4
	s_andn2_saveexec_b64 s[42:43], s[28:29]
; %bb.1002:                             ;   in Loop: Header=BB2_902 Depth=4
	v_cmp_lt_i32_e64 s[28:29], -1, v1
	v_cndmask_b32_e64 v30, v0, v49, s[28:29]
; %bb.1003:                             ;   in Loop: Header=BB2_902 Depth=4
	s_or_b64 exec, exec, s[42:43]
.LBB2_1004:                             ;   in Loop: Header=BB2_902 Depth=4
	s_or_b64 exec, exec, s[40:41]
	v_cmp_lt_u32_e64 s[28:29], s57, v12
	v_mov_b32_e32 v1, 0
	s_and_saveexec_b64 s[40:41], s[28:29]
	s_cbranch_execz .LBB2_1012
; %bb.1005:                             ;   in Loop: Header=BB2_902 Depth=4
	v_lshrrev_b32_e32 v2, 24, v12
	v_cmp_ne_u32_e64 s[28:29], s82, v2
	v_bfrev_b32_e32 v1, 1
	s_and_saveexec_b64 s[42:43], s[28:29]
	s_cbranch_execz .LBB2_1011
; %bb.1006:                             ;   in Loop: Header=BB2_902 Depth=4
	v_and_b32_e32 v1, 0x7c000000, v12
	v_bfe_u32 v4, v12, 24, 2
	v_cmp_ne_u32_e64 s[28:29], s83, v1
                                        ; implicit-def: $vgpr1
	s_and_saveexec_b64 s[38:39], s[28:29]
	s_xor_b64 s[38:39], exec, s[38:39]
	s_cbranch_execz .LBB2_1008
; %bb.1007:                             ;   in Loop: Header=BB2_902 Depth=4
	v_ffbh_u32_e32 v1, v4
	v_min_u32_e32 v16, 32, v1
	v_subrev_u32_e32 v1, 29, v16
	v_lshlrev_b64 v[1:2], v1, v[2:3]
	v_bfe_u32 v5, v12, 26, 5
	v_sub_u32_e32 v2, 30, v16
	v_and_b32_e32 v1, 3, v1
	v_cmp_eq_u32_e64 s[28:29], 0, v5
	v_cndmask_b32_e64 v2, v5, v2, s[28:29]
	v_cndmask_b32_e64 v1, v4, v1, s[28:29]
	v_and_b32_e32 v4, 0x80000000, v12
	v_lshl_add_u32 v2, v2, 23, v4
	v_lshl_or_b32 v1, v1, 21, v2
	v_add_u32_e32 v1, 0x38000000, v1
                                        ; implicit-def: $vgpr4
.LBB2_1008:                             ;   in Loop: Header=BB2_902 Depth=4
	s_andn2_saveexec_b64 s[38:39], s[38:39]
; %bb.1009:                             ;   in Loop: Header=BB2_902 Depth=4
	v_cmp_lt_i32_e64 s[28:29], -1, v12
	v_cndmask_b32_e64 v1, v27, v6, s[28:29]
	v_cmp_eq_u32_e64 s[28:29], 0, v4
	v_cndmask_b32_e64 v1, v7, v1, s[28:29]
; %bb.1010:                             ;   in Loop: Header=BB2_902 Depth=4
	s_or_b64 exec, exec, s[38:39]
.LBB2_1011:                             ;   in Loop: Header=BB2_902 Depth=4
	s_or_b64 exec, exec, s[42:43]
.LBB2_1012:                             ;   in Loop: Header=BB2_902 Depth=4
	s_or_b64 exec, exec, s[40:41]
	v_bfe_u32 v16, v8, 24, 2
	v_and_b32_e32 v4, 0x7c000000, v8
	v_cmp_eq_u32_e64 s[28:29], s83, v4
	v_ffbh_u32_e32 v4, v16
	v_min_u32_e32 v18, 32, v4
	v_lshrrev_b32_e32 v2, 24, v8
	v_subrev_u32_e32 v4, 29, v18
	v_bfe_u32 v17, v8, 26, 5
	v_lshlrev_b64 v[4:5], v4, v[2:3]
	v_cmp_eq_u32_e64 s[40:41], 0, v17
	v_sub_u32_e32 v5, 30, v18
	v_and_b32_e32 v4, 3, v4
	v_cndmask_b32_e64 v5, v17, v5, s[40:41]
	v_and_b32_e32 v17, 0x80000000, v8
	v_cndmask_b32_e64 v4, v16, v4, s[40:41]
	v_lshl_add_u32 v5, v5, 23, v17
	v_cmp_lt_i32_e64 s[42:43], -1, v8
	v_lshl_or_b32 v4, v4, 21, v5
	v_cmp_eq_u32_e64 s[40:41], 0, v16
	v_cndmask_b32_e64 v5, v27, v6, s[42:43]
	v_add_u32_e32 v4, 0x38000000, v4
	v_cndmask_b32_e64 v5, v7, v5, s[40:41]
	v_cndmask_b32_e64 v4, v4, v5, s[28:29]
	v_cmp_ne_u32_e64 s[28:29], s82, v2
	v_cndmask_b32_e64 v2, v53, v4, s[28:29]
	v_cmp_lt_u32_e64 s[28:29], s57, v8
	v_cndmask_b32_e64 v2, 0, v2, s[28:29]
	v_mul_f32_e32 v1, v2, v1
	v_and_b32_e32 v4, 0x7f800000, v1
	v_mov_b32_e32 v5, v3
	v_cmp_ne_u64_e64 s[28:29], s[62:63], v[4:5]
	v_and_b32_e32 v2, 0x7fffff, v1
                                        ; implicit-def: $vgpr59
	s_and_saveexec_b64 s[40:41], s[28:29]
	s_xor_b64 s[42:43], exec, s[40:41]
	s_cbranch_execz .LBB2_1026
; %bb.1013:                             ;   in Loop: Header=BB2_902 Depth=4
	v_and_b32_e32 v4, 0x7fffffff, v1
	v_mov_b32_e32 v5, v3
	v_cmp_gt_u64_e64 s[28:29], s[78:79], v[4:5]
	v_and_b32_sdwa v18, v1, s82 dst_sel:DWORD dst_unused:UNUSED_PAD src0_sel:BYTE_3 src1_sel:DWORD
                                        ; implicit-def: $vgpr59
	s_and_saveexec_b64 s[40:41], s[28:29]
	s_xor_b64 s[38:39], exec, s[40:41]
	s_cbranch_execz .LBB2_1023
; %bb.1014:                             ;   in Loop: Header=BB2_902 Depth=4
	v_mov_b32_e32 v59, 0
	v_cmp_ne_u32_e64 s[28:29], 0, v1
	s_and_saveexec_b64 s[48:49], s[28:29]
	s_cbranch_execz .LBB2_1022
; %bb.1015:                             ;   in Loop: Header=BB2_902 Depth=4
	v_bfe_u32 v1, v1, 23, 8
	v_cmp_gt_u32_e64 s[40:41], s44, v1
	v_sub_u32_e32 v4, 0x71, v1
	v_cmp_eq_u32_e64 s[28:29], 0, v1
	v_cndmask_b32_e64 v4, 0, v4, s[40:41]
	v_mov_b32_e32 v16, 0x70
	v_cndmask_b32_e64 v24, v4, v16, s[28:29]
	v_or_b32_e32 v5, 0x800000, v2
	v_add_u32_e32 v4, 21, v24
	v_cndmask_b32_e64 v2, v5, v2, s[28:29]
	v_lshlrev_b64 v[4:5], v4, -1
	v_add_u32_e32 v16, 20, v24
	v_lshlrev_b64 v[16:17], v16, 1
	v_bfi_b32 v5, v5, 0, 0
	v_bfi_b32 v4, v4, 0, v2
	v_cmp_eq_u64_e64 s[40:41], v[4:5], v[16:17]
	v_lshrrev_b64 v[16:17], v24, v[2:3]
	v_mov_b32_e32 v4, v16
	v_mov_b32_e32 v5, v17
	s_and_saveexec_b64 s[50:51], s[40:41]
; %bb.1016:                             ;   in Loop: Header=BB2_902 Depth=4
	v_bfe_u32 v2, v16, 21, 1
	v_add_co_u32_e64 v2, s[40:41], v16, v2
	v_add_co_u32_e64 v4, s[40:41], -1, v2
; %bb.1017:                             ;   in Loop: Header=BB2_902 Depth=4
	s_or_b64 exec, exec, s[50:51]
	v_add_u32_e32 v1, 0xffffff81, v1
	v_mov_b32_e32 v2, 0xffffff82
	v_cndmask_b32_e64 v1, v1, v2, s[28:29]
	v_lshrrev_b32_e32 v2, 23, v16
	v_add3_u32 v19, v24, v1, v2
	v_add_u32_e32 v5, 14, v19
	v_and_b32_e32 v1, 0x1fffff, v4
	v_add_u32_e32 v2, v1, v16
	v_cmp_ne_u32_e64 s[28:29], 0, v5
                                        ; implicit-def: $vgpr16_vgpr17
                                        ; implicit-def: $vgpr1
	s_and_saveexec_b64 s[40:41], s[28:29]
	s_xor_b64 s[40:41], exec, s[40:41]
; %bb.1018:                             ;   in Loop: Header=BB2_902 Depth=4
	v_cmp_lt_u64_e64 s[28:29], s[88:89], v[2:3]
	v_add_u32_e32 v1, 15, v19
	v_cndmask_b32_e64 v4, 0, 1, s[28:29]
	v_cndmask_b32_e64 v1, v5, v1, s[28:29]
	v_lshrrev_b64 v[16:17], v4, v[2:3]
; %bb.1019:                             ;   in Loop: Header=BB2_902 Depth=4
	s_andn2_saveexec_b64 s[28:29], s[40:41]
; %bb.1020:                             ;   in Loop: Header=BB2_902 Depth=4
	v_mov_b32_e32 v17, v3
	v_bfe_u32 v1, v2, 23, 1
	v_mov_b32_e32 v16, v2
; %bb.1021:                             ;   in Loop: Header=BB2_902 Depth=4
	s_or_b64 exec, exec, s[28:29]
	v_lshrrev_b64 v[4:5], 21, v[16:17]
	v_cmp_gt_i32_e64 s[28:29], 32, v1
	v_cndmask_b32_e64 v5, 0, v5, s[28:29]
	v_cndmask_b32_e64 v4, 3, v4, s[28:29]
	v_cmp_eq_u32_e64 s[28:29], 0, v1
	v_min_i32_e32 v1, 31, v1
	v_cmp_eq_u64_e64 s[40:41], 0, v[4:5]
	v_lshlrev_b32_e32 v1, 2, v1
	v_and_b32_e32 v1, 0xfc, v1
	v_and_or_b32 v1, v4, 3, v1
	s_and_b64 s[28:29], s[28:29], s[40:41]
	v_cndmask_b32_e64 v1, v1, 0, s[28:29]
	v_or_b32_e32 v59, v1, v18
.LBB2_1022:                             ;   in Loop: Header=BB2_902 Depth=4
	s_or_b64 exec, exec, s[48:49]
                                        ; implicit-def: $vgpr18
.LBB2_1023:                             ;   in Loop: Header=BB2_902 Depth=4
	s_andn2_saveexec_b64 s[28:29], s[38:39]
; %bb.1024:                             ;   in Loop: Header=BB2_902 Depth=4
	v_or_b32_e32 v59, 0x7b, v18
; %bb.1025:                             ;   in Loop: Header=BB2_902 Depth=4
	s_or_b64 exec, exec, s[28:29]
                                        ; implicit-def: $vgpr1
.LBB2_1026:                             ;   in Loop: Header=BB2_902 Depth=4
	s_andn2_saveexec_b64 s[40:41], s[42:43]
	s_cbranch_execz .LBB2_1032
; %bb.1027:                             ;   in Loop: Header=BB2_902 Depth=4
	v_cmp_ne_u64_e64 s[28:29], 0, v[2:3]
                                        ; implicit-def: $vgpr59
	s_and_saveexec_b64 s[42:43], s[28:29]
	s_xor_b64 s[28:29], exec, s[42:43]
; %bb.1028:                             ;   in Loop: Header=BB2_902 Depth=4
	v_or_b32_sdwa v59, v1, s81 dst_sel:DWORD dst_unused:UNUSED_PAD src0_sel:BYTE_3 src1_sel:DWORD
                                        ; implicit-def: $vgpr1
; %bb.1029:                             ;   in Loop: Header=BB2_902 Depth=4
	s_andn2_saveexec_b64 s[42:43], s[28:29]
; %bb.1030:                             ;   in Loop: Header=BB2_902 Depth=4
	v_cmp_lt_i32_e64 s[28:29], -1, v1
	v_cndmask_b32_e64 v59, v0, v49, s[28:29]
; %bb.1031:                             ;   in Loop: Header=BB2_902 Depth=4
	s_or_b64 exec, exec, s[42:43]
.LBB2_1032:                             ;   in Loop: Header=BB2_902 Depth=4
	s_or_b64 exec, exec, s[40:41]
	v_mov_b32_e32 v2, v13
	v_cmp_ne_u16_sdwa s[28:29], v13, v3 src0_sel:BYTE_0 src1_sel:DWORD
	v_mov_b32_e32 v1, 0
	s_and_saveexec_b64 s[40:41], s[28:29]
	s_cbranch_execz .LBB2_1040
; %bb.1033:                             ;   in Loop: Header=BB2_902 Depth=4
	v_cmp_ne_u16_sdwa s[28:29], v13, s82 src0_sel:BYTE_0 src1_sel:DWORD
	v_bfrev_b32_e32 v1, 1
	s_and_saveexec_b64 s[42:43], s[28:29]
	s_cbranch_execz .LBB2_1039
; %bb.1034:                             ;   in Loop: Header=BB2_902 Depth=4
	v_and_b32_e32 v1, 0x7c, v13
	v_and_b32_e32 v4, 3, v13
	v_cmp_ne_u32_e64 s[28:29], s71, v1
                                        ; implicit-def: $vgpr1
	s_and_saveexec_b64 s[38:39], s[28:29]
	s_xor_b64 s[38:39], exec, s[38:39]
	s_cbranch_execz .LBB2_1036
; %bb.1035:                             ;   in Loop: Header=BB2_902 Depth=4
	v_ffbh_u32_e32 v5, v4
	v_min_u32_e32 v5, 32, v5
	v_bfe_u32 v1, v13, 2, 5
	v_subrev_u32_e32 v16, 29, v5
	v_lshlrev_b64 v[16:17], v16, v[2:3]
	v_sub_u32_e32 v5, 30, v5
	v_cmp_eq_u32_e64 s[28:29], 0, v1
	v_cndmask_b32_e64 v1, v1, v5, s[28:29]
	v_lshlrev_b32_e32 v5, 24, v13
	v_and_b32_e32 v16, 3, v16
	v_and_b32_e32 v5, 0x80000000, v5
	v_cndmask_b32_e64 v4, v4, v16, s[28:29]
	v_lshl_add_u32 v1, v1, 23, v5
	v_lshl_or_b32 v1, v4, 21, v1
	v_add_u32_e32 v1, 0x38000000, v1
                                        ; implicit-def: $vgpr4
.LBB2_1036:                             ;   in Loop: Header=BB2_902 Depth=4
	s_andn2_saveexec_b64 s[38:39], s[38:39]
; %bb.1037:                             ;   in Loop: Header=BB2_902 Depth=4
	v_cmp_gt_i16_sdwa s[28:29], sext(v13), v26 src0_sel:BYTE_0 src1_sel:DWORD
	v_cndmask_b32_e64 v1, v27, v6, s[28:29]
	v_cmp_eq_u32_e64 s[28:29], 0, v4
	v_cndmask_b32_e64 v1, v7, v1, s[28:29]
; %bb.1038:                             ;   in Loop: Header=BB2_902 Depth=4
	s_or_b64 exec, exec, s[38:39]
.LBB2_1039:                             ;   in Loop: Header=BB2_902 Depth=4
	s_or_b64 exec, exec, s[42:43]
.LBB2_1040:                             ;   in Loop: Header=BB2_902 Depth=4
	s_or_b64 exec, exec, s[40:41]
	v_cmp_gt_i16_sdwa s[40:41], v9, s81 src0_sel:BYTE_0 src1_sel:DWORD
	s_mov_b64 s[28:29], 0
	s_and_saveexec_b64 s[42:43], s[40:41]
	s_xor_b64 s[40:41], exec, s[42:43]
	s_cbranch_execz .LBB2_1044
; %bb.1041:                             ;   in Loop: Header=BB2_902 Depth=4
	v_cmp_eq_u16_sdwa s[38:39], v9, s82 src0_sel:BYTE_0 src1_sel:DWORD
	s_mov_b64 s[28:29], -1
	s_and_saveexec_b64 s[42:43], s[38:39]
; %bb.1042:                             ;   in Loop: Header=BB2_902 Depth=4
	s_xor_b64 s[28:29], exec, -1
; %bb.1043:                             ;   in Loop: Header=BB2_902 Depth=4
	s_or_b64 exec, exec, s[42:43]
	s_and_b64 s[28:29], s[28:29], exec
.LBB2_1044:                             ;   in Loop: Header=BB2_902 Depth=4
	s_or_saveexec_b64 s[40:41], s[40:41]
	v_bfrev_b32_e32 v4, 1
	s_xor_b64 exec, exec, s[40:41]
; %bb.1045:                             ;   in Loop: Header=BB2_902 Depth=4
	v_cmp_ne_u16_sdwa s[42:43], v9, v3 src0_sel:BYTE_0 src1_sel:DWORD
	s_andn2_b64 s[28:29], s[28:29], exec
	s_and_b64 s[42:43], s[42:43], exec
	v_mov_b32_e32 v4, 0
	s_or_b64 s[28:29], s[28:29], s[42:43]
; %bb.1046:                             ;   in Loop: Header=BB2_902 Depth=4
	s_or_b64 exec, exec, s[40:41]
	v_mov_b32_e32 v16, v9
	v_mov_b32_e32 v17, v3
	s_and_saveexec_b64 s[38:39], s[28:29]
	s_cbranch_execz .LBB2_1048
; %bb.1047:                             ;   in Loop: Header=BB2_902 Depth=4
	v_and_b32_e32 v18, 3, v9
	v_and_b32_e32 v4, 0x7c, v9
	v_cmp_eq_u32_e64 s[28:29], s71, v4
	v_ffbh_u32_e32 v4, v18
	v_min_u32_e32 v24, 32, v4
	v_subrev_u32_e32 v4, 29, v24
	v_bfe_u32 v19, v9, 2, 5
	v_lshlrev_b64 v[4:5], v4, v[16:17]
	v_cmp_eq_u32_e64 s[40:41], 0, v19
	v_sub_u32_e32 v5, 30, v24
	v_lshlrev_b32_e32 v17, 24, v9
	v_and_b32_e32 v4, 3, v4
	v_cndmask_b32_e64 v5, v19, v5, s[40:41]
	v_and_b32_e32 v17, 0x80000000, v17
	v_cndmask_b32_e64 v4, v18, v4, s[40:41]
	v_lshl_add_u32 v5, v5, 23, v17
	v_cmp_gt_i16_sdwa s[42:43], sext(v9), v26 src0_sel:BYTE_0 src1_sel:DWORD
	v_lshl_or_b32 v4, v4, 21, v5
	v_cmp_eq_u32_e64 s[40:41], 0, v18
	v_cndmask_b32_e64 v5, v27, v6, s[42:43]
	v_add_u32_e32 v4, 0x38000000, v4
	v_cndmask_b32_e64 v5, v7, v5, s[40:41]
	v_cndmask_b32_e64 v4, v4, v5, s[28:29]
.LBB2_1048:                             ;   in Loop: Header=BB2_902 Depth=4
	s_or_b64 exec, exec, s[38:39]
	v_mul_f32_e32 v1, v1, v4
	v_and_b32_e32 v4, 0x7f800000, v1
	v_mov_b32_e32 v5, v3
	v_cmp_ne_u64_e64 s[28:29], s[62:63], v[4:5]
	v_and_b32_e32 v17, 0x7fffff, v1
	v_mov_b32_e32 v18, v3
                                        ; implicit-def: $vgpr24
	s_and_saveexec_b64 s[40:41], s[28:29]
	s_xor_b64 s[42:43], exec, s[40:41]
	s_cbranch_execz .LBB2_1062
; %bb.1049:                             ;   in Loop: Header=BB2_902 Depth=4
	v_and_b32_e32 v4, 0x7fffffff, v1
	v_mov_b32_e32 v5, v3
	v_cmp_gt_u64_e64 s[28:29], s[78:79], v[4:5]
	v_and_b32_sdwa v25, v1, s82 dst_sel:DWORD dst_unused:UNUSED_PAD src0_sel:BYTE_3 src1_sel:DWORD
                                        ; implicit-def: $vgpr24
	s_and_saveexec_b64 s[40:41], s[28:29]
	s_xor_b64 s[38:39], exec, s[40:41]
	s_cbranch_execz .LBB2_1059
; %bb.1050:                             ;   in Loop: Header=BB2_902 Depth=4
	v_mov_b32_e32 v24, 0
	v_cmp_ne_u32_e64 s[28:29], 0, v1
	s_and_saveexec_b64 s[48:49], s[28:29]
	s_cbranch_execz .LBB2_1058
; %bb.1051:                             ;   in Loop: Header=BB2_902 Depth=4
	v_bfe_u32 v1, v1, 23, 8
	v_cmp_gt_u32_e64 s[40:41], s44, v1
	v_sub_u32_e32 v4, 0x71, v1
	v_cmp_eq_u32_e64 s[28:29], 0, v1
	v_cndmask_b32_e64 v4, 0, v4, s[40:41]
	v_mov_b32_e32 v19, 0x70
	v_cndmask_b32_e64 v24, v4, v19, s[28:29]
	v_or_b32_e32 v5, 0x800000, v17
	v_add_u32_e32 v4, 21, v24
	v_cndmask_b32_e64 v17, v5, v17, s[28:29]
	v_lshlrev_b64 v[4:5], v4, -1
	v_add_u32_e32 v19, 20, v24
	v_lshlrev_b64 v[39:40], v19, 1
	v_bfi_b32 v5, v5, 0, 0
	v_bfi_b32 v4, v4, 0, v17
	v_lshrrev_b64 v[17:18], v24, v[17:18]
	v_cmp_eq_u64_e64 s[40:41], v[4:5], v[39:40]
	v_mov_b32_e32 v4, v17
	v_mov_b32_e32 v5, v18
	s_and_saveexec_b64 s[50:51], s[40:41]
; %bb.1052:                             ;   in Loop: Header=BB2_902 Depth=4
	v_bfe_u32 v4, v17, 21, 1
	v_add_co_u32_e64 v4, s[40:41], v17, v4
	v_add_co_u32_e64 v4, s[40:41], -1, v4
; %bb.1053:                             ;   in Loop: Header=BB2_902 Depth=4
	s_or_b64 exec, exec, s[50:51]
	v_add_u32_e32 v1, 0xffffff81, v1
	v_mov_b32_e32 v5, 0xffffff82
	v_cndmask_b32_e64 v1, v1, v5, s[28:29]
	v_lshrrev_b32_e32 v5, 23, v17
	v_add3_u32 v19, v24, v1, v5
	v_add_u32_e32 v5, 14, v19
	v_and_b32_e32 v1, 0x1fffff, v4
	v_add_u32_e32 v17, v1, v17
	v_mov_b32_e32 v18, v3
	v_cmp_ne_u32_e64 s[28:29], 0, v5
                                        ; implicit-def: $vgpr1
	s_and_saveexec_b64 s[40:41], s[28:29]
	s_xor_b64 s[40:41], exec, s[40:41]
; %bb.1054:                             ;   in Loop: Header=BB2_902 Depth=4
	v_cmp_lt_u64_e64 s[28:29], s[88:89], v[17:18]
	v_add_u32_e32 v1, 15, v19
	v_cndmask_b32_e64 v4, 0, 1, s[28:29]
	v_cndmask_b32_e64 v1, v5, v1, s[28:29]
	v_lshrrev_b64 v[17:18], v4, v[17:18]
; %bb.1055:                             ;   in Loop: Header=BB2_902 Depth=4
	s_andn2_saveexec_b64 s[28:29], s[40:41]
; %bb.1056:                             ;   in Loop: Header=BB2_902 Depth=4
	v_bfe_u32 v1, v17, 23, 1
; %bb.1057:                             ;   in Loop: Header=BB2_902 Depth=4
	s_or_b64 exec, exec, s[28:29]
	v_lshrrev_b64 v[4:5], 21, v[17:18]
	v_cmp_gt_i32_e64 s[28:29], 32, v1
	v_cndmask_b32_e64 v5, 0, v5, s[28:29]
	v_cndmask_b32_e64 v4, 3, v4, s[28:29]
	v_cmp_eq_u32_e64 s[28:29], 0, v1
	v_min_i32_e32 v1, 31, v1
	v_cmp_eq_u64_e64 s[40:41], 0, v[4:5]
	v_lshlrev_b32_e32 v1, 2, v1
	v_and_b32_e32 v1, 0xfc, v1
	v_and_or_b32 v1, v4, 3, v1
	s_and_b64 s[28:29], s[28:29], s[40:41]
	v_cndmask_b32_e64 v1, v1, 0, s[28:29]
	v_or_b32_e32 v24, v1, v25
.LBB2_1058:                             ;   in Loop: Header=BB2_902 Depth=4
	s_or_b64 exec, exec, s[48:49]
                                        ; implicit-def: $vgpr25
.LBB2_1059:                             ;   in Loop: Header=BB2_902 Depth=4
	s_andn2_saveexec_b64 s[28:29], s[38:39]
; %bb.1060:                             ;   in Loop: Header=BB2_902 Depth=4
	v_or_b32_e32 v24, 0x7b, v25
; %bb.1061:                             ;   in Loop: Header=BB2_902 Depth=4
	s_or_b64 exec, exec, s[28:29]
                                        ; implicit-def: $vgpr1
                                        ; implicit-def: $vgpr17_vgpr18
.LBB2_1062:                             ;   in Loop: Header=BB2_902 Depth=4
	s_andn2_saveexec_b64 s[40:41], s[42:43]
	s_cbranch_execz .LBB2_1068
; %bb.1063:                             ;   in Loop: Header=BB2_902 Depth=4
	v_cmp_ne_u64_e64 s[28:29], 0, v[17:18]
                                        ; implicit-def: $vgpr24
	s_and_saveexec_b64 s[42:43], s[28:29]
	s_xor_b64 s[28:29], exec, s[42:43]
; %bb.1064:                             ;   in Loop: Header=BB2_902 Depth=4
	v_or_b32_sdwa v24, v1, s81 dst_sel:DWORD dst_unused:UNUSED_PAD src0_sel:BYTE_3 src1_sel:DWORD
                                        ; implicit-def: $vgpr1
; %bb.1065:                             ;   in Loop: Header=BB2_902 Depth=4
	s_andn2_saveexec_b64 s[42:43], s[28:29]
; %bb.1066:                             ;   in Loop: Header=BB2_902 Depth=4
	v_cmp_lt_i32_e64 s[28:29], -1, v1
	v_cndmask_b32_e64 v24, v0, v49, s[28:29]
; %bb.1067:                             ;   in Loop: Header=BB2_902 Depth=4
	s_or_b64 exec, exec, s[42:43]
.LBB2_1068:                             ;   in Loop: Header=BB2_902 Depth=4
	s_or_b64 exec, exec, s[40:41]
	v_lshrrev_b16_e32 v17, 8, v2
	v_cmp_ne_u16_e64 s[28:29], 0, v17
	v_mov_b32_e32 v1, 0
	s_and_saveexec_b64 s[40:41], s[28:29]
	s_cbranch_execz .LBB2_1076
; %bb.1069:                             ;   in Loop: Header=BB2_902 Depth=4
	v_cmp_ne_u16_e64 s[28:29], s82, v17
	v_bfrev_b32_e32 v1, 1
	s_and_saveexec_b64 s[42:43], s[28:29]
	s_cbranch_execz .LBB2_1075
; %bb.1070:                             ;   in Loop: Header=BB2_902 Depth=4
	v_and_b32_e32 v1, 0x7c, v17
	v_and_b32_e32 v4, 3, v17
	v_cmp_ne_u32_e64 s[28:29], s71, v1
                                        ; implicit-def: $vgpr1
	s_and_saveexec_b64 s[38:39], s[28:29]
	s_xor_b64 s[38:39], exec, s[38:39]
	s_cbranch_execz .LBB2_1072
; %bb.1071:                             ;   in Loop: Header=BB2_902 Depth=4
	v_ffbh_u32_e32 v5, v4
	v_min_u32_e32 v5, 32, v5
	v_mov_b32_e32 v18, v3
	v_subrev_u32_e32 v19, 29, v5
	v_bfe_u32 v1, v17, 2, 5
	v_lshlrev_b64 v[17:18], v19, v[17:18]
	v_sub_u32_e32 v5, 30, v5
	v_cmp_eq_u32_e64 s[28:29], 0, v1
	v_lshlrev_b32_e32 v2, 16, v2
	v_and_b32_e32 v17, 3, v17
	v_cndmask_b32_e64 v1, v1, v5, s[28:29]
	v_and_b32_e32 v2, 0x80000000, v2
	v_cndmask_b32_e64 v4, v4, v17, s[28:29]
	v_lshl_add_u32 v1, v1, 23, v2
	v_lshl_or_b32 v1, v4, 21, v1
	v_add_u32_e32 v1, 0x38000000, v1
                                        ; implicit-def: $vgpr4
.LBB2_1072:                             ;   in Loop: Header=BB2_902 Depth=4
	s_andn2_saveexec_b64 s[38:39], s[38:39]
; %bb.1073:                             ;   in Loop: Header=BB2_902 Depth=4
	v_cmp_lt_i16_e64 s[28:29], -1, v2
	v_cndmask_b32_e64 v1, v27, v6, s[28:29]
	v_cmp_eq_u32_e64 s[28:29], 0, v4
	v_cndmask_b32_e64 v1, v7, v1, s[28:29]
; %bb.1074:                             ;   in Loop: Header=BB2_902 Depth=4
	s_or_b64 exec, exec, s[38:39]
.LBB2_1075:                             ;   in Loop: Header=BB2_902 Depth=4
	s_or_b64 exec, exec, s[42:43]
.LBB2_1076:                             ;   in Loop: Header=BB2_902 Depth=4
	s_or_b64 exec, exec, s[40:41]
	v_lshrrev_b16_e32 v2, 8, v16
	v_cmp_lt_i16_e64 s[28:29], s81, v2
	s_mov_b64 s[40:41], 0
	s_and_saveexec_b64 s[42:43], s[28:29]
	s_xor_b64 s[42:43], exec, s[42:43]
	s_cbranch_execz .LBB2_1431
; %bb.1077:                             ;   in Loop: Header=BB2_902 Depth=4
	v_cmp_eq_u16_e64 s[28:29], s82, v2
	s_mov_b64 s[40:41], -1
	s_and_saveexec_b64 s[38:39], s[28:29]
; %bb.1078:                             ;   in Loop: Header=BB2_902 Depth=4
	s_xor_b64 s[40:41], exec, -1
; %bb.1079:                             ;   in Loop: Header=BB2_902 Depth=4
	s_or_b64 exec, exec, s[38:39]
	s_and_b64 s[40:41], s[40:41], exec
	s_or_saveexec_b64 s[42:43], s[42:43]
	v_bfrev_b32_e32 v4, 1
	s_xor_b64 exec, exec, s[42:43]
	s_cbranch_execnz .LBB2_1432
.LBB2_1080:                             ;   in Loop: Header=BB2_902 Depth=4
	s_or_b64 exec, exec, s[42:43]
	s_and_saveexec_b64 s[38:39], s[40:41]
	s_cbranch_execz .LBB2_1082
.LBB2_1081:                             ;   in Loop: Header=BB2_902 Depth=4
	v_and_b32_e32 v17, 3, v2
	v_and_b32_e32 v4, 0x7c, v2
	v_cmp_eq_u32_e64 s[28:29], s71, v4
	v_ffbh_u32_e32 v4, v17
	v_min_u32_e32 v19, 32, v4
	v_subrev_u32_e32 v4, 29, v19
	v_bfe_u32 v18, v2, 2, 5
	v_lshlrev_b64 v[4:5], v4, v[2:3]
	v_cmp_eq_u32_e64 s[40:41], 0, v18
	v_sub_u32_e32 v5, 30, v19
	v_lshlrev_b32_e32 v2, 24, v2
	v_and_b32_e32 v4, 3, v4
	v_cndmask_b32_e64 v5, v18, v5, s[40:41]
	v_and_b32_e32 v2, 0x80000000, v2
	v_cndmask_b32_e64 v4, v17, v4, s[40:41]
	v_lshl_add_u32 v2, v5, 23, v2
	v_cmp_lt_i16_e64 s[42:43], -1, v16
	v_lshl_or_b32 v2, v4, 21, v2
	v_cmp_eq_u32_e64 s[40:41], 0, v17
	v_cndmask_b32_e64 v4, v27, v6, s[42:43]
	v_add_u32_e32 v2, 0x38000000, v2
	v_cndmask_b32_e64 v4, v7, v4, s[40:41]
	v_cndmask_b32_e64 v4, v2, v4, s[28:29]
.LBB2_1082:                             ;   in Loop: Header=BB2_902 Depth=4
	s_or_b64 exec, exec, s[38:39]
	v_mul_f32_e32 v1, v1, v4
	v_and_b32_e32 v4, 0x7f800000, v1
	v_mov_b32_e32 v5, v3
	v_cmp_ne_u64_e64 s[28:29], s[62:63], v[4:5]
	v_and_b32_e32 v2, 0x7fffff, v1
                                        ; implicit-def: $vgpr18
	s_and_saveexec_b64 s[40:41], s[28:29]
	s_xor_b64 s[42:43], exec, s[40:41]
	s_cbranch_execz .LBB2_1096
; %bb.1083:                             ;   in Loop: Header=BB2_902 Depth=4
	v_and_b32_e32 v4, 0x7fffffff, v1
	v_mov_b32_e32 v5, v3
	v_cmp_gt_u64_e64 s[28:29], s[78:79], v[4:5]
	v_and_b32_sdwa v25, v1, s82 dst_sel:DWORD dst_unused:UNUSED_PAD src0_sel:BYTE_3 src1_sel:DWORD
                                        ; implicit-def: $vgpr18
	s_and_saveexec_b64 s[40:41], s[28:29]
	s_xor_b64 s[38:39], exec, s[40:41]
	s_cbranch_execz .LBB2_1093
; %bb.1084:                             ;   in Loop: Header=BB2_902 Depth=4
	v_mov_b32_e32 v18, 0
	v_cmp_ne_u32_e64 s[28:29], 0, v1
	s_and_saveexec_b64 s[48:49], s[28:29]
	s_cbranch_execz .LBB2_1092
; %bb.1085:                             ;   in Loop: Header=BB2_902 Depth=4
	v_bfe_u32 v1, v1, 23, 8
	v_cmp_gt_u32_e64 s[40:41], s44, v1
	v_sub_u32_e32 v4, 0x71, v1
	v_cmp_eq_u32_e64 s[28:29], 0, v1
	v_cndmask_b32_e64 v4, 0, v4, s[40:41]
	v_mov_b32_e32 v16, 0x70
	v_cndmask_b32_e64 v18, v4, v16, s[28:29]
	v_or_b32_e32 v5, 0x800000, v2
	v_add_u32_e32 v4, 21, v18
	v_cndmask_b32_e64 v2, v5, v2, s[28:29]
	v_lshlrev_b64 v[4:5], v4, -1
	v_add_u32_e32 v16, 20, v18
	v_lshlrev_b64 v[16:17], v16, 1
	v_bfi_b32 v5, v5, 0, 0
	v_bfi_b32 v4, v4, 0, v2
	v_cmp_eq_u64_e64 s[40:41], v[4:5], v[16:17]
	v_lshrrev_b64 v[16:17], v18, v[2:3]
	v_mov_b32_e32 v4, v16
	v_mov_b32_e32 v5, v17
	s_and_saveexec_b64 s[50:51], s[40:41]
; %bb.1086:                             ;   in Loop: Header=BB2_902 Depth=4
	v_bfe_u32 v2, v16, 21, 1
	v_add_co_u32_e64 v2, s[40:41], v16, v2
	v_add_co_u32_e64 v4, s[40:41], -1, v2
; %bb.1087:                             ;   in Loop: Header=BB2_902 Depth=4
	s_or_b64 exec, exec, s[50:51]
	v_add_u32_e32 v1, 0xffffff81, v1
	v_mov_b32_e32 v2, 0xffffff82
	v_cndmask_b32_e64 v1, v1, v2, s[28:29]
	v_lshrrev_b32_e32 v2, 23, v16
	v_add3_u32 v18, v18, v1, v2
	v_add_u32_e32 v5, 14, v18
	v_and_b32_e32 v1, 0x1fffff, v4
	v_add_u32_e32 v2, v1, v16
	v_cmp_ne_u32_e64 s[28:29], 0, v5
                                        ; implicit-def: $vgpr16_vgpr17
                                        ; implicit-def: $vgpr1
	s_and_saveexec_b64 s[40:41], s[28:29]
	s_xor_b64 s[40:41], exec, s[40:41]
; %bb.1088:                             ;   in Loop: Header=BB2_902 Depth=4
	v_cmp_lt_u64_e64 s[28:29], s[88:89], v[2:3]
	v_add_u32_e32 v1, 15, v18
	v_cndmask_b32_e64 v4, 0, 1, s[28:29]
	v_cndmask_b32_e64 v1, v5, v1, s[28:29]
	v_lshrrev_b64 v[16:17], v4, v[2:3]
; %bb.1089:                             ;   in Loop: Header=BB2_902 Depth=4
	s_andn2_saveexec_b64 s[28:29], s[40:41]
; %bb.1090:                             ;   in Loop: Header=BB2_902 Depth=4
	v_mov_b32_e32 v17, v3
	v_bfe_u32 v1, v2, 23, 1
	v_mov_b32_e32 v16, v2
; %bb.1091:                             ;   in Loop: Header=BB2_902 Depth=4
	s_or_b64 exec, exec, s[28:29]
	v_lshrrev_b64 v[4:5], 21, v[16:17]
	v_cmp_gt_i32_e64 s[28:29], 32, v1
	v_cndmask_b32_e64 v5, 0, v5, s[28:29]
	v_cndmask_b32_e64 v4, 3, v4, s[28:29]
	v_cmp_eq_u32_e64 s[28:29], 0, v1
	v_min_i32_e32 v1, 31, v1
	v_cmp_eq_u64_e64 s[40:41], 0, v[4:5]
	v_lshlrev_b32_e32 v1, 2, v1
	v_and_b32_e32 v1, 0xfc, v1
	v_and_or_b32 v1, v4, 3, v1
	s_and_b64 s[28:29], s[28:29], s[40:41]
	v_cndmask_b32_e64 v1, v1, 0, s[28:29]
	v_or_b32_e32 v18, v1, v25
.LBB2_1092:                             ;   in Loop: Header=BB2_902 Depth=4
	s_or_b64 exec, exec, s[48:49]
                                        ; implicit-def: $vgpr25
.LBB2_1093:                             ;   in Loop: Header=BB2_902 Depth=4
	s_andn2_saveexec_b64 s[28:29], s[38:39]
; %bb.1094:                             ;   in Loop: Header=BB2_902 Depth=4
	v_or_b32_e32 v18, 0x7b, v25
; %bb.1095:                             ;   in Loop: Header=BB2_902 Depth=4
	s_or_b64 exec, exec, s[28:29]
                                        ; implicit-def: $vgpr1
.LBB2_1096:                             ;   in Loop: Header=BB2_902 Depth=4
	s_andn2_saveexec_b64 s[40:41], s[42:43]
	s_cbranch_execz .LBB2_1102
; %bb.1097:                             ;   in Loop: Header=BB2_902 Depth=4
	v_cmp_ne_u64_e64 s[28:29], 0, v[2:3]
                                        ; implicit-def: $vgpr18
	s_and_saveexec_b64 s[42:43], s[28:29]
	s_xor_b64 s[28:29], exec, s[42:43]
; %bb.1098:                             ;   in Loop: Header=BB2_902 Depth=4
	v_or_b32_sdwa v18, v1, s81 dst_sel:DWORD dst_unused:UNUSED_PAD src0_sel:BYTE_3 src1_sel:DWORD
                                        ; implicit-def: $vgpr1
; %bb.1099:                             ;   in Loop: Header=BB2_902 Depth=4
	s_andn2_saveexec_b64 s[42:43], s[28:29]
; %bb.1100:                             ;   in Loop: Header=BB2_902 Depth=4
	v_cmp_lt_i32_e64 s[28:29], -1, v1
	v_cndmask_b32_e64 v18, v0, v49, s[28:29]
; %bb.1101:                             ;   in Loop: Header=BB2_902 Depth=4
	s_or_b64 exec, exec, s[42:43]
.LBB2_1102:                             ;   in Loop: Header=BB2_902 Depth=4
	s_or_b64 exec, exec, s[40:41]
	v_lshrrev_b32_e32 v2, 16, v13
	v_cmp_ne_u16_sdwa s[28:29], v2, v3 src0_sel:BYTE_0 src1_sel:DWORD
	v_mov_b32_e32 v1, 0
	s_and_saveexec_b64 s[40:41], s[28:29]
	s_cbranch_execz .LBB2_1110
; %bb.1103:                             ;   in Loop: Header=BB2_902 Depth=4
	v_cmp_ne_u16_sdwa s[28:29], v2, s82 src0_sel:BYTE_0 src1_sel:DWORD
	v_bfrev_b32_e32 v1, 1
	s_and_saveexec_b64 s[42:43], s[28:29]
	s_cbranch_execz .LBB2_1109
; %bb.1104:                             ;   in Loop: Header=BB2_902 Depth=4
	v_and_b32_e32 v1, 0x7c0000, v13
	v_bfe_u32 v4, v13, 16, 2
	v_cmp_ne_u32_e64 s[28:29], s45, v1
                                        ; implicit-def: $vgpr1
	s_and_saveexec_b64 s[38:39], s[28:29]
	s_xor_b64 s[38:39], exec, s[38:39]
	s_cbranch_execz .LBB2_1106
; %bb.1105:                             ;   in Loop: Header=BB2_902 Depth=4
	v_ffbh_u32_e32 v1, v4
	v_min_u32_e32 v16, 32, v1
	v_subrev_u32_e32 v1, 29, v16
	v_lshlrev_b64 v[1:2], v1, v[2:3]
	v_bfe_u32 v5, v13, 18, 5
	v_and_b32_e32 v1, 3, v1
	v_cmp_eq_u32_e64 s[28:29], 0, v5
	v_sub_u32_e32 v2, 30, v16
	v_cndmask_b32_e64 v1, v4, v1, s[28:29]
	v_lshlrev_b32_e32 v4, 8, v13
	v_cndmask_b32_e64 v2, v5, v2, s[28:29]
	v_and_b32_e32 v4, 0x80000000, v4
	v_lshl_add_u32 v2, v2, 23, v4
	v_lshl_or_b32 v1, v1, 21, v2
	v_add_u32_e32 v1, 0x38000000, v1
                                        ; implicit-def: $vgpr4
                                        ; implicit-def: $vgpr2
.LBB2_1106:                             ;   in Loop: Header=BB2_902 Depth=4
	s_andn2_saveexec_b64 s[38:39], s[38:39]
; %bb.1107:                             ;   in Loop: Header=BB2_902 Depth=4
	v_cmp_gt_i16_sdwa s[28:29], sext(v2), v26 src0_sel:BYTE_0 src1_sel:DWORD
	v_cndmask_b32_e64 v1, v27, v6, s[28:29]
	v_cmp_eq_u32_e64 s[28:29], 0, v4
	v_cndmask_b32_e64 v1, v7, v1, s[28:29]
; %bb.1108:                             ;   in Loop: Header=BB2_902 Depth=4
	s_or_b64 exec, exec, s[38:39]
.LBB2_1109:                             ;   in Loop: Header=BB2_902 Depth=4
	s_or_b64 exec, exec, s[42:43]
.LBB2_1110:                             ;   in Loop: Header=BB2_902 Depth=4
	s_or_b64 exec, exec, s[40:41]
	v_lshrrev_b32_e32 v2, 16, v9
	v_cmp_gt_i16_sdwa s[40:41], v2, s81 src0_sel:BYTE_0 src1_sel:DWORD
	s_mov_b64 s[28:29], 0
	s_and_saveexec_b64 s[42:43], s[40:41]
	s_xor_b64 s[40:41], exec, s[42:43]
	s_cbranch_execz .LBB2_1433
; %bb.1111:                             ;   in Loop: Header=BB2_902 Depth=4
	v_cmp_eq_u16_sdwa s[38:39], v2, s82 src0_sel:BYTE_0 src1_sel:DWORD
	s_mov_b64 s[28:29], -1
	s_and_saveexec_b64 s[42:43], s[38:39]
; %bb.1112:                             ;   in Loop: Header=BB2_902 Depth=4
	s_xor_b64 s[28:29], exec, -1
; %bb.1113:                             ;   in Loop: Header=BB2_902 Depth=4
	s_or_b64 exec, exec, s[42:43]
	s_and_b64 s[28:29], s[28:29], exec
	s_or_saveexec_b64 s[40:41], s[40:41]
	v_bfrev_b32_e32 v4, 1
	s_xor_b64 exec, exec, s[40:41]
	s_cbranch_execnz .LBB2_1434
.LBB2_1114:                             ;   in Loop: Header=BB2_902 Depth=4
	s_or_b64 exec, exec, s[40:41]
	s_and_saveexec_b64 s[38:39], s[28:29]
	s_cbranch_execz .LBB2_1116
.LBB2_1115:                             ;   in Loop: Header=BB2_902 Depth=4
	v_and_b32_e32 v16, 3, v2
	v_and_b32_e32 v4, 0x7c0000, v9
	v_cmp_eq_u32_e64 s[28:29], s45, v4
	v_ffbh_u32_e32 v4, v16
	v_min_u32_e32 v19, 32, v4
	v_subrev_u32_e32 v4, 29, v19
	v_bfe_u32 v17, v9, 18, 5
	v_lshlrev_b64 v[4:5], v4, v[2:3]
	v_cmp_eq_u32_e64 s[40:41], 0, v17
	v_sub_u32_e32 v5, 30, v19
	v_cndmask_b32_e64 v5, v17, v5, s[40:41]
	v_lshlrev_b32_e32 v17, 24, v2
	v_and_b32_e32 v4, 3, v4
	v_and_b32_e32 v17, 0x80000000, v17
	v_cndmask_b32_e64 v4, v16, v4, s[40:41]
	v_lshl_add_u32 v5, v5, 23, v17
	v_cmp_gt_i16_sdwa s[42:43], sext(v2), v26 src0_sel:BYTE_0 src1_sel:DWORD
	v_lshl_or_b32 v4, v4, 21, v5
	v_cmp_eq_u32_e64 s[40:41], 0, v16
	v_cndmask_b32_e64 v2, v27, v6, s[42:43]
	v_add_u32_e32 v4, 0x38000000, v4
	v_cndmask_b32_e64 v2, v7, v2, s[40:41]
	v_cndmask_b32_e64 v4, v4, v2, s[28:29]
.LBB2_1116:                             ;   in Loop: Header=BB2_902 Depth=4
	s_or_b64 exec, exec, s[38:39]
	v_mul_f32_e32 v1, v1, v4
	v_and_b32_e32 v4, 0x7f800000, v1
	v_mov_b32_e32 v5, v3
	v_cmp_ne_u64_e64 s[28:29], s[62:63], v[4:5]
	v_and_b32_e32 v2, 0x7fffff, v1
                                        ; implicit-def: $vgpr16
	s_and_saveexec_b64 s[40:41], s[28:29]
	s_xor_b64 s[42:43], exec, s[40:41]
	s_cbranch_execz .LBB2_1130
; %bb.1117:                             ;   in Loop: Header=BB2_902 Depth=4
	v_and_b32_e32 v4, 0x7fffffff, v1
	v_mov_b32_e32 v5, v3
	v_cmp_gt_u64_e64 s[28:29], s[78:79], v[4:5]
	v_and_b32_sdwa v25, v1, s82 dst_sel:DWORD dst_unused:UNUSED_PAD src0_sel:BYTE_3 src1_sel:DWORD
                                        ; implicit-def: $vgpr16
	s_and_saveexec_b64 s[40:41], s[28:29]
	s_xor_b64 s[38:39], exec, s[40:41]
	s_cbranch_execz .LBB2_1127
; %bb.1118:                             ;   in Loop: Header=BB2_902 Depth=4
	v_mov_b32_e32 v16, 0
	v_cmp_ne_u32_e64 s[28:29], 0, v1
	s_and_saveexec_b64 s[48:49], s[28:29]
	s_cbranch_execz .LBB2_1126
; %bb.1119:                             ;   in Loop: Header=BB2_902 Depth=4
	v_bfe_u32 v1, v1, 23, 8
	v_cmp_gt_u32_e64 s[40:41], s44, v1
	v_sub_u32_e32 v4, 0x71, v1
	v_cmp_eq_u32_e64 s[28:29], 0, v1
	v_cndmask_b32_e64 v4, 0, v4, s[40:41]
	v_mov_b32_e32 v16, 0x70
	v_cndmask_b32_e64 v39, v4, v16, s[28:29]
	v_or_b32_e32 v5, 0x800000, v2
	v_add_u32_e32 v4, 21, v39
	v_cndmask_b32_e64 v2, v5, v2, s[28:29]
	v_lshlrev_b64 v[4:5], v4, -1
	v_add_u32_e32 v16, 20, v39
	v_lshlrev_b64 v[16:17], v16, 1
	v_bfi_b32 v5, v5, 0, 0
	v_bfi_b32 v4, v4, 0, v2
	v_cmp_eq_u64_e64 s[40:41], v[4:5], v[16:17]
	v_lshrrev_b64 v[16:17], v39, v[2:3]
	v_mov_b32_e32 v4, v16
	v_mov_b32_e32 v5, v17
	s_and_saveexec_b64 s[50:51], s[40:41]
; %bb.1120:                             ;   in Loop: Header=BB2_902 Depth=4
	v_bfe_u32 v2, v16, 21, 1
	v_add_co_u32_e64 v2, s[40:41], v16, v2
	v_add_co_u32_e64 v4, s[40:41], -1, v2
; %bb.1121:                             ;   in Loop: Header=BB2_902 Depth=4
	s_or_b64 exec, exec, s[50:51]
	v_add_u32_e32 v1, 0xffffff81, v1
	v_mov_b32_e32 v2, 0xffffff82
	v_cndmask_b32_e64 v1, v1, v2, s[28:29]
	v_lshrrev_b32_e32 v2, 23, v16
	v_add3_u32 v19, v39, v1, v2
	v_add_u32_e32 v5, 14, v19
	v_and_b32_e32 v1, 0x1fffff, v4
	v_add_u32_e32 v2, v1, v16
	v_cmp_ne_u32_e64 s[28:29], 0, v5
                                        ; implicit-def: $vgpr16_vgpr17
                                        ; implicit-def: $vgpr1
	s_and_saveexec_b64 s[40:41], s[28:29]
	s_xor_b64 s[40:41], exec, s[40:41]
; %bb.1122:                             ;   in Loop: Header=BB2_902 Depth=4
	v_cmp_lt_u64_e64 s[28:29], s[88:89], v[2:3]
	v_add_u32_e32 v1, 15, v19
	v_cndmask_b32_e64 v4, 0, 1, s[28:29]
	v_cndmask_b32_e64 v1, v5, v1, s[28:29]
	v_lshrrev_b64 v[16:17], v4, v[2:3]
; %bb.1123:                             ;   in Loop: Header=BB2_902 Depth=4
	s_andn2_saveexec_b64 s[28:29], s[40:41]
; %bb.1124:                             ;   in Loop: Header=BB2_902 Depth=4
	v_mov_b32_e32 v17, v3
	v_bfe_u32 v1, v2, 23, 1
	v_mov_b32_e32 v16, v2
; %bb.1125:                             ;   in Loop: Header=BB2_902 Depth=4
	s_or_b64 exec, exec, s[28:29]
	v_lshrrev_b64 v[4:5], 21, v[16:17]
	v_cmp_gt_i32_e64 s[28:29], 32, v1
	v_cndmask_b32_e64 v5, 0, v5, s[28:29]
	v_cndmask_b32_e64 v4, 3, v4, s[28:29]
	v_cmp_eq_u32_e64 s[28:29], 0, v1
	v_min_i32_e32 v1, 31, v1
	v_cmp_eq_u64_e64 s[40:41], 0, v[4:5]
	v_lshlrev_b32_e32 v1, 2, v1
	v_and_b32_e32 v1, 0xfc, v1
	v_and_or_b32 v1, v4, 3, v1
	s_and_b64 s[28:29], s[28:29], s[40:41]
	v_cndmask_b32_e64 v1, v1, 0, s[28:29]
	v_or_b32_e32 v16, v1, v25
.LBB2_1126:                             ;   in Loop: Header=BB2_902 Depth=4
	s_or_b64 exec, exec, s[48:49]
                                        ; implicit-def: $vgpr25
.LBB2_1127:                             ;   in Loop: Header=BB2_902 Depth=4
	s_andn2_saveexec_b64 s[28:29], s[38:39]
; %bb.1128:                             ;   in Loop: Header=BB2_902 Depth=4
	v_or_b32_e32 v16, 0x7b, v25
; %bb.1129:                             ;   in Loop: Header=BB2_902 Depth=4
	s_or_b64 exec, exec, s[28:29]
                                        ; implicit-def: $vgpr1
.LBB2_1130:                             ;   in Loop: Header=BB2_902 Depth=4
	s_andn2_saveexec_b64 s[40:41], s[42:43]
	s_cbranch_execz .LBB2_1136
; %bb.1131:                             ;   in Loop: Header=BB2_902 Depth=4
	v_cmp_ne_u64_e64 s[28:29], 0, v[2:3]
                                        ; implicit-def: $vgpr16
	s_and_saveexec_b64 s[42:43], s[28:29]
	s_xor_b64 s[28:29], exec, s[42:43]
; %bb.1132:                             ;   in Loop: Header=BB2_902 Depth=4
	v_or_b32_sdwa v16, v1, s81 dst_sel:DWORD dst_unused:UNUSED_PAD src0_sel:BYTE_3 src1_sel:DWORD
                                        ; implicit-def: $vgpr1
; %bb.1133:                             ;   in Loop: Header=BB2_902 Depth=4
	s_andn2_saveexec_b64 s[42:43], s[28:29]
; %bb.1134:                             ;   in Loop: Header=BB2_902 Depth=4
	v_cmp_lt_i32_e64 s[28:29], -1, v1
	v_cndmask_b32_e64 v16, v0, v49, s[28:29]
; %bb.1135:                             ;   in Loop: Header=BB2_902 Depth=4
	s_or_b64 exec, exec, s[42:43]
.LBB2_1136:                             ;   in Loop: Header=BB2_902 Depth=4
	s_or_b64 exec, exec, s[40:41]
	v_cmp_lt_u64_e64 s[28:29], s[56:57], v[12:13]
	v_mov_b32_e32 v1, 0
	s_and_saveexec_b64 s[40:41], s[28:29]
	s_cbranch_execz .LBB2_1144
; %bb.1137:                             ;   in Loop: Header=BB2_902 Depth=4
	v_lshrrev_b32_e32 v2, 24, v13
	v_cmp_ne_u32_e64 s[28:29], s82, v2
	v_bfrev_b32_e32 v1, 1
	s_and_saveexec_b64 s[42:43], s[28:29]
	s_cbranch_execz .LBB2_1143
; %bb.1138:                             ;   in Loop: Header=BB2_902 Depth=4
	v_and_b32_e32 v1, 0x7c000000, v13
	v_bfe_u32 v4, v13, 24, 2
	v_cmp_ne_u32_e64 s[28:29], s83, v1
                                        ; implicit-def: $vgpr1
	s_and_saveexec_b64 s[38:39], s[28:29]
	s_xor_b64 s[38:39], exec, s[38:39]
	s_cbranch_execz .LBB2_1140
; %bb.1139:                             ;   in Loop: Header=BB2_902 Depth=4
	v_ffbh_u32_e32 v1, v4
	v_min_u32_e32 v17, 32, v1
	v_subrev_u32_e32 v1, 29, v17
	v_lshlrev_b64 v[1:2], v1, v[2:3]
	v_bfe_u32 v5, v13, 26, 5
	v_sub_u32_e32 v2, 30, v17
	v_and_b32_e32 v1, 3, v1
	v_cmp_eq_u32_e64 s[28:29], 0, v5
	v_cndmask_b32_e64 v2, v5, v2, s[28:29]
	v_cndmask_b32_e64 v1, v4, v1, s[28:29]
	v_and_b32_e32 v4, 0x80000000, v13
	v_lshl_add_u32 v2, v2, 23, v4
	v_lshl_or_b32 v1, v1, 21, v2
	v_add_u32_e32 v1, 0x38000000, v1
                                        ; implicit-def: $vgpr4
.LBB2_1140:                             ;   in Loop: Header=BB2_902 Depth=4
	s_andn2_saveexec_b64 s[38:39], s[38:39]
; %bb.1141:                             ;   in Loop: Header=BB2_902 Depth=4
	v_cmp_lt_i64_e64 s[28:29], -1, v[12:13]
	v_cndmask_b32_e64 v1, v27, v6, s[28:29]
	v_cmp_eq_u32_e64 s[28:29], 0, v4
	v_cndmask_b32_e64 v1, v7, v1, s[28:29]
; %bb.1142:                             ;   in Loop: Header=BB2_902 Depth=4
	s_or_b64 exec, exec, s[38:39]
.LBB2_1143:                             ;   in Loop: Header=BB2_902 Depth=4
	s_or_b64 exec, exec, s[42:43]
.LBB2_1144:                             ;   in Loop: Header=BB2_902 Depth=4
	s_or_b64 exec, exec, s[40:41]
	v_bfe_u32 v12, v9, 24, 2
	v_and_b32_e32 v4, 0x7c000000, v9
	v_cmp_eq_u32_e64 s[28:29], s83, v4
	v_ffbh_u32_e32 v4, v12
	v_min_u32_e32 v17, 32, v4
	v_lshrrev_b32_e32 v2, 24, v9
	v_subrev_u32_e32 v4, 29, v17
	v_bfe_u32 v13, v9, 26, 5
	v_lshlrev_b64 v[4:5], v4, v[2:3]
	v_cmp_eq_u32_e64 s[40:41], 0, v13
	v_sub_u32_e32 v5, 30, v17
	v_and_b32_e32 v4, 3, v4
	v_cndmask_b32_e64 v5, v13, v5, s[40:41]
	v_and_b32_e32 v13, 0x80000000, v9
	v_cmp_lt_i64_e64 s[42:43], -1, v[8:9]
	v_cndmask_b32_e64 v4, v12, v4, s[40:41]
	v_lshl_add_u32 v5, v5, 23, v13
	v_lshl_or_b32 v4, v4, 21, v5
	v_cmp_eq_u32_e64 s[40:41], 0, v12
	v_cndmask_b32_e64 v5, v27, v6, s[42:43]
	v_add_u32_e32 v4, 0x38000000, v4
	v_cndmask_b32_e64 v5, v7, v5, s[40:41]
	v_cndmask_b32_e64 v4, v4, v5, s[28:29]
	v_cmp_ne_u32_e64 s[28:29], s82, v2
	v_cndmask_b32_e64 v2, v53, v4, s[28:29]
	v_cmp_lt_u64_e64 s[28:29], s[56:57], v[8:9]
	v_mov_b32_e32 v5, v3
	v_cndmask_b32_e64 v2, 0, v2, s[28:29]
	v_mul_f32_e32 v1, v2, v1
	v_and_b32_e32 v4, 0x7f800000, v1
	v_cmp_ne_u64_e64 s[28:29], s[62:63], v[4:5]
	v_and_b32_e32 v2, 0x7fffff, v1
                                        ; implicit-def: $vgpr17
	s_and_saveexec_b64 s[40:41], s[28:29]
	s_xor_b64 s[42:43], exec, s[40:41]
	s_cbranch_execz .LBB2_1158
; %bb.1145:                             ;   in Loop: Header=BB2_902 Depth=4
	v_and_b32_e32 v4, 0x7fffffff, v1
	v_mov_b32_e32 v5, v3
	v_cmp_gt_u64_e64 s[28:29], s[78:79], v[4:5]
	v_and_b32_sdwa v12, v1, s82 dst_sel:DWORD dst_unused:UNUSED_PAD src0_sel:BYTE_3 src1_sel:DWORD
                                        ; implicit-def: $vgpr17
	s_and_saveexec_b64 s[40:41], s[28:29]
	s_xor_b64 s[38:39], exec, s[40:41]
	s_cbranch_execz .LBB2_1155
; %bb.1146:                             ;   in Loop: Header=BB2_902 Depth=4
	v_mov_b32_e32 v17, 0
	v_cmp_ne_u32_e64 s[28:29], 0, v1
	s_and_saveexec_b64 s[48:49], s[28:29]
	s_cbranch_execz .LBB2_1154
; %bb.1147:                             ;   in Loop: Header=BB2_902 Depth=4
	v_bfe_u32 v1, v1, 23, 8
	v_cmp_gt_u32_e64 s[40:41], s44, v1
	v_sub_u32_e32 v4, 0x71, v1
	v_cmp_eq_u32_e64 s[28:29], 0, v1
	v_cndmask_b32_e64 v4, 0, v4, s[40:41]
	v_mov_b32_e32 v8, 0x70
	v_cndmask_b32_e64 v13, v4, v8, s[28:29]
	v_or_b32_e32 v5, 0x800000, v2
	v_add_u32_e32 v4, 21, v13
	v_cndmask_b32_e64 v2, v5, v2, s[28:29]
	v_lshlrev_b64 v[4:5], v4, -1
	v_add_u32_e32 v8, 20, v13
	v_lshlrev_b64 v[8:9], v8, 1
	v_bfi_b32 v5, v5, 0, 0
	v_bfi_b32 v4, v4, 0, v2
	v_cmp_eq_u64_e64 s[40:41], v[4:5], v[8:9]
	v_lshrrev_b64 v[8:9], v13, v[2:3]
	v_mov_b32_e32 v4, v8
	v_mov_b32_e32 v5, v9
	s_and_saveexec_b64 s[50:51], s[40:41]
; %bb.1148:                             ;   in Loop: Header=BB2_902 Depth=4
	v_bfe_u32 v2, v8, 21, 1
	v_add_co_u32_e64 v2, s[40:41], v8, v2
	v_add_co_u32_e64 v4, s[40:41], -1, v2
; %bb.1149:                             ;   in Loop: Header=BB2_902 Depth=4
	s_or_b64 exec, exec, s[50:51]
	v_add_u32_e32 v1, 0xffffff81, v1
	v_mov_b32_e32 v2, 0xffffff82
	v_cndmask_b32_e64 v1, v1, v2, s[28:29]
	v_lshrrev_b32_e32 v2, 23, v8
	v_add3_u32 v13, v13, v1, v2
	v_add_u32_e32 v5, 14, v13
	v_and_b32_e32 v1, 0x1fffff, v4
	v_add_u32_e32 v2, v1, v8
	v_cmp_ne_u32_e64 s[28:29], 0, v5
                                        ; implicit-def: $vgpr8_vgpr9
                                        ; implicit-def: $vgpr1
	s_and_saveexec_b64 s[40:41], s[28:29]
	s_xor_b64 s[40:41], exec, s[40:41]
; %bb.1150:                             ;   in Loop: Header=BB2_902 Depth=4
	v_cmp_lt_u64_e64 s[28:29], s[88:89], v[2:3]
	v_add_u32_e32 v1, 15, v13
	v_cndmask_b32_e64 v4, 0, 1, s[28:29]
	v_cndmask_b32_e64 v1, v5, v1, s[28:29]
	v_lshrrev_b64 v[8:9], v4, v[2:3]
; %bb.1151:                             ;   in Loop: Header=BB2_902 Depth=4
	s_andn2_saveexec_b64 s[28:29], s[40:41]
; %bb.1152:                             ;   in Loop: Header=BB2_902 Depth=4
	v_mov_b32_e32 v9, v3
	v_bfe_u32 v1, v2, 23, 1
	v_mov_b32_e32 v8, v2
; %bb.1153:                             ;   in Loop: Header=BB2_902 Depth=4
	s_or_b64 exec, exec, s[28:29]
	v_lshrrev_b64 v[4:5], 21, v[8:9]
	v_cmp_gt_i32_e64 s[28:29], 32, v1
	v_cndmask_b32_e64 v5, 0, v5, s[28:29]
	v_cndmask_b32_e64 v4, 3, v4, s[28:29]
	v_cmp_eq_u32_e64 s[28:29], 0, v1
	v_min_i32_e32 v1, 31, v1
	v_cmp_eq_u64_e64 s[40:41], 0, v[4:5]
	v_lshlrev_b32_e32 v1, 2, v1
	v_and_b32_e32 v1, 0xfc, v1
	v_and_or_b32 v1, v4, 3, v1
	s_and_b64 s[28:29], s[28:29], s[40:41]
	v_cndmask_b32_e64 v1, v1, 0, s[28:29]
	v_or_b32_e32 v17, v1, v12
.LBB2_1154:                             ;   in Loop: Header=BB2_902 Depth=4
	s_or_b64 exec, exec, s[48:49]
                                        ; implicit-def: $vgpr12
.LBB2_1155:                             ;   in Loop: Header=BB2_902 Depth=4
	s_andn2_saveexec_b64 s[28:29], s[38:39]
; %bb.1156:                             ;   in Loop: Header=BB2_902 Depth=4
	v_or_b32_e32 v17, 0x7b, v12
; %bb.1157:                             ;   in Loop: Header=BB2_902 Depth=4
	s_or_b64 exec, exec, s[28:29]
                                        ; implicit-def: $vgpr1
.LBB2_1158:                             ;   in Loop: Header=BB2_902 Depth=4
	s_andn2_saveexec_b64 s[40:41], s[42:43]
	s_cbranch_execz .LBB2_1164
; %bb.1159:                             ;   in Loop: Header=BB2_902 Depth=4
	v_cmp_ne_u64_e64 s[28:29], 0, v[2:3]
                                        ; implicit-def: $vgpr17
	s_and_saveexec_b64 s[42:43], s[28:29]
	s_xor_b64 s[28:29], exec, s[42:43]
; %bb.1160:                             ;   in Loop: Header=BB2_902 Depth=4
	v_or_b32_sdwa v17, v1, s81 dst_sel:DWORD dst_unused:UNUSED_PAD src0_sel:BYTE_3 src1_sel:DWORD
                                        ; implicit-def: $vgpr1
; %bb.1161:                             ;   in Loop: Header=BB2_902 Depth=4
	s_andn2_saveexec_b64 s[42:43], s[28:29]
; %bb.1162:                             ;   in Loop: Header=BB2_902 Depth=4
	v_cmp_lt_i32_e64 s[28:29], -1, v1
	v_cndmask_b32_e64 v17, v0, v49, s[28:29]
; %bb.1163:                             ;   in Loop: Header=BB2_902 Depth=4
	s_or_b64 exec, exec, s[42:43]
.LBB2_1164:                             ;   in Loop: Header=BB2_902 Depth=4
	s_or_b64 exec, exec, s[40:41]
	v_cmp_ne_u16_sdwa s[28:29], v14, v3 src0_sel:BYTE_0 src1_sel:DWORD
	v_mov_b32_e32 v1, 0
	s_and_saveexec_b64 s[40:41], s[28:29]
	s_cbranch_execz .LBB2_1172
; %bb.1165:                             ;   in Loop: Header=BB2_902 Depth=4
	v_cmp_ne_u16_sdwa s[28:29], sext(v14), s70 src0_sel:BYTE_0 src1_sel:DWORD
	v_bfrev_b32_e32 v1, 1
	s_and_saveexec_b64 s[42:43], s[28:29]
	s_cbranch_execz .LBB2_1171
; %bb.1166:                             ;   in Loop: Header=BB2_902 Depth=4
	v_and_b32_e32 v1, 0x7c, v14
	v_and_b32_e32 v2, 3, v14
	v_cmp_ne_u32_e64 s[28:29], s71, v1
                                        ; implicit-def: $vgpr1
	s_and_saveexec_b64 s[38:39], s[28:29]
	s_xor_b64 s[38:39], exec, s[38:39]
	s_cbranch_execz .LBB2_1168
; %bb.1167:                             ;   in Loop: Header=BB2_902 Depth=4
	v_ffbh_u32_e32 v4, v2
	v_min_u32_e32 v8, 32, v4
	v_subrev_u32_e32 v4, 29, v8
	v_lshlrev_b64 v[4:5], v4, v[14:15]
	v_bfe_u32 v1, v14, 2, 5
	v_and_b32_e32 v4, 3, v4
	v_cmp_eq_u32_e64 s[28:29], 0, v1
	v_sub_u32_e32 v5, 30, v8
	v_cndmask_b32_e64 v2, v2, v4, s[28:29]
	v_lshlrev_b32_e32 v4, 24, v14
	v_cndmask_b32_e64 v1, v1, v5, s[28:29]
	v_and_b32_e32 v4, 0x80000000, v4
	v_lshl_add_u32 v1, v1, 23, v4
	v_lshl_or_b32 v1, v2, 21, v1
	v_add_u32_e32 v1, 0x38000000, v1
                                        ; implicit-def: $vgpr2
.LBB2_1168:                             ;   in Loop: Header=BB2_902 Depth=4
	s_andn2_saveexec_b64 s[38:39], s[38:39]
; %bb.1169:                             ;   in Loop: Header=BB2_902 Depth=4
	v_cmp_gt_i16_sdwa s[28:29], sext(v14), v26 src0_sel:BYTE_0 src1_sel:DWORD
	v_cndmask_b32_e64 v1, v27, v6, s[28:29]
	v_cmp_eq_u32_e64 s[28:29], 0, v2
	v_cndmask_b32_e64 v1, v7, v1, s[28:29]
; %bb.1170:                             ;   in Loop: Header=BB2_902 Depth=4
	s_or_b64 exec, exec, s[38:39]
.LBB2_1171:                             ;   in Loop: Header=BB2_902 Depth=4
	s_or_b64 exec, exec, s[42:43]
.LBB2_1172:                             ;   in Loop: Header=BB2_902 Depth=4
	s_or_b64 exec, exec, s[40:41]
	v_cmp_gt_i16_sdwa s[40:41], v10, s81 src0_sel:BYTE_0 src1_sel:DWORD
	s_mov_b64 s[28:29], 0
	s_and_saveexec_b64 s[42:43], s[40:41]
	s_xor_b64 s[40:41], exec, s[42:43]
	s_cbranch_execz .LBB2_1435
; %bb.1173:                             ;   in Loop: Header=BB2_902 Depth=4
	v_cmp_eq_u16_sdwa s[38:39], v10, s82 src0_sel:BYTE_0 src1_sel:DWORD
	s_mov_b64 s[28:29], -1
	s_and_saveexec_b64 s[42:43], s[38:39]
; %bb.1174:                             ;   in Loop: Header=BB2_902 Depth=4
	s_xor_b64 s[28:29], exec, -1
; %bb.1175:                             ;   in Loop: Header=BB2_902 Depth=4
	s_or_b64 exec, exec, s[42:43]
	s_and_b64 s[28:29], s[28:29], exec
	s_or_saveexec_b64 s[40:41], s[40:41]
	v_bfrev_b32_e32 v2, 1
	s_xor_b64 exec, exec, s[40:41]
	s_cbranch_execnz .LBB2_1436
.LBB2_1176:                             ;   in Loop: Header=BB2_902 Depth=4
	s_or_b64 exec, exec, s[40:41]
	s_and_saveexec_b64 s[38:39], s[28:29]
	s_cbranch_execz .LBB2_1178
.LBB2_1177:                             ;   in Loop: Header=BB2_902 Depth=4
	v_and_b32_e32 v2, 3, v10
	v_and_b32_e32 v4, 0x7c, v10
	v_cmp_eq_u32_e64 s[28:29], s71, v4
	v_ffbh_u32_e32 v4, v2
	v_min_u32_e32 v9, 32, v4
	v_subrev_u32_e32 v4, 29, v9
	v_bfe_u32 v8, v10, 2, 5
	v_lshlrev_b64 v[4:5], v4, v[10:11]
	v_cmp_eq_u32_e64 s[40:41], 0, v8
	v_sub_u32_e32 v5, 30, v9
	v_cndmask_b32_e64 v5, v8, v5, s[40:41]
	v_lshlrev_b32_e32 v8, 24, v10
	v_and_b32_e32 v4, 3, v4
	v_and_b32_e32 v8, 0x80000000, v8
	v_cndmask_b32_e64 v4, v2, v4, s[40:41]
	v_lshl_add_u32 v5, v5, 23, v8
	v_cmp_gt_i16_sdwa s[42:43], sext(v10), v26 src0_sel:BYTE_0 src1_sel:DWORD
	v_lshl_or_b32 v4, v4, 21, v5
	v_cmp_eq_u32_e64 s[40:41], 0, v2
	v_cndmask_b32_e64 v2, v27, v6, s[42:43]
	v_add_u32_e32 v4, 0x38000000, v4
	v_cndmask_b32_e64 v2, v7, v2, s[40:41]
	v_cndmask_b32_e64 v2, v4, v2, s[28:29]
.LBB2_1178:                             ;   in Loop: Header=BB2_902 Depth=4
	s_or_b64 exec, exec, s[38:39]
	v_mul_f32_e32 v1, v1, v2
	v_and_b32_e32 v4, 0x7f800000, v1
	v_mov_b32_e32 v5, v3
	v_cmp_ne_u64_e64 s[28:29], s[62:63], v[4:5]
	v_and_b32_e32 v2, 0x7fffff, v1
                                        ; implicit-def: $vgpr25
	s_and_saveexec_b64 s[40:41], s[28:29]
	s_xor_b64 s[42:43], exec, s[40:41]
	s_cbranch_execz .LBB2_1192
; %bb.1179:                             ;   in Loop: Header=BB2_902 Depth=4
	v_and_b32_e32 v4, 0x7fffffff, v1
	v_mov_b32_e32 v5, v3
	v_cmp_gt_u64_e64 s[28:29], s[78:79], v[4:5]
	v_and_b32_sdwa v12, v1, s82 dst_sel:DWORD dst_unused:UNUSED_PAD src0_sel:BYTE_3 src1_sel:DWORD
                                        ; implicit-def: $vgpr25
	s_and_saveexec_b64 s[40:41], s[28:29]
	s_xor_b64 s[38:39], exec, s[40:41]
	s_cbranch_execz .LBB2_1189
; %bb.1180:                             ;   in Loop: Header=BB2_902 Depth=4
	v_mov_b32_e32 v25, 0
	v_cmp_ne_u32_e64 s[28:29], 0, v1
	s_and_saveexec_b64 s[48:49], s[28:29]
	s_cbranch_execz .LBB2_1188
; %bb.1181:                             ;   in Loop: Header=BB2_902 Depth=4
	v_bfe_u32 v1, v1, 23, 8
	v_cmp_gt_u32_e64 s[40:41], s44, v1
	v_sub_u32_e32 v4, 0x71, v1
	v_cmp_eq_u32_e64 s[28:29], 0, v1
	v_cndmask_b32_e64 v4, 0, v4, s[40:41]
	v_mov_b32_e32 v8, 0x70
	v_cndmask_b32_e64 v13, v4, v8, s[28:29]
	v_or_b32_e32 v5, 0x800000, v2
	v_add_u32_e32 v4, 21, v13
	v_cndmask_b32_e64 v2, v5, v2, s[28:29]
	v_lshlrev_b64 v[4:5], v4, -1
	v_add_u32_e32 v8, 20, v13
	v_lshlrev_b64 v[8:9], v8, 1
	v_bfi_b32 v5, v5, 0, 0
	v_bfi_b32 v4, v4, 0, v2
	v_cmp_eq_u64_e64 s[40:41], v[4:5], v[8:9]
	v_lshrrev_b64 v[8:9], v13, v[2:3]
	v_mov_b32_e32 v4, v8
	v_mov_b32_e32 v5, v9
	s_and_saveexec_b64 s[50:51], s[40:41]
; %bb.1182:                             ;   in Loop: Header=BB2_902 Depth=4
	v_bfe_u32 v2, v8, 21, 1
	v_add_co_u32_e64 v2, s[40:41], v8, v2
	v_add_co_u32_e64 v4, s[40:41], -1, v2
; %bb.1183:                             ;   in Loop: Header=BB2_902 Depth=4
	s_or_b64 exec, exec, s[50:51]
	v_add_u32_e32 v1, 0xffffff81, v1
	v_mov_b32_e32 v2, 0xffffff82
	v_cndmask_b32_e64 v1, v1, v2, s[28:29]
	v_lshrrev_b32_e32 v2, 23, v8
	v_add3_u32 v13, v13, v1, v2
	v_add_u32_e32 v5, 14, v13
	v_and_b32_e32 v1, 0x1fffff, v4
	v_add_u32_e32 v2, v1, v8
	v_cmp_ne_u32_e64 s[28:29], 0, v5
                                        ; implicit-def: $vgpr8_vgpr9
                                        ; implicit-def: $vgpr1
	s_and_saveexec_b64 s[40:41], s[28:29]
	s_xor_b64 s[40:41], exec, s[40:41]
; %bb.1184:                             ;   in Loop: Header=BB2_902 Depth=4
	v_cmp_lt_u64_e64 s[28:29], s[88:89], v[2:3]
	v_add_u32_e32 v1, 15, v13
	v_cndmask_b32_e64 v4, 0, 1, s[28:29]
	v_cndmask_b32_e64 v1, v5, v1, s[28:29]
	v_lshrrev_b64 v[8:9], v4, v[2:3]
; %bb.1185:                             ;   in Loop: Header=BB2_902 Depth=4
	s_andn2_saveexec_b64 s[28:29], s[40:41]
; %bb.1186:                             ;   in Loop: Header=BB2_902 Depth=4
	v_mov_b32_e32 v9, v3
	v_bfe_u32 v1, v2, 23, 1
	v_mov_b32_e32 v8, v2
; %bb.1187:                             ;   in Loop: Header=BB2_902 Depth=4
	s_or_b64 exec, exec, s[28:29]
	v_lshrrev_b64 v[4:5], 21, v[8:9]
	v_cmp_gt_i32_e64 s[28:29], 32, v1
	v_cndmask_b32_e64 v5, 0, v5, s[28:29]
	v_cndmask_b32_e64 v4, 3, v4, s[28:29]
	v_cmp_eq_u32_e64 s[28:29], 0, v1
	v_min_i32_e32 v1, 31, v1
	v_cmp_eq_u64_e64 s[40:41], 0, v[4:5]
	v_lshlrev_b32_e32 v1, 2, v1
	v_and_b32_e32 v1, 0xfc, v1
	v_and_or_b32 v1, v4, 3, v1
	s_and_b64 s[28:29], s[28:29], s[40:41]
	v_cndmask_b32_e64 v1, v1, 0, s[28:29]
	v_or_b32_e32 v25, v1, v12
.LBB2_1188:                             ;   in Loop: Header=BB2_902 Depth=4
	s_or_b64 exec, exec, s[48:49]
                                        ; implicit-def: $vgpr12
.LBB2_1189:                             ;   in Loop: Header=BB2_902 Depth=4
	s_andn2_saveexec_b64 s[28:29], s[38:39]
; %bb.1190:                             ;   in Loop: Header=BB2_902 Depth=4
	v_or_b32_e32 v25, 0x7b, v12
; %bb.1191:                             ;   in Loop: Header=BB2_902 Depth=4
	s_or_b64 exec, exec, s[28:29]
                                        ; implicit-def: $vgpr1
.LBB2_1192:                             ;   in Loop: Header=BB2_902 Depth=4
	s_andn2_saveexec_b64 s[40:41], s[42:43]
	s_cbranch_execz .LBB2_1198
; %bb.1193:                             ;   in Loop: Header=BB2_902 Depth=4
	v_cmp_ne_u64_e64 s[28:29], 0, v[2:3]
                                        ; implicit-def: $vgpr25
	s_and_saveexec_b64 s[42:43], s[28:29]
	s_xor_b64 s[28:29], exec, s[42:43]
; %bb.1194:                             ;   in Loop: Header=BB2_902 Depth=4
	v_or_b32_sdwa v25, v1, s81 dst_sel:DWORD dst_unused:UNUSED_PAD src0_sel:BYTE_3 src1_sel:DWORD
                                        ; implicit-def: $vgpr1
; %bb.1195:                             ;   in Loop: Header=BB2_902 Depth=4
	s_andn2_saveexec_b64 s[42:43], s[28:29]
; %bb.1196:                             ;   in Loop: Header=BB2_902 Depth=4
	v_cmp_lt_i32_e64 s[28:29], -1, v1
	v_cndmask_b32_e64 v25, v0, v49, s[28:29]
; %bb.1197:                             ;   in Loop: Header=BB2_902 Depth=4
	s_or_b64 exec, exec, s[42:43]
.LBB2_1198:                             ;   in Loop: Header=BB2_902 Depth=4
	s_or_b64 exec, exec, s[40:41]
	v_lshrrev_b16_e32 v2, 8, v14
	v_cmp_ne_u16_e64 s[28:29], 0, v2
	v_mov_b32_e32 v1, 0
	s_and_saveexec_b64 s[40:41], s[28:29]
	s_cbranch_execz .LBB2_1206
; %bb.1199:                             ;   in Loop: Header=BB2_902 Depth=4
	v_cmp_ne_u16_e64 s[28:29], s82, v2
	v_bfrev_b32_e32 v1, 1
	s_and_saveexec_b64 s[42:43], s[28:29]
	s_cbranch_execz .LBB2_1205
; %bb.1200:                             ;   in Loop: Header=BB2_902 Depth=4
	v_and_b32_e32 v1, 0x7c, v2
	v_and_b32_e32 v4, 3, v2
	v_cmp_ne_u32_e64 s[28:29], s71, v1
                                        ; implicit-def: $vgpr1
	s_and_saveexec_b64 s[38:39], s[28:29]
	s_xor_b64 s[38:39], exec, s[38:39]
	s_cbranch_execz .LBB2_1202
; %bb.1201:                             ;   in Loop: Header=BB2_902 Depth=4
	v_ffbh_u32_e32 v1, v4
	v_min_u32_e32 v8, 32, v1
	v_subrev_u32_e32 v1, 29, v8
	v_bfe_u32 v5, v2, 2, 5
	v_lshlrev_b64 v[1:2], v1, v[2:3]
	v_cmp_eq_u32_e64 s[28:29], 0, v5
	v_and_b32_e32 v1, 3, v1
	v_sub_u32_e32 v2, 30, v8
	v_cndmask_b32_e64 v1, v4, v1, s[28:29]
	v_lshlrev_b32_e32 v4, 16, v14
	v_cndmask_b32_e64 v2, v5, v2, s[28:29]
	v_and_b32_e32 v4, 0x80000000, v4
	v_lshl_add_u32 v2, v2, 23, v4
	v_lshl_or_b32 v1, v1, 21, v2
	v_add_u32_e32 v1, 0x38000000, v1
                                        ; implicit-def: $vgpr4
.LBB2_1202:                             ;   in Loop: Header=BB2_902 Depth=4
	s_andn2_saveexec_b64 s[38:39], s[38:39]
; %bb.1203:                             ;   in Loop: Header=BB2_902 Depth=4
	v_cmp_lt_i16_e64 s[28:29], -1, v14
	v_cndmask_b32_e64 v1, v27, v6, s[28:29]
	v_cmp_eq_u32_e64 s[28:29], 0, v4
	v_cndmask_b32_e64 v1, v7, v1, s[28:29]
; %bb.1204:                             ;   in Loop: Header=BB2_902 Depth=4
	s_or_b64 exec, exec, s[38:39]
.LBB2_1205:                             ;   in Loop: Header=BB2_902 Depth=4
	s_or_b64 exec, exec, s[42:43]
.LBB2_1206:                             ;   in Loop: Header=BB2_902 Depth=4
	s_or_b64 exec, exec, s[40:41]
	v_lshrrev_b16_e32 v2, 8, v10
	v_cmp_lt_i16_e64 s[28:29], s81, v2
	s_mov_b64 s[40:41], 0
	s_and_saveexec_b64 s[42:43], s[28:29]
	s_xor_b64 s[42:43], exec, s[42:43]
	s_cbranch_execz .LBB2_1437
; %bb.1207:                             ;   in Loop: Header=BB2_902 Depth=4
	v_cmp_eq_u16_e64 s[28:29], s82, v2
	s_mov_b64 s[40:41], -1
	s_and_saveexec_b64 s[38:39], s[28:29]
; %bb.1208:                             ;   in Loop: Header=BB2_902 Depth=4
	s_xor_b64 s[40:41], exec, -1
; %bb.1209:                             ;   in Loop: Header=BB2_902 Depth=4
	s_or_b64 exec, exec, s[38:39]
	s_and_b64 s[40:41], s[40:41], exec
	s_or_saveexec_b64 s[42:43], s[42:43]
	v_bfrev_b32_e32 v4, 1
	s_xor_b64 exec, exec, s[42:43]
	s_cbranch_execnz .LBB2_1438
.LBB2_1210:                             ;   in Loop: Header=BB2_902 Depth=4
	s_or_b64 exec, exec, s[42:43]
	s_and_saveexec_b64 s[38:39], s[40:41]
	s_cbranch_execz .LBB2_1212
.LBB2_1211:                             ;   in Loop: Header=BB2_902 Depth=4
	v_and_b32_e32 v8, 3, v2
	v_and_b32_e32 v4, 0x7c, v2
	v_cmp_eq_u32_e64 s[28:29], s71, v4
	v_ffbh_u32_e32 v4, v8
	v_min_u32_e32 v12, 32, v4
	v_subrev_u32_e32 v4, 29, v12
	v_bfe_u32 v9, v2, 2, 5
	v_lshlrev_b64 v[4:5], v4, v[2:3]
	v_cmp_eq_u32_e64 s[40:41], 0, v9
	v_sub_u32_e32 v5, 30, v12
	v_lshlrev_b32_e32 v2, 24, v2
	v_and_b32_e32 v4, 3, v4
	v_cndmask_b32_e64 v5, v9, v5, s[40:41]
	v_and_b32_e32 v2, 0x80000000, v2
	v_cndmask_b32_e64 v4, v8, v4, s[40:41]
	v_lshl_add_u32 v2, v5, 23, v2
	v_cmp_lt_i16_e64 s[42:43], -1, v10
	v_lshl_or_b32 v2, v4, 21, v2
	v_cmp_eq_u32_e64 s[40:41], 0, v8
	v_cndmask_b32_e64 v4, v27, v6, s[42:43]
	v_add_u32_e32 v2, 0x38000000, v2
	v_cndmask_b32_e64 v4, v7, v4, s[40:41]
	v_cndmask_b32_e64 v4, v2, v4, s[28:29]
.LBB2_1212:                             ;   in Loop: Header=BB2_902 Depth=4
	s_or_b64 exec, exec, s[38:39]
	v_mul_f32_e32 v1, v1, v4
	v_and_b32_e32 v4, 0x7f800000, v1
	v_mov_b32_e32 v5, v3
	v_cmp_ne_u64_e64 s[28:29], s[62:63], v[4:5]
	v_and_b32_e32 v2, 0x7fffff, v1
                                        ; implicit-def: $vgpr52
	s_and_saveexec_b64 s[40:41], s[28:29]
	s_xor_b64 s[42:43], exec, s[40:41]
	s_cbranch_execz .LBB2_1226
; %bb.1213:                             ;   in Loop: Header=BB2_902 Depth=4
	v_and_b32_e32 v4, 0x7fffffff, v1
	v_mov_b32_e32 v5, v3
	v_cmp_gt_u64_e64 s[28:29], s[78:79], v[4:5]
	v_and_b32_sdwa v12, v1, s82 dst_sel:DWORD dst_unused:UNUSED_PAD src0_sel:BYTE_3 src1_sel:DWORD
                                        ; implicit-def: $vgpr52
	s_and_saveexec_b64 s[40:41], s[28:29]
	s_xor_b64 s[38:39], exec, s[40:41]
	s_cbranch_execz .LBB2_1223
; %bb.1214:                             ;   in Loop: Header=BB2_902 Depth=4
	v_mov_b32_e32 v52, 0
	v_cmp_ne_u32_e64 s[28:29], 0, v1
	s_and_saveexec_b64 s[48:49], s[28:29]
	s_cbranch_execz .LBB2_1222
; %bb.1215:                             ;   in Loop: Header=BB2_902 Depth=4
	v_bfe_u32 v1, v1, 23, 8
	v_cmp_gt_u32_e64 s[40:41], s44, v1
	v_sub_u32_e32 v4, 0x71, v1
	v_cmp_eq_u32_e64 s[28:29], 0, v1
	v_cndmask_b32_e64 v4, 0, v4, s[40:41]
	v_mov_b32_e32 v8, 0x70
	v_cndmask_b32_e64 v13, v4, v8, s[28:29]
	v_or_b32_e32 v5, 0x800000, v2
	v_add_u32_e32 v4, 21, v13
	v_cndmask_b32_e64 v2, v5, v2, s[28:29]
	v_lshlrev_b64 v[4:5], v4, -1
	v_add_u32_e32 v8, 20, v13
	v_lshlrev_b64 v[8:9], v8, 1
	v_bfi_b32 v5, v5, 0, 0
	v_bfi_b32 v4, v4, 0, v2
	v_cmp_eq_u64_e64 s[40:41], v[4:5], v[8:9]
	v_lshrrev_b64 v[8:9], v13, v[2:3]
	v_mov_b32_e32 v4, v8
	v_mov_b32_e32 v5, v9
	s_and_saveexec_b64 s[50:51], s[40:41]
; %bb.1216:                             ;   in Loop: Header=BB2_902 Depth=4
	v_bfe_u32 v2, v8, 21, 1
	v_add_co_u32_e64 v2, s[40:41], v8, v2
	v_add_co_u32_e64 v4, s[40:41], -1, v2
; %bb.1217:                             ;   in Loop: Header=BB2_902 Depth=4
	s_or_b64 exec, exec, s[50:51]
	v_add_u32_e32 v1, 0xffffff81, v1
	v_mov_b32_e32 v2, 0xffffff82
	v_cndmask_b32_e64 v1, v1, v2, s[28:29]
	v_lshrrev_b32_e32 v2, 23, v8
	v_add3_u32 v13, v13, v1, v2
	v_add_u32_e32 v5, 14, v13
	v_and_b32_e32 v1, 0x1fffff, v4
	v_add_u32_e32 v2, v1, v8
	v_cmp_ne_u32_e64 s[28:29], 0, v5
                                        ; implicit-def: $vgpr8_vgpr9
                                        ; implicit-def: $vgpr1
	s_and_saveexec_b64 s[40:41], s[28:29]
	s_xor_b64 s[40:41], exec, s[40:41]
; %bb.1218:                             ;   in Loop: Header=BB2_902 Depth=4
	v_cmp_lt_u64_e64 s[28:29], s[88:89], v[2:3]
	v_add_u32_e32 v1, 15, v13
	v_cndmask_b32_e64 v4, 0, 1, s[28:29]
	v_cndmask_b32_e64 v1, v5, v1, s[28:29]
	v_lshrrev_b64 v[8:9], v4, v[2:3]
; %bb.1219:                             ;   in Loop: Header=BB2_902 Depth=4
	s_andn2_saveexec_b64 s[28:29], s[40:41]
; %bb.1220:                             ;   in Loop: Header=BB2_902 Depth=4
	v_mov_b32_e32 v9, v3
	v_bfe_u32 v1, v2, 23, 1
	v_mov_b32_e32 v8, v2
; %bb.1221:                             ;   in Loop: Header=BB2_902 Depth=4
	s_or_b64 exec, exec, s[28:29]
	v_lshrrev_b64 v[4:5], 21, v[8:9]
	v_cmp_gt_i32_e64 s[28:29], 32, v1
	v_cndmask_b32_e64 v5, 0, v5, s[28:29]
	v_cndmask_b32_e64 v4, 3, v4, s[28:29]
	v_cmp_eq_u32_e64 s[28:29], 0, v1
	v_min_i32_e32 v1, 31, v1
	v_cmp_eq_u64_e64 s[40:41], 0, v[4:5]
	v_lshlrev_b32_e32 v1, 2, v1
	v_and_b32_e32 v1, 0xfc, v1
	v_and_or_b32 v1, v4, 3, v1
	s_and_b64 s[28:29], s[28:29], s[40:41]
	v_cndmask_b32_e64 v1, v1, 0, s[28:29]
	v_or_b32_e32 v52, v1, v12
.LBB2_1222:                             ;   in Loop: Header=BB2_902 Depth=4
	s_or_b64 exec, exec, s[48:49]
                                        ; implicit-def: $vgpr12
.LBB2_1223:                             ;   in Loop: Header=BB2_902 Depth=4
	s_andn2_saveexec_b64 s[28:29], s[38:39]
; %bb.1224:                             ;   in Loop: Header=BB2_902 Depth=4
	v_or_b32_e32 v52, 0x7b, v12
; %bb.1225:                             ;   in Loop: Header=BB2_902 Depth=4
	s_or_b64 exec, exec, s[28:29]
                                        ; implicit-def: $vgpr1
.LBB2_1226:                             ;   in Loop: Header=BB2_902 Depth=4
	s_andn2_saveexec_b64 s[40:41], s[42:43]
	s_cbranch_execz .LBB2_1232
; %bb.1227:                             ;   in Loop: Header=BB2_902 Depth=4
	v_cmp_ne_u64_e64 s[28:29], 0, v[2:3]
                                        ; implicit-def: $vgpr52
	s_and_saveexec_b64 s[42:43], s[28:29]
	s_xor_b64 s[28:29], exec, s[42:43]
; %bb.1228:                             ;   in Loop: Header=BB2_902 Depth=4
	v_or_b32_sdwa v52, v1, s81 dst_sel:DWORD dst_unused:UNUSED_PAD src0_sel:BYTE_3 src1_sel:DWORD
                                        ; implicit-def: $vgpr1
; %bb.1229:                             ;   in Loop: Header=BB2_902 Depth=4
	s_andn2_saveexec_b64 s[42:43], s[28:29]
; %bb.1230:                             ;   in Loop: Header=BB2_902 Depth=4
	v_cmp_lt_i32_e64 s[28:29], -1, v1
	v_cndmask_b32_e64 v52, v0, v49, s[28:29]
; %bb.1231:                             ;   in Loop: Header=BB2_902 Depth=4
	s_or_b64 exec, exec, s[42:43]
.LBB2_1232:                             ;   in Loop: Header=BB2_902 Depth=4
	s_or_b64 exec, exec, s[40:41]
	v_lshrrev_b32_e32 v2, 16, v14
	v_cmp_ne_u16_sdwa s[28:29], v2, v3 src0_sel:BYTE_0 src1_sel:DWORD
	v_mov_b32_e32 v1, 0
	s_and_saveexec_b64 s[40:41], s[28:29]
	s_cbranch_execz .LBB2_1240
; %bb.1233:                             ;   in Loop: Header=BB2_902 Depth=4
	v_cmp_ne_u16_sdwa s[28:29], v2, s82 src0_sel:BYTE_0 src1_sel:DWORD
	v_bfrev_b32_e32 v1, 1
	s_and_saveexec_b64 s[42:43], s[28:29]
	s_cbranch_execz .LBB2_1239
; %bb.1234:                             ;   in Loop: Header=BB2_902 Depth=4
	v_and_b32_e32 v1, 0x7c0000, v14
	v_bfe_u32 v4, v14, 16, 2
	v_cmp_ne_u32_e64 s[28:29], s45, v1
                                        ; implicit-def: $vgpr1
	s_and_saveexec_b64 s[38:39], s[28:29]
	s_xor_b64 s[38:39], exec, s[38:39]
	s_cbranch_execz .LBB2_1236
; %bb.1235:                             ;   in Loop: Header=BB2_902 Depth=4
	v_ffbh_u32_e32 v1, v4
	v_min_u32_e32 v8, 32, v1
	v_subrev_u32_e32 v1, 29, v8
	v_lshlrev_b64 v[1:2], v1, v[2:3]
	v_bfe_u32 v5, v14, 18, 5
	v_and_b32_e32 v1, 3, v1
	v_cmp_eq_u32_e64 s[28:29], 0, v5
	v_sub_u32_e32 v2, 30, v8
	v_cndmask_b32_e64 v1, v4, v1, s[28:29]
	v_lshlrev_b32_e32 v4, 8, v14
	v_cndmask_b32_e64 v2, v5, v2, s[28:29]
	v_and_b32_e32 v4, 0x80000000, v4
	v_lshl_add_u32 v2, v2, 23, v4
	v_lshl_or_b32 v1, v1, 21, v2
	v_add_u32_e32 v1, 0x38000000, v1
                                        ; implicit-def: $vgpr4
                                        ; implicit-def: $vgpr2
.LBB2_1236:                             ;   in Loop: Header=BB2_902 Depth=4
	s_andn2_saveexec_b64 s[38:39], s[38:39]
; %bb.1237:                             ;   in Loop: Header=BB2_902 Depth=4
	v_cmp_gt_i16_sdwa s[28:29], sext(v2), v26 src0_sel:BYTE_0 src1_sel:DWORD
	v_cndmask_b32_e64 v1, v27, v6, s[28:29]
	v_cmp_eq_u32_e64 s[28:29], 0, v4
	v_cndmask_b32_e64 v1, v7, v1, s[28:29]
; %bb.1238:                             ;   in Loop: Header=BB2_902 Depth=4
	s_or_b64 exec, exec, s[38:39]
.LBB2_1239:                             ;   in Loop: Header=BB2_902 Depth=4
	s_or_b64 exec, exec, s[42:43]
.LBB2_1240:                             ;   in Loop: Header=BB2_902 Depth=4
	s_or_b64 exec, exec, s[40:41]
	v_lshrrev_b32_e32 v2, 16, v10
	v_cmp_gt_i16_sdwa s[40:41], v2, s81 src0_sel:BYTE_0 src1_sel:DWORD
	s_mov_b64 s[28:29], 0
	s_and_saveexec_b64 s[42:43], s[40:41]
	s_xor_b64 s[40:41], exec, s[42:43]
	s_cbranch_execz .LBB2_1439
; %bb.1241:                             ;   in Loop: Header=BB2_902 Depth=4
	v_cmp_eq_u16_sdwa s[38:39], v2, s82 src0_sel:BYTE_0 src1_sel:DWORD
	s_mov_b64 s[28:29], -1
	s_and_saveexec_b64 s[42:43], s[38:39]
; %bb.1242:                             ;   in Loop: Header=BB2_902 Depth=4
	s_xor_b64 s[28:29], exec, -1
; %bb.1243:                             ;   in Loop: Header=BB2_902 Depth=4
	s_or_b64 exec, exec, s[42:43]
	s_and_b64 s[28:29], s[28:29], exec
	s_or_saveexec_b64 s[40:41], s[40:41]
	v_bfrev_b32_e32 v4, 1
	s_xor_b64 exec, exec, s[40:41]
	s_cbranch_execnz .LBB2_1440
.LBB2_1244:                             ;   in Loop: Header=BB2_902 Depth=4
	s_or_b64 exec, exec, s[40:41]
	s_and_saveexec_b64 s[38:39], s[28:29]
	s_cbranch_execz .LBB2_1246
.LBB2_1245:                             ;   in Loop: Header=BB2_902 Depth=4
	v_and_b32_e32 v8, 3, v2
	v_and_b32_e32 v4, 0x7c0000, v10
	v_cmp_eq_u32_e64 s[28:29], s45, v4
	v_ffbh_u32_e32 v4, v8
	v_min_u32_e32 v12, 32, v4
	v_subrev_u32_e32 v4, 29, v12
	v_bfe_u32 v9, v10, 18, 5
	v_lshlrev_b64 v[4:5], v4, v[2:3]
	v_cmp_eq_u32_e64 s[40:41], 0, v9
	v_sub_u32_e32 v5, 30, v12
	v_cndmask_b32_e64 v5, v9, v5, s[40:41]
	v_lshlrev_b32_e32 v9, 24, v2
	v_and_b32_e32 v4, 3, v4
	v_and_b32_e32 v9, 0x80000000, v9
	v_cndmask_b32_e64 v4, v8, v4, s[40:41]
	v_lshl_add_u32 v5, v5, 23, v9
	v_cmp_gt_i16_sdwa s[42:43], sext(v2), v26 src0_sel:BYTE_0 src1_sel:DWORD
	v_lshl_or_b32 v4, v4, 21, v5
	v_cmp_eq_u32_e64 s[40:41], 0, v8
	v_cndmask_b32_e64 v2, v27, v6, s[42:43]
	v_add_u32_e32 v4, 0x38000000, v4
	v_cndmask_b32_e64 v2, v7, v2, s[40:41]
	v_cndmask_b32_e64 v4, v4, v2, s[28:29]
.LBB2_1246:                             ;   in Loop: Header=BB2_902 Depth=4
	s_or_b64 exec, exec, s[38:39]
	v_mul_f32_e32 v1, v1, v4
	v_and_b32_e32 v4, 0x7f800000, v1
	v_mov_b32_e32 v5, v3
	v_cmp_ne_u64_e64 s[28:29], s[62:63], v[4:5]
	v_and_b32_e32 v2, 0x7fffff, v1
                                        ; implicit-def: $vgpr40
	s_and_saveexec_b64 s[40:41], s[28:29]
	s_xor_b64 s[42:43], exec, s[40:41]
	s_cbranch_execz .LBB2_1260
; %bb.1247:                             ;   in Loop: Header=BB2_902 Depth=4
	v_and_b32_e32 v4, 0x7fffffff, v1
	v_mov_b32_e32 v5, v3
	v_cmp_gt_u64_e64 s[28:29], s[78:79], v[4:5]
	v_and_b32_sdwa v12, v1, s82 dst_sel:DWORD dst_unused:UNUSED_PAD src0_sel:BYTE_3 src1_sel:DWORD
                                        ; implicit-def: $vgpr40
	s_and_saveexec_b64 s[40:41], s[28:29]
	s_xor_b64 s[38:39], exec, s[40:41]
	s_cbranch_execz .LBB2_1257
; %bb.1248:                             ;   in Loop: Header=BB2_902 Depth=4
	v_mov_b32_e32 v40, 0
	v_cmp_ne_u32_e64 s[28:29], 0, v1
	s_and_saveexec_b64 s[48:49], s[28:29]
	s_cbranch_execz .LBB2_1256
; %bb.1249:                             ;   in Loop: Header=BB2_902 Depth=4
	v_bfe_u32 v1, v1, 23, 8
	v_cmp_gt_u32_e64 s[40:41], s44, v1
	v_sub_u32_e32 v4, 0x71, v1
	v_cmp_eq_u32_e64 s[28:29], 0, v1
	v_cndmask_b32_e64 v4, 0, v4, s[40:41]
	v_mov_b32_e32 v8, 0x70
	v_cndmask_b32_e64 v13, v4, v8, s[28:29]
	v_or_b32_e32 v5, 0x800000, v2
	v_add_u32_e32 v4, 21, v13
	v_cndmask_b32_e64 v2, v5, v2, s[28:29]
	v_lshlrev_b64 v[4:5], v4, -1
	v_add_u32_e32 v8, 20, v13
	v_lshlrev_b64 v[8:9], v8, 1
	v_bfi_b32 v5, v5, 0, 0
	v_bfi_b32 v4, v4, 0, v2
	v_cmp_eq_u64_e64 s[40:41], v[4:5], v[8:9]
	v_lshrrev_b64 v[8:9], v13, v[2:3]
	v_mov_b32_e32 v4, v8
	v_mov_b32_e32 v5, v9
	s_and_saveexec_b64 s[50:51], s[40:41]
; %bb.1250:                             ;   in Loop: Header=BB2_902 Depth=4
	v_bfe_u32 v2, v8, 21, 1
	v_add_co_u32_e64 v2, s[40:41], v8, v2
	v_add_co_u32_e64 v4, s[40:41], -1, v2
; %bb.1251:                             ;   in Loop: Header=BB2_902 Depth=4
	s_or_b64 exec, exec, s[50:51]
	v_add_u32_e32 v1, 0xffffff81, v1
	v_mov_b32_e32 v2, 0xffffff82
	v_cndmask_b32_e64 v1, v1, v2, s[28:29]
	v_lshrrev_b32_e32 v2, 23, v8
	v_add3_u32 v13, v13, v1, v2
	v_add_u32_e32 v5, 14, v13
	v_and_b32_e32 v1, 0x1fffff, v4
	v_add_u32_e32 v2, v1, v8
	v_cmp_ne_u32_e64 s[28:29], 0, v5
                                        ; implicit-def: $vgpr8_vgpr9
                                        ; implicit-def: $vgpr1
	s_and_saveexec_b64 s[40:41], s[28:29]
	s_xor_b64 s[40:41], exec, s[40:41]
; %bb.1252:                             ;   in Loop: Header=BB2_902 Depth=4
	v_cmp_lt_u64_e64 s[28:29], s[88:89], v[2:3]
	v_add_u32_e32 v1, 15, v13
	v_cndmask_b32_e64 v4, 0, 1, s[28:29]
	v_cndmask_b32_e64 v1, v5, v1, s[28:29]
	v_lshrrev_b64 v[8:9], v4, v[2:3]
; %bb.1253:                             ;   in Loop: Header=BB2_902 Depth=4
	s_andn2_saveexec_b64 s[28:29], s[40:41]
; %bb.1254:                             ;   in Loop: Header=BB2_902 Depth=4
	v_mov_b32_e32 v9, v3
	v_bfe_u32 v1, v2, 23, 1
	v_mov_b32_e32 v8, v2
; %bb.1255:                             ;   in Loop: Header=BB2_902 Depth=4
	s_or_b64 exec, exec, s[28:29]
	v_lshrrev_b64 v[4:5], 21, v[8:9]
	v_cmp_gt_i32_e64 s[28:29], 32, v1
	v_cndmask_b32_e64 v5, 0, v5, s[28:29]
	v_cndmask_b32_e64 v4, 3, v4, s[28:29]
	v_cmp_eq_u32_e64 s[28:29], 0, v1
	v_min_i32_e32 v1, 31, v1
	v_cmp_eq_u64_e64 s[40:41], 0, v[4:5]
	v_lshlrev_b32_e32 v1, 2, v1
	v_and_b32_e32 v1, 0xfc, v1
	v_and_or_b32 v1, v4, 3, v1
	s_and_b64 s[28:29], s[28:29], s[40:41]
	v_cndmask_b32_e64 v1, v1, 0, s[28:29]
	v_or_b32_e32 v40, v1, v12
.LBB2_1256:                             ;   in Loop: Header=BB2_902 Depth=4
	s_or_b64 exec, exec, s[48:49]
                                        ; implicit-def: $vgpr12
.LBB2_1257:                             ;   in Loop: Header=BB2_902 Depth=4
	s_andn2_saveexec_b64 s[28:29], s[38:39]
; %bb.1258:                             ;   in Loop: Header=BB2_902 Depth=4
	v_or_b32_e32 v40, 0x7b, v12
; %bb.1259:                             ;   in Loop: Header=BB2_902 Depth=4
	s_or_b64 exec, exec, s[28:29]
                                        ; implicit-def: $vgpr1
.LBB2_1260:                             ;   in Loop: Header=BB2_902 Depth=4
	s_andn2_saveexec_b64 s[40:41], s[42:43]
	s_cbranch_execz .LBB2_1266
; %bb.1261:                             ;   in Loop: Header=BB2_902 Depth=4
	v_cmp_ne_u64_e64 s[28:29], 0, v[2:3]
                                        ; implicit-def: $vgpr40
	s_and_saveexec_b64 s[42:43], s[28:29]
	s_xor_b64 s[28:29], exec, s[42:43]
; %bb.1262:                             ;   in Loop: Header=BB2_902 Depth=4
	v_or_b32_sdwa v40, v1, s81 dst_sel:DWORD dst_unused:UNUSED_PAD src0_sel:BYTE_3 src1_sel:DWORD
                                        ; implicit-def: $vgpr1
; %bb.1263:                             ;   in Loop: Header=BB2_902 Depth=4
	s_andn2_saveexec_b64 s[42:43], s[28:29]
; %bb.1264:                             ;   in Loop: Header=BB2_902 Depth=4
	v_cmp_lt_i32_e64 s[28:29], -1, v1
	v_cndmask_b32_e64 v40, v0, v49, s[28:29]
; %bb.1265:                             ;   in Loop: Header=BB2_902 Depth=4
	s_or_b64 exec, exec, s[42:43]
.LBB2_1266:                             ;   in Loop: Header=BB2_902 Depth=4
	s_or_b64 exec, exec, s[40:41]
	v_cmp_lt_u32_e64 s[28:29], s57, v14
	v_mov_b32_e32 v1, 0
	s_and_saveexec_b64 s[40:41], s[28:29]
	s_cbranch_execz .LBB2_1274
; %bb.1267:                             ;   in Loop: Header=BB2_902 Depth=4
	v_lshrrev_b32_e32 v2, 24, v14
	v_cmp_ne_u32_e64 s[28:29], s82, v2
	v_bfrev_b32_e32 v1, 1
	s_and_saveexec_b64 s[42:43], s[28:29]
	s_cbranch_execz .LBB2_1273
; %bb.1268:                             ;   in Loop: Header=BB2_902 Depth=4
	v_and_b32_e32 v1, 0x7c000000, v14
	v_bfe_u32 v4, v14, 24, 2
	v_cmp_ne_u32_e64 s[28:29], s83, v1
                                        ; implicit-def: $vgpr1
	s_and_saveexec_b64 s[38:39], s[28:29]
	s_xor_b64 s[38:39], exec, s[38:39]
	s_cbranch_execz .LBB2_1270
; %bb.1269:                             ;   in Loop: Header=BB2_902 Depth=4
	v_ffbh_u32_e32 v1, v4
	v_min_u32_e32 v8, 32, v1
	v_subrev_u32_e32 v1, 29, v8
	v_lshlrev_b64 v[1:2], v1, v[2:3]
	v_bfe_u32 v5, v14, 26, 5
	v_sub_u32_e32 v2, 30, v8
	v_and_b32_e32 v1, 3, v1
	v_cmp_eq_u32_e64 s[28:29], 0, v5
	v_cndmask_b32_e64 v2, v5, v2, s[28:29]
	v_cndmask_b32_e64 v1, v4, v1, s[28:29]
	v_and_b32_e32 v4, 0x80000000, v14
	v_lshl_add_u32 v2, v2, 23, v4
	v_lshl_or_b32 v1, v1, 21, v2
	v_add_u32_e32 v1, 0x38000000, v1
                                        ; implicit-def: $vgpr4
.LBB2_1270:                             ;   in Loop: Header=BB2_902 Depth=4
	s_andn2_saveexec_b64 s[38:39], s[38:39]
; %bb.1271:                             ;   in Loop: Header=BB2_902 Depth=4
	v_cmp_lt_i32_e64 s[28:29], -1, v14
	v_cndmask_b32_e64 v1, v27, v6, s[28:29]
	v_cmp_eq_u32_e64 s[28:29], 0, v4
	v_cndmask_b32_e64 v1, v7, v1, s[28:29]
; %bb.1272:                             ;   in Loop: Header=BB2_902 Depth=4
	s_or_b64 exec, exec, s[38:39]
.LBB2_1273:                             ;   in Loop: Header=BB2_902 Depth=4
	s_or_b64 exec, exec, s[42:43]
.LBB2_1274:                             ;   in Loop: Header=BB2_902 Depth=4
	s_or_b64 exec, exec, s[40:41]
	v_bfe_u32 v8, v10, 24, 2
	v_and_b32_e32 v4, 0x7c000000, v10
	v_cmp_eq_u32_e64 s[28:29], s83, v4
	v_ffbh_u32_e32 v4, v8
	v_min_u32_e32 v12, 32, v4
	v_lshrrev_b32_e32 v2, 24, v10
	v_subrev_u32_e32 v4, 29, v12
	v_bfe_u32 v9, v10, 26, 5
	v_lshlrev_b64 v[4:5], v4, v[2:3]
	v_cmp_eq_u32_e64 s[40:41], 0, v9
	v_sub_u32_e32 v5, 30, v12
	v_and_b32_e32 v4, 3, v4
	v_cndmask_b32_e64 v5, v9, v5, s[40:41]
	v_and_b32_e32 v9, 0x80000000, v10
	v_cndmask_b32_e64 v4, v8, v4, s[40:41]
	v_lshl_add_u32 v5, v5, 23, v9
	v_cmp_lt_i32_e64 s[42:43], -1, v10
	v_lshl_or_b32 v4, v4, 21, v5
	v_cmp_eq_u32_e64 s[40:41], 0, v8
	v_cndmask_b32_e64 v5, v27, v6, s[42:43]
	v_add_u32_e32 v4, 0x38000000, v4
	v_cndmask_b32_e64 v5, v7, v5, s[40:41]
	v_cndmask_b32_e64 v4, v4, v5, s[28:29]
	v_cmp_ne_u32_e64 s[28:29], s82, v2
	v_cndmask_b32_e64 v2, v53, v4, s[28:29]
	v_cmp_lt_u32_e64 s[28:29], s57, v10
	v_cndmask_b32_e64 v2, 0, v2, s[28:29]
	v_mul_f32_e32 v1, v2, v1
	v_and_b32_e32 v4, 0x7f800000, v1
	v_mov_b32_e32 v5, v3
	v_cmp_ne_u64_e64 s[28:29], s[62:63], v[4:5]
	v_and_b32_e32 v2, 0x7fffff, v1
                                        ; implicit-def: $vgpr41
	s_and_saveexec_b64 s[40:41], s[28:29]
	s_xor_b64 s[42:43], exec, s[40:41]
	s_cbranch_execz .LBB2_1288
; %bb.1275:                             ;   in Loop: Header=BB2_902 Depth=4
	v_and_b32_e32 v4, 0x7fffffff, v1
	v_mov_b32_e32 v5, v3
	v_cmp_gt_u64_e64 s[28:29], s[78:79], v[4:5]
	v_and_b32_sdwa v12, v1, s82 dst_sel:DWORD dst_unused:UNUSED_PAD src0_sel:BYTE_3 src1_sel:DWORD
                                        ; implicit-def: $vgpr41
	s_and_saveexec_b64 s[40:41], s[28:29]
	s_xor_b64 s[38:39], exec, s[40:41]
	s_cbranch_execz .LBB2_1285
; %bb.1276:                             ;   in Loop: Header=BB2_902 Depth=4
	v_mov_b32_e32 v41, 0
	v_cmp_ne_u32_e64 s[28:29], 0, v1
	s_and_saveexec_b64 s[48:49], s[28:29]
	s_cbranch_execz .LBB2_1284
; %bb.1277:                             ;   in Loop: Header=BB2_902 Depth=4
	v_bfe_u32 v1, v1, 23, 8
	v_cmp_gt_u32_e64 s[40:41], s44, v1
	v_sub_u32_e32 v4, 0x71, v1
	v_cmp_eq_u32_e64 s[28:29], 0, v1
	v_cndmask_b32_e64 v4, 0, v4, s[40:41]
	v_mov_b32_e32 v8, 0x70
	v_cndmask_b32_e64 v13, v4, v8, s[28:29]
	v_or_b32_e32 v5, 0x800000, v2
	v_add_u32_e32 v4, 21, v13
	v_cndmask_b32_e64 v2, v5, v2, s[28:29]
	v_lshlrev_b64 v[4:5], v4, -1
	v_add_u32_e32 v8, 20, v13
	v_lshlrev_b64 v[8:9], v8, 1
	v_bfi_b32 v5, v5, 0, 0
	v_bfi_b32 v4, v4, 0, v2
	v_cmp_eq_u64_e64 s[40:41], v[4:5], v[8:9]
	v_lshrrev_b64 v[8:9], v13, v[2:3]
	v_mov_b32_e32 v4, v8
	v_mov_b32_e32 v5, v9
	s_and_saveexec_b64 s[50:51], s[40:41]
; %bb.1278:                             ;   in Loop: Header=BB2_902 Depth=4
	v_bfe_u32 v2, v8, 21, 1
	v_add_co_u32_e64 v2, s[40:41], v8, v2
	v_add_co_u32_e64 v4, s[40:41], -1, v2
; %bb.1279:                             ;   in Loop: Header=BB2_902 Depth=4
	s_or_b64 exec, exec, s[50:51]
	v_add_u32_e32 v1, 0xffffff81, v1
	v_mov_b32_e32 v2, 0xffffff82
	v_cndmask_b32_e64 v1, v1, v2, s[28:29]
	v_lshrrev_b32_e32 v2, 23, v8
	v_add3_u32 v13, v13, v1, v2
	v_add_u32_e32 v5, 14, v13
	v_and_b32_e32 v1, 0x1fffff, v4
	v_add_u32_e32 v2, v1, v8
	v_cmp_ne_u32_e64 s[28:29], 0, v5
                                        ; implicit-def: $vgpr8_vgpr9
                                        ; implicit-def: $vgpr1
	s_and_saveexec_b64 s[40:41], s[28:29]
	s_xor_b64 s[40:41], exec, s[40:41]
; %bb.1280:                             ;   in Loop: Header=BB2_902 Depth=4
	v_cmp_lt_u64_e64 s[28:29], s[88:89], v[2:3]
	v_add_u32_e32 v1, 15, v13
	v_cndmask_b32_e64 v4, 0, 1, s[28:29]
	v_cndmask_b32_e64 v1, v5, v1, s[28:29]
	v_lshrrev_b64 v[8:9], v4, v[2:3]
; %bb.1281:                             ;   in Loop: Header=BB2_902 Depth=4
	s_andn2_saveexec_b64 s[28:29], s[40:41]
; %bb.1282:                             ;   in Loop: Header=BB2_902 Depth=4
	v_mov_b32_e32 v9, v3
	v_bfe_u32 v1, v2, 23, 1
	v_mov_b32_e32 v8, v2
; %bb.1283:                             ;   in Loop: Header=BB2_902 Depth=4
	s_or_b64 exec, exec, s[28:29]
	v_lshrrev_b64 v[4:5], 21, v[8:9]
	v_cmp_gt_i32_e64 s[28:29], 32, v1
	v_cndmask_b32_e64 v5, 0, v5, s[28:29]
	v_cndmask_b32_e64 v4, 3, v4, s[28:29]
	v_cmp_eq_u32_e64 s[28:29], 0, v1
	v_min_i32_e32 v1, 31, v1
	v_cmp_eq_u64_e64 s[40:41], 0, v[4:5]
	v_lshlrev_b32_e32 v1, 2, v1
	v_and_b32_e32 v1, 0xfc, v1
	v_and_or_b32 v1, v4, 3, v1
	s_and_b64 s[28:29], s[28:29], s[40:41]
	v_cndmask_b32_e64 v1, v1, 0, s[28:29]
	v_or_b32_e32 v41, v1, v12
.LBB2_1284:                             ;   in Loop: Header=BB2_902 Depth=4
	s_or_b64 exec, exec, s[48:49]
                                        ; implicit-def: $vgpr12
.LBB2_1285:                             ;   in Loop: Header=BB2_902 Depth=4
	s_andn2_saveexec_b64 s[28:29], s[38:39]
; %bb.1286:                             ;   in Loop: Header=BB2_902 Depth=4
	v_or_b32_e32 v41, 0x7b, v12
; %bb.1287:                             ;   in Loop: Header=BB2_902 Depth=4
	s_or_b64 exec, exec, s[28:29]
                                        ; implicit-def: $vgpr1
.LBB2_1288:                             ;   in Loop: Header=BB2_902 Depth=4
	s_andn2_saveexec_b64 s[40:41], s[42:43]
	s_cbranch_execz .LBB2_1294
; %bb.1289:                             ;   in Loop: Header=BB2_902 Depth=4
	v_cmp_ne_u64_e64 s[28:29], 0, v[2:3]
                                        ; implicit-def: $vgpr41
	s_and_saveexec_b64 s[42:43], s[28:29]
	s_xor_b64 s[28:29], exec, s[42:43]
; %bb.1290:                             ;   in Loop: Header=BB2_902 Depth=4
	v_or_b32_sdwa v41, v1, s81 dst_sel:DWORD dst_unused:UNUSED_PAD src0_sel:BYTE_3 src1_sel:DWORD
                                        ; implicit-def: $vgpr1
; %bb.1291:                             ;   in Loop: Header=BB2_902 Depth=4
	s_andn2_saveexec_b64 s[42:43], s[28:29]
; %bb.1292:                             ;   in Loop: Header=BB2_902 Depth=4
	v_cmp_lt_i32_e64 s[28:29], -1, v1
	v_cndmask_b32_e64 v41, v0, v49, s[28:29]
; %bb.1293:                             ;   in Loop: Header=BB2_902 Depth=4
	s_or_b64 exec, exec, s[42:43]
.LBB2_1294:                             ;   in Loop: Header=BB2_902 Depth=4
	s_or_b64 exec, exec, s[40:41]
	v_mov_b32_e32 v2, v15
	v_cmp_ne_u16_sdwa s[28:29], v15, v3 src0_sel:BYTE_0 src1_sel:DWORD
	v_mov_b32_e32 v1, 0
	s_and_saveexec_b64 s[40:41], s[28:29]
	s_cbranch_execz .LBB2_1302
; %bb.1295:                             ;   in Loop: Header=BB2_902 Depth=4
	v_cmp_ne_u16_sdwa s[28:29], v15, s82 src0_sel:BYTE_0 src1_sel:DWORD
	v_bfrev_b32_e32 v1, 1
	s_and_saveexec_b64 s[42:43], s[28:29]
	s_cbranch_execz .LBB2_1301
; %bb.1296:                             ;   in Loop: Header=BB2_902 Depth=4
	v_and_b32_e32 v1, 0x7c, v15
	v_and_b32_e32 v4, 3, v15
	v_cmp_ne_u32_e64 s[28:29], s71, v1
                                        ; implicit-def: $vgpr1
	s_and_saveexec_b64 s[38:39], s[28:29]
	s_xor_b64 s[38:39], exec, s[38:39]
	s_cbranch_execz .LBB2_1298
; %bb.1297:                             ;   in Loop: Header=BB2_902 Depth=4
	v_ffbh_u32_e32 v5, v4
	v_min_u32_e32 v5, 32, v5
	v_bfe_u32 v1, v15, 2, 5
	v_subrev_u32_e32 v8, 29, v5
	v_lshlrev_b64 v[8:9], v8, v[2:3]
	v_sub_u32_e32 v5, 30, v5
	v_cmp_eq_u32_e64 s[28:29], 0, v1
	v_cndmask_b32_e64 v1, v1, v5, s[28:29]
	v_lshlrev_b32_e32 v5, 24, v15
	v_and_b32_e32 v8, 3, v8
	v_and_b32_e32 v5, 0x80000000, v5
	v_cndmask_b32_e64 v4, v4, v8, s[28:29]
	v_lshl_add_u32 v1, v1, 23, v5
	v_lshl_or_b32 v1, v4, 21, v1
	v_add_u32_e32 v1, 0x38000000, v1
                                        ; implicit-def: $vgpr4
.LBB2_1298:                             ;   in Loop: Header=BB2_902 Depth=4
	s_andn2_saveexec_b64 s[38:39], s[38:39]
; %bb.1299:                             ;   in Loop: Header=BB2_902 Depth=4
	v_cmp_gt_i16_sdwa s[28:29], sext(v15), v26 src0_sel:BYTE_0 src1_sel:DWORD
	v_cndmask_b32_e64 v1, v27, v6, s[28:29]
	v_cmp_eq_u32_e64 s[28:29], 0, v4
	v_cndmask_b32_e64 v1, v7, v1, s[28:29]
; %bb.1300:                             ;   in Loop: Header=BB2_902 Depth=4
	s_or_b64 exec, exec, s[38:39]
.LBB2_1301:                             ;   in Loop: Header=BB2_902 Depth=4
	s_or_b64 exec, exec, s[42:43]
.LBB2_1302:                             ;   in Loop: Header=BB2_902 Depth=4
	s_or_b64 exec, exec, s[40:41]
	v_cmp_gt_i16_sdwa s[40:41], v11, s81 src0_sel:BYTE_0 src1_sel:DWORD
	s_mov_b64 s[28:29], 0
	s_and_saveexec_b64 s[42:43], s[40:41]
	s_xor_b64 s[40:41], exec, s[42:43]
	s_cbranch_execz .LBB2_1306
; %bb.1303:                             ;   in Loop: Header=BB2_902 Depth=4
	v_cmp_eq_u16_sdwa s[38:39], v11, s82 src0_sel:BYTE_0 src1_sel:DWORD
	s_mov_b64 s[28:29], -1
	s_and_saveexec_b64 s[42:43], s[38:39]
; %bb.1304:                             ;   in Loop: Header=BB2_902 Depth=4
	s_xor_b64 s[28:29], exec, -1
; %bb.1305:                             ;   in Loop: Header=BB2_902 Depth=4
	s_or_b64 exec, exec, s[42:43]
	s_and_b64 s[28:29], s[28:29], exec
.LBB2_1306:                             ;   in Loop: Header=BB2_902 Depth=4
	s_or_saveexec_b64 s[40:41], s[40:41]
	v_bfrev_b32_e32 v4, 1
	s_xor_b64 exec, exec, s[40:41]
; %bb.1307:                             ;   in Loop: Header=BB2_902 Depth=4
	v_cmp_ne_u16_sdwa s[42:43], v11, v3 src0_sel:BYTE_0 src1_sel:DWORD
	s_andn2_b64 s[28:29], s[28:29], exec
	s_and_b64 s[42:43], s[42:43], exec
	v_mov_b32_e32 v4, 0
	s_or_b64 s[28:29], s[28:29], s[42:43]
; %bb.1308:                             ;   in Loop: Header=BB2_902 Depth=4
	s_or_b64 exec, exec, s[40:41]
	v_mov_b32_e32 v8, v11
	v_mov_b32_e32 v9, v3
	s_and_saveexec_b64 s[38:39], s[28:29]
	s_cbranch_execz .LBB2_1310
; %bb.1309:                             ;   in Loop: Header=BB2_902 Depth=4
	v_and_b32_e32 v12, 3, v11
	v_and_b32_e32 v4, 0x7c, v11
	v_cmp_eq_u32_e64 s[28:29], s71, v4
	v_ffbh_u32_e32 v4, v12
	v_min_u32_e32 v19, 32, v4
	v_subrev_u32_e32 v4, 29, v19
	v_bfe_u32 v13, v11, 2, 5
	v_lshlrev_b64 v[4:5], v4, v[8:9]
	v_cmp_eq_u32_e64 s[40:41], 0, v13
	v_sub_u32_e32 v5, 30, v19
	v_lshlrev_b32_e32 v9, 24, v11
	v_and_b32_e32 v4, 3, v4
	v_cndmask_b32_e64 v5, v13, v5, s[40:41]
	v_and_b32_e32 v9, 0x80000000, v9
	v_cndmask_b32_e64 v4, v12, v4, s[40:41]
	v_lshl_add_u32 v5, v5, 23, v9
	v_cmp_gt_i16_sdwa s[42:43], sext(v11), v26 src0_sel:BYTE_0 src1_sel:DWORD
	v_lshl_or_b32 v4, v4, 21, v5
	v_cmp_eq_u32_e64 s[40:41], 0, v12
	v_cndmask_b32_e64 v5, v27, v6, s[42:43]
	v_add_u32_e32 v4, 0x38000000, v4
	v_cndmask_b32_e64 v5, v7, v5, s[40:41]
	v_cndmask_b32_e64 v4, v4, v5, s[28:29]
.LBB2_1310:                             ;   in Loop: Header=BB2_902 Depth=4
	s_or_b64 exec, exec, s[38:39]
	v_mul_f32_e32 v1, v1, v4
	v_and_b32_e32 v4, 0x7f800000, v1
	v_mov_b32_e32 v5, v3
	v_cmp_ne_u64_e64 s[28:29], s[62:63], v[4:5]
	v_and_b32_e32 v12, 0x7fffff, v1
	v_mov_b32_e32 v13, v3
                                        ; implicit-def: $vgpr39
	s_and_saveexec_b64 s[40:41], s[28:29]
	s_xor_b64 s[42:43], exec, s[40:41]
	s_cbranch_execz .LBB2_1324
; %bb.1311:                             ;   in Loop: Header=BB2_902 Depth=4
	v_and_b32_e32 v4, 0x7fffffff, v1
	v_mov_b32_e32 v5, v3
	v_cmp_gt_u64_e64 s[28:29], s[78:79], v[4:5]
	v_and_b32_sdwa v9, v1, s82 dst_sel:DWORD dst_unused:UNUSED_PAD src0_sel:BYTE_3 src1_sel:DWORD
                                        ; implicit-def: $vgpr39
	s_and_saveexec_b64 s[40:41], s[28:29]
	s_xor_b64 s[38:39], exec, s[40:41]
	s_cbranch_execz .LBB2_1321
; %bb.1312:                             ;   in Loop: Header=BB2_902 Depth=4
	v_mov_b32_e32 v39, 0
	v_cmp_ne_u32_e64 s[28:29], 0, v1
	s_and_saveexec_b64 s[48:49], s[28:29]
	s_cbranch_execz .LBB2_1320
; %bb.1313:                             ;   in Loop: Header=BB2_902 Depth=4
	v_bfe_u32 v1, v1, 23, 8
	v_cmp_gt_u32_e64 s[40:41], s44, v1
	v_sub_u32_e32 v4, 0x71, v1
	v_cmp_eq_u32_e64 s[28:29], 0, v1
	v_cndmask_b32_e64 v4, 0, v4, s[40:41]
	v_mov_b32_e32 v19, 0x70
	v_cndmask_b32_e64 v39, v4, v19, s[28:29]
	v_or_b32_e32 v5, 0x800000, v12
	v_add_u32_e32 v4, 21, v39
	v_cndmask_b32_e64 v12, v5, v12, s[28:29]
	v_lshlrev_b64 v[4:5], v4, -1
	v_add_u32_e32 v19, 20, v39
	v_lshlrev_b64 v[42:43], v19, 1
	v_bfi_b32 v5, v5, 0, 0
	v_bfi_b32 v4, v4, 0, v12
	v_lshrrev_b64 v[12:13], v39, v[12:13]
	v_cmp_eq_u64_e64 s[40:41], v[4:5], v[42:43]
	v_mov_b32_e32 v4, v12
	v_mov_b32_e32 v5, v13
	s_and_saveexec_b64 s[50:51], s[40:41]
; %bb.1314:                             ;   in Loop: Header=BB2_902 Depth=4
	v_bfe_u32 v4, v12, 21, 1
	v_add_co_u32_e64 v4, s[40:41], v12, v4
	v_add_co_u32_e64 v4, s[40:41], -1, v4
; %bb.1315:                             ;   in Loop: Header=BB2_902 Depth=4
	s_or_b64 exec, exec, s[50:51]
	v_add_u32_e32 v1, 0xffffff81, v1
	v_mov_b32_e32 v5, 0xffffff82
	v_cndmask_b32_e64 v1, v1, v5, s[28:29]
	v_lshrrev_b32_e32 v5, 23, v12
	v_add3_u32 v19, v39, v1, v5
	v_add_u32_e32 v5, 14, v19
	v_and_b32_e32 v1, 0x1fffff, v4
	v_add_u32_e32 v12, v1, v12
	v_mov_b32_e32 v13, v3
	v_cmp_ne_u32_e64 s[28:29], 0, v5
                                        ; implicit-def: $vgpr1
	s_and_saveexec_b64 s[40:41], s[28:29]
	s_xor_b64 s[40:41], exec, s[40:41]
; %bb.1316:                             ;   in Loop: Header=BB2_902 Depth=4
	v_cmp_lt_u64_e64 s[28:29], s[88:89], v[12:13]
	v_add_u32_e32 v1, 15, v19
	v_cndmask_b32_e64 v4, 0, 1, s[28:29]
	v_cndmask_b32_e64 v1, v5, v1, s[28:29]
	v_lshrrev_b64 v[12:13], v4, v[12:13]
; %bb.1317:                             ;   in Loop: Header=BB2_902 Depth=4
	s_andn2_saveexec_b64 s[28:29], s[40:41]
; %bb.1318:                             ;   in Loop: Header=BB2_902 Depth=4
	v_bfe_u32 v1, v12, 23, 1
; %bb.1319:                             ;   in Loop: Header=BB2_902 Depth=4
	s_or_b64 exec, exec, s[28:29]
	v_lshrrev_b64 v[4:5], 21, v[12:13]
	v_cmp_gt_i32_e64 s[28:29], 32, v1
	v_cndmask_b32_e64 v5, 0, v5, s[28:29]
	v_cndmask_b32_e64 v4, 3, v4, s[28:29]
	v_cmp_eq_u32_e64 s[28:29], 0, v1
	v_min_i32_e32 v1, 31, v1
	v_cmp_eq_u64_e64 s[40:41], 0, v[4:5]
	v_lshlrev_b32_e32 v1, 2, v1
	v_and_b32_e32 v1, 0xfc, v1
	v_and_or_b32 v1, v4, 3, v1
	s_and_b64 s[28:29], s[28:29], s[40:41]
	v_cndmask_b32_e64 v1, v1, 0, s[28:29]
	v_or_b32_e32 v39, v1, v9
.LBB2_1320:                             ;   in Loop: Header=BB2_902 Depth=4
	s_or_b64 exec, exec, s[48:49]
                                        ; implicit-def: $vgpr9
.LBB2_1321:                             ;   in Loop: Header=BB2_902 Depth=4
	s_andn2_saveexec_b64 s[28:29], s[38:39]
; %bb.1322:                             ;   in Loop: Header=BB2_902 Depth=4
	v_or_b32_e32 v39, 0x7b, v9
; %bb.1323:                             ;   in Loop: Header=BB2_902 Depth=4
	s_or_b64 exec, exec, s[28:29]
                                        ; implicit-def: $vgpr1
                                        ; implicit-def: $vgpr12_vgpr13
.LBB2_1324:                             ;   in Loop: Header=BB2_902 Depth=4
	s_andn2_saveexec_b64 s[40:41], s[42:43]
	s_cbranch_execz .LBB2_1330
; %bb.1325:                             ;   in Loop: Header=BB2_902 Depth=4
	v_cmp_ne_u64_e64 s[28:29], 0, v[12:13]
                                        ; implicit-def: $vgpr39
	s_and_saveexec_b64 s[42:43], s[28:29]
	s_xor_b64 s[28:29], exec, s[42:43]
; %bb.1326:                             ;   in Loop: Header=BB2_902 Depth=4
	v_or_b32_sdwa v39, v1, s81 dst_sel:DWORD dst_unused:UNUSED_PAD src0_sel:BYTE_3 src1_sel:DWORD
                                        ; implicit-def: $vgpr1
; %bb.1327:                             ;   in Loop: Header=BB2_902 Depth=4
	s_andn2_saveexec_b64 s[42:43], s[28:29]
; %bb.1328:                             ;   in Loop: Header=BB2_902 Depth=4
	v_cmp_lt_i32_e64 s[28:29], -1, v1
	v_cndmask_b32_e64 v39, v0, v49, s[28:29]
; %bb.1329:                             ;   in Loop: Header=BB2_902 Depth=4
	s_or_b64 exec, exec, s[42:43]
.LBB2_1330:                             ;   in Loop: Header=BB2_902 Depth=4
	s_or_b64 exec, exec, s[40:41]
	v_lshrrev_b16_e32 v12, 8, v2
	v_cmp_ne_u16_e64 s[28:29], 0, v12
	v_mov_b32_e32 v1, 0
	s_and_saveexec_b64 s[40:41], s[28:29]
	s_cbranch_execz .LBB2_1338
; %bb.1331:                             ;   in Loop: Header=BB2_902 Depth=4
	v_cmp_ne_u16_e64 s[28:29], s82, v12
	v_bfrev_b32_e32 v1, 1
	s_and_saveexec_b64 s[42:43], s[28:29]
	s_cbranch_execz .LBB2_1337
; %bb.1332:                             ;   in Loop: Header=BB2_902 Depth=4
	v_and_b32_e32 v1, 0x7c, v12
	v_and_b32_e32 v4, 3, v12
	v_cmp_ne_u32_e64 s[28:29], s71, v1
                                        ; implicit-def: $vgpr1
	s_and_saveexec_b64 s[38:39], s[28:29]
	s_xor_b64 s[38:39], exec, s[38:39]
	s_cbranch_execz .LBB2_1334
; %bb.1333:                             ;   in Loop: Header=BB2_902 Depth=4
	v_ffbh_u32_e32 v5, v4
	v_min_u32_e32 v5, 32, v5
	v_mov_b32_e32 v13, v3
	v_subrev_u32_e32 v9, 29, v5
	v_bfe_u32 v1, v12, 2, 5
	v_lshlrev_b64 v[12:13], v9, v[12:13]
	v_sub_u32_e32 v5, 30, v5
	v_cmp_eq_u32_e64 s[28:29], 0, v1
	v_lshlrev_b32_e32 v2, 16, v2
	v_and_b32_e32 v9, 3, v12
	v_cndmask_b32_e64 v1, v1, v5, s[28:29]
	v_and_b32_e32 v2, 0x80000000, v2
	v_cndmask_b32_e64 v4, v4, v9, s[28:29]
	v_lshl_add_u32 v1, v1, 23, v2
	v_lshl_or_b32 v1, v4, 21, v1
	v_add_u32_e32 v1, 0x38000000, v1
                                        ; implicit-def: $vgpr4
.LBB2_1334:                             ;   in Loop: Header=BB2_902 Depth=4
	s_andn2_saveexec_b64 s[38:39], s[38:39]
; %bb.1335:                             ;   in Loop: Header=BB2_902 Depth=4
	v_cmp_lt_i16_e64 s[28:29], -1, v2
	v_cndmask_b32_e64 v1, v27, v6, s[28:29]
	v_cmp_eq_u32_e64 s[28:29], 0, v4
	v_cndmask_b32_e64 v1, v7, v1, s[28:29]
; %bb.1336:                             ;   in Loop: Header=BB2_902 Depth=4
	s_or_b64 exec, exec, s[38:39]
.LBB2_1337:                             ;   in Loop: Header=BB2_902 Depth=4
	s_or_b64 exec, exec, s[42:43]
.LBB2_1338:                             ;   in Loop: Header=BB2_902 Depth=4
	s_or_b64 exec, exec, s[40:41]
	v_lshrrev_b16_e32 v2, 8, v8
	v_cmp_lt_i16_e64 s[28:29], s81, v2
	s_mov_b64 s[40:41], 0
	s_and_saveexec_b64 s[42:43], s[28:29]
	s_xor_b64 s[42:43], exec, s[42:43]
	s_cbranch_execz .LBB2_1441
; %bb.1339:                             ;   in Loop: Header=BB2_902 Depth=4
	v_cmp_eq_u16_e64 s[28:29], s82, v2
	s_mov_b64 s[40:41], -1
	s_and_saveexec_b64 s[38:39], s[28:29]
; %bb.1340:                             ;   in Loop: Header=BB2_902 Depth=4
	s_xor_b64 s[40:41], exec, -1
; %bb.1341:                             ;   in Loop: Header=BB2_902 Depth=4
	s_or_b64 exec, exec, s[38:39]
	s_and_b64 s[40:41], s[40:41], exec
	s_or_saveexec_b64 s[42:43], s[42:43]
	v_bfrev_b32_e32 v4, 1
	s_xor_b64 exec, exec, s[42:43]
	s_cbranch_execnz .LBB2_1442
.LBB2_1342:                             ;   in Loop: Header=BB2_902 Depth=4
	s_or_b64 exec, exec, s[42:43]
	s_and_saveexec_b64 s[38:39], s[40:41]
	s_cbranch_execz .LBB2_1344
.LBB2_1343:                             ;   in Loop: Header=BB2_902 Depth=4
	v_and_b32_e32 v9, 3, v2
	v_and_b32_e32 v4, 0x7c, v2
	v_cmp_eq_u32_e64 s[28:29], s71, v4
	v_ffbh_u32_e32 v4, v9
	v_min_u32_e32 v13, 32, v4
	v_subrev_u32_e32 v4, 29, v13
	v_bfe_u32 v12, v2, 2, 5
	v_lshlrev_b64 v[4:5], v4, v[2:3]
	v_cmp_eq_u32_e64 s[40:41], 0, v12
	v_sub_u32_e32 v5, 30, v13
	v_lshlrev_b32_e32 v2, 24, v2
	v_and_b32_e32 v4, 3, v4
	v_cndmask_b32_e64 v5, v12, v5, s[40:41]
	v_and_b32_e32 v2, 0x80000000, v2
	v_cndmask_b32_e64 v4, v9, v4, s[40:41]
	v_lshl_add_u32 v2, v5, 23, v2
	v_cmp_lt_i16_e64 s[42:43], -1, v8
	v_lshl_or_b32 v2, v4, 21, v2
	v_cmp_eq_u32_e64 s[40:41], 0, v9
	v_cndmask_b32_e64 v4, v27, v6, s[42:43]
	v_add_u32_e32 v2, 0x38000000, v2
	v_cndmask_b32_e64 v4, v7, v4, s[40:41]
	v_cndmask_b32_e64 v4, v2, v4, s[28:29]
.LBB2_1344:                             ;   in Loop: Header=BB2_902 Depth=4
	s_or_b64 exec, exec, s[38:39]
	v_mul_f32_e32 v1, v1, v4
	v_and_b32_e32 v4, 0x7f800000, v1
	v_mov_b32_e32 v5, v3
	v_cmp_ne_u64_e64 s[28:29], s[62:63], v[4:5]
	v_and_b32_e32 v2, 0x7fffff, v1
                                        ; implicit-def: $vgpr12
	s_and_saveexec_b64 s[40:41], s[28:29]
	s_xor_b64 s[42:43], exec, s[40:41]
	s_cbranch_execz .LBB2_1358
; %bb.1345:                             ;   in Loop: Header=BB2_902 Depth=4
	v_and_b32_e32 v4, 0x7fffffff, v1
	v_mov_b32_e32 v5, v3
	v_cmp_gt_u64_e64 s[28:29], s[78:79], v[4:5]
	v_and_b32_sdwa v13, v1, s82 dst_sel:DWORD dst_unused:UNUSED_PAD src0_sel:BYTE_3 src1_sel:DWORD
                                        ; implicit-def: $vgpr12
	s_and_saveexec_b64 s[40:41], s[28:29]
	s_xor_b64 s[38:39], exec, s[40:41]
	s_cbranch_execz .LBB2_1355
; %bb.1346:                             ;   in Loop: Header=BB2_902 Depth=4
	v_mov_b32_e32 v12, 0
	v_cmp_ne_u32_e64 s[28:29], 0, v1
	s_and_saveexec_b64 s[48:49], s[28:29]
	s_cbranch_execz .LBB2_1354
; %bb.1347:                             ;   in Loop: Header=BB2_902 Depth=4
	v_bfe_u32 v1, v1, 23, 8
	v_cmp_gt_u32_e64 s[40:41], s44, v1
	v_sub_u32_e32 v4, 0x71, v1
	v_cmp_eq_u32_e64 s[28:29], 0, v1
	v_cndmask_b32_e64 v4, 0, v4, s[40:41]
	v_mov_b32_e32 v8, 0x70
	v_cndmask_b32_e64 v12, v4, v8, s[28:29]
	v_or_b32_e32 v5, 0x800000, v2
	v_add_u32_e32 v4, 21, v12
	v_cndmask_b32_e64 v2, v5, v2, s[28:29]
	v_lshlrev_b64 v[4:5], v4, -1
	v_add_u32_e32 v8, 20, v12
	v_lshlrev_b64 v[8:9], v8, 1
	v_bfi_b32 v5, v5, 0, 0
	v_bfi_b32 v4, v4, 0, v2
	v_cmp_eq_u64_e64 s[40:41], v[4:5], v[8:9]
	v_lshrrev_b64 v[8:9], v12, v[2:3]
	v_mov_b32_e32 v4, v8
	v_mov_b32_e32 v5, v9
	s_and_saveexec_b64 s[50:51], s[40:41]
; %bb.1348:                             ;   in Loop: Header=BB2_902 Depth=4
	v_bfe_u32 v2, v8, 21, 1
	v_add_co_u32_e64 v2, s[40:41], v8, v2
	v_add_co_u32_e64 v4, s[40:41], -1, v2
; %bb.1349:                             ;   in Loop: Header=BB2_902 Depth=4
	s_or_b64 exec, exec, s[50:51]
	v_add_u32_e32 v1, 0xffffff81, v1
	v_mov_b32_e32 v2, 0xffffff82
	v_cndmask_b32_e64 v1, v1, v2, s[28:29]
	v_lshrrev_b32_e32 v2, 23, v8
	v_add3_u32 v12, v12, v1, v2
	v_add_u32_e32 v5, 14, v12
	v_and_b32_e32 v1, 0x1fffff, v4
	v_add_u32_e32 v2, v1, v8
	v_cmp_ne_u32_e64 s[28:29], 0, v5
                                        ; implicit-def: $vgpr8_vgpr9
                                        ; implicit-def: $vgpr1
	s_and_saveexec_b64 s[40:41], s[28:29]
	s_xor_b64 s[40:41], exec, s[40:41]
; %bb.1350:                             ;   in Loop: Header=BB2_902 Depth=4
	v_cmp_lt_u64_e64 s[28:29], s[88:89], v[2:3]
	v_add_u32_e32 v1, 15, v12
	v_cndmask_b32_e64 v4, 0, 1, s[28:29]
	v_cndmask_b32_e64 v1, v5, v1, s[28:29]
	v_lshrrev_b64 v[8:9], v4, v[2:3]
; %bb.1351:                             ;   in Loop: Header=BB2_902 Depth=4
	s_andn2_saveexec_b64 s[28:29], s[40:41]
; %bb.1352:                             ;   in Loop: Header=BB2_902 Depth=4
	v_mov_b32_e32 v9, v3
	v_bfe_u32 v1, v2, 23, 1
	v_mov_b32_e32 v8, v2
; %bb.1353:                             ;   in Loop: Header=BB2_902 Depth=4
	s_or_b64 exec, exec, s[28:29]
	v_lshrrev_b64 v[4:5], 21, v[8:9]
	v_cmp_gt_i32_e64 s[28:29], 32, v1
	v_cndmask_b32_e64 v5, 0, v5, s[28:29]
	v_cndmask_b32_e64 v4, 3, v4, s[28:29]
	v_cmp_eq_u32_e64 s[28:29], 0, v1
	v_min_i32_e32 v1, 31, v1
	v_cmp_eq_u64_e64 s[40:41], 0, v[4:5]
	v_lshlrev_b32_e32 v1, 2, v1
	v_and_b32_e32 v1, 0xfc, v1
	v_and_or_b32 v1, v4, 3, v1
	s_and_b64 s[28:29], s[28:29], s[40:41]
	v_cndmask_b32_e64 v1, v1, 0, s[28:29]
	v_or_b32_e32 v12, v1, v13
.LBB2_1354:                             ;   in Loop: Header=BB2_902 Depth=4
	s_or_b64 exec, exec, s[48:49]
                                        ; implicit-def: $vgpr13
.LBB2_1355:                             ;   in Loop: Header=BB2_902 Depth=4
	s_andn2_saveexec_b64 s[28:29], s[38:39]
; %bb.1356:                             ;   in Loop: Header=BB2_902 Depth=4
	v_or_b32_e32 v12, 0x7b, v13
; %bb.1357:                             ;   in Loop: Header=BB2_902 Depth=4
	s_or_b64 exec, exec, s[28:29]
                                        ; implicit-def: $vgpr1
.LBB2_1358:                             ;   in Loop: Header=BB2_902 Depth=4
	s_andn2_saveexec_b64 s[40:41], s[42:43]
	s_cbranch_execz .LBB2_1364
; %bb.1359:                             ;   in Loop: Header=BB2_902 Depth=4
	v_cmp_ne_u64_e64 s[28:29], 0, v[2:3]
                                        ; implicit-def: $vgpr12
	s_and_saveexec_b64 s[42:43], s[28:29]
	s_xor_b64 s[28:29], exec, s[42:43]
; %bb.1360:                             ;   in Loop: Header=BB2_902 Depth=4
	v_or_b32_sdwa v12, v1, s81 dst_sel:DWORD dst_unused:UNUSED_PAD src0_sel:BYTE_3 src1_sel:DWORD
                                        ; implicit-def: $vgpr1
; %bb.1361:                             ;   in Loop: Header=BB2_902 Depth=4
	s_andn2_saveexec_b64 s[42:43], s[28:29]
; %bb.1362:                             ;   in Loop: Header=BB2_902 Depth=4
	v_cmp_lt_i32_e64 s[28:29], -1, v1
	v_cndmask_b32_e64 v12, v0, v49, s[28:29]
; %bb.1363:                             ;   in Loop: Header=BB2_902 Depth=4
	s_or_b64 exec, exec, s[42:43]
.LBB2_1364:                             ;   in Loop: Header=BB2_902 Depth=4
	s_or_b64 exec, exec, s[40:41]
	v_lshrrev_b32_e32 v2, 16, v15
	v_cmp_ne_u16_sdwa s[28:29], v2, v3 src0_sel:BYTE_0 src1_sel:DWORD
	v_mov_b32_e32 v1, 0
	s_and_saveexec_b64 s[40:41], s[28:29]
	s_cbranch_execz .LBB2_1372
; %bb.1365:                             ;   in Loop: Header=BB2_902 Depth=4
	v_cmp_ne_u16_sdwa s[28:29], v2, s82 src0_sel:BYTE_0 src1_sel:DWORD
	v_bfrev_b32_e32 v1, 1
	s_and_saveexec_b64 s[42:43], s[28:29]
	s_cbranch_execz .LBB2_1371
; %bb.1366:                             ;   in Loop: Header=BB2_902 Depth=4
	v_and_b32_e32 v1, 0x7c0000, v15
	v_bfe_u32 v4, v15, 16, 2
	v_cmp_ne_u32_e64 s[28:29], s45, v1
                                        ; implicit-def: $vgpr1
	s_and_saveexec_b64 s[38:39], s[28:29]
	s_xor_b64 s[38:39], exec, s[38:39]
	s_cbranch_execz .LBB2_1368
; %bb.1367:                             ;   in Loop: Header=BB2_902 Depth=4
	v_ffbh_u32_e32 v1, v4
	v_min_u32_e32 v8, 32, v1
	v_subrev_u32_e32 v1, 29, v8
	v_lshlrev_b64 v[1:2], v1, v[2:3]
	v_bfe_u32 v5, v15, 18, 5
	v_and_b32_e32 v1, 3, v1
	v_cmp_eq_u32_e64 s[28:29], 0, v5
	v_sub_u32_e32 v2, 30, v8
	v_cndmask_b32_e64 v1, v4, v1, s[28:29]
	v_lshlrev_b32_e32 v4, 8, v15
	v_cndmask_b32_e64 v2, v5, v2, s[28:29]
	v_and_b32_e32 v4, 0x80000000, v4
	v_lshl_add_u32 v2, v2, 23, v4
	v_lshl_or_b32 v1, v1, 21, v2
	v_add_u32_e32 v1, 0x38000000, v1
                                        ; implicit-def: $vgpr4
                                        ; implicit-def: $vgpr2
.LBB2_1368:                             ;   in Loop: Header=BB2_902 Depth=4
	s_andn2_saveexec_b64 s[38:39], s[38:39]
; %bb.1369:                             ;   in Loop: Header=BB2_902 Depth=4
	v_cmp_gt_i16_sdwa s[28:29], sext(v2), v26 src0_sel:BYTE_0 src1_sel:DWORD
	v_cndmask_b32_e64 v1, v27, v6, s[28:29]
	v_cmp_eq_u32_e64 s[28:29], 0, v4
	v_cndmask_b32_e64 v1, v7, v1, s[28:29]
; %bb.1370:                             ;   in Loop: Header=BB2_902 Depth=4
	s_or_b64 exec, exec, s[38:39]
.LBB2_1371:                             ;   in Loop: Header=BB2_902 Depth=4
	s_or_b64 exec, exec, s[42:43]
.LBB2_1372:                             ;   in Loop: Header=BB2_902 Depth=4
	s_or_b64 exec, exec, s[40:41]
	v_lshrrev_b32_e32 v2, 16, v11
	v_cmp_gt_i16_sdwa s[40:41], v2, s81 src0_sel:BYTE_0 src1_sel:DWORD
	s_mov_b64 s[28:29], 0
	s_and_saveexec_b64 s[42:43], s[40:41]
	s_xor_b64 s[40:41], exec, s[42:43]
	s_cbranch_execz .LBB2_1443
; %bb.1373:                             ;   in Loop: Header=BB2_902 Depth=4
	v_cmp_eq_u16_sdwa s[38:39], v2, s82 src0_sel:BYTE_0 src1_sel:DWORD
	s_mov_b64 s[28:29], -1
	s_and_saveexec_b64 s[42:43], s[38:39]
; %bb.1374:                             ;   in Loop: Header=BB2_902 Depth=4
	s_xor_b64 s[28:29], exec, -1
; %bb.1375:                             ;   in Loop: Header=BB2_902 Depth=4
	s_or_b64 exec, exec, s[42:43]
	s_and_b64 s[28:29], s[28:29], exec
	s_or_saveexec_b64 s[40:41], s[40:41]
	v_bfrev_b32_e32 v4, 1
	s_xor_b64 exec, exec, s[40:41]
	s_cbranch_execnz .LBB2_1444
.LBB2_1376:                             ;   in Loop: Header=BB2_902 Depth=4
	s_or_b64 exec, exec, s[40:41]
	s_and_saveexec_b64 s[38:39], s[28:29]
	s_cbranch_execz .LBB2_1378
.LBB2_1377:                             ;   in Loop: Header=BB2_902 Depth=4
	v_and_b32_e32 v8, 3, v2
	v_and_b32_e32 v4, 0x7c0000, v11
	v_cmp_eq_u32_e64 s[28:29], s45, v4
	v_ffbh_u32_e32 v4, v8
	v_min_u32_e32 v13, 32, v4
	v_subrev_u32_e32 v4, 29, v13
	v_bfe_u32 v9, v11, 18, 5
	v_lshlrev_b64 v[4:5], v4, v[2:3]
	v_cmp_eq_u32_e64 s[40:41], 0, v9
	v_sub_u32_e32 v5, 30, v13
	v_cndmask_b32_e64 v5, v9, v5, s[40:41]
	v_lshlrev_b32_e32 v9, 24, v2
	v_and_b32_e32 v4, 3, v4
	v_and_b32_e32 v9, 0x80000000, v9
	v_cndmask_b32_e64 v4, v8, v4, s[40:41]
	v_lshl_add_u32 v5, v5, 23, v9
	v_cmp_gt_i16_sdwa s[42:43], sext(v2), v26 src0_sel:BYTE_0 src1_sel:DWORD
	v_lshl_or_b32 v4, v4, 21, v5
	v_cmp_eq_u32_e64 s[40:41], 0, v8
	v_cndmask_b32_e64 v2, v27, v6, s[42:43]
	v_add_u32_e32 v4, 0x38000000, v4
	v_cndmask_b32_e64 v2, v7, v2, s[40:41]
	v_cndmask_b32_e64 v4, v4, v2, s[28:29]
.LBB2_1378:                             ;   in Loop: Header=BB2_902 Depth=4
	s_or_b64 exec, exec, s[38:39]
	v_mul_f32_e32 v4, v1, v4
	v_and_b32_e32 v1, 0x7f800000, v4
	v_mov_b32_e32 v2, v3
	v_cmp_ne_u64_e64 s[28:29], s[62:63], v[1:2]
	v_and_b32_e32 v2, 0x7fffff, v4
                                        ; implicit-def: $vgpr13
	s_and_saveexec_b64 s[40:41], s[28:29]
	s_xor_b64 s[42:43], exec, s[40:41]
	s_cbranch_execz .LBB2_1392
; %bb.1379:                             ;   in Loop: Header=BB2_902 Depth=4
	v_and_b32_e32 v8, 0x7fffffff, v4
	v_mov_b32_e32 v9, v3
	v_cmp_gt_u64_e64 s[28:29], s[78:79], v[8:9]
	v_and_b32_sdwa v1, v4, s82 dst_sel:DWORD dst_unused:UNUSED_PAD src0_sel:BYTE_3 src1_sel:DWORD
                                        ; implicit-def: $vgpr13
	s_and_saveexec_b64 s[40:41], s[28:29]
	s_xor_b64 s[38:39], exec, s[40:41]
	s_cbranch_execz .LBB2_1389
; %bb.1380:                             ;   in Loop: Header=BB2_902 Depth=4
	v_mov_b32_e32 v13, 0
	v_cmp_ne_u32_e64 s[28:29], 0, v4
	s_and_saveexec_b64 s[48:49], s[28:29]
	s_cbranch_execz .LBB2_1388
; %bb.1381:                             ;   in Loop: Header=BB2_902 Depth=4
	v_bfe_u32 v13, v4, 23, 8
	v_cmp_gt_u32_e64 s[40:41], s44, v13
	v_sub_u32_e32 v4, 0x71, v13
	v_cmp_eq_u32_e64 s[28:29], 0, v13
	v_cndmask_b32_e64 v4, 0, v4, s[40:41]
	v_mov_b32_e32 v8, 0x70
	v_cndmask_b32_e64 v19, v4, v8, s[28:29]
	v_or_b32_e32 v5, 0x800000, v2
	v_add_u32_e32 v4, 21, v19
	v_cndmask_b32_e64 v2, v5, v2, s[28:29]
	v_lshlrev_b64 v[4:5], v4, -1
	v_add_u32_e32 v8, 20, v19
	v_lshlrev_b64 v[8:9], v8, 1
	v_bfi_b32 v5, v5, 0, 0
	v_bfi_b32 v4, v4, 0, v2
	v_cmp_eq_u64_e64 s[40:41], v[4:5], v[8:9]
	v_lshrrev_b64 v[8:9], v19, v[2:3]
	v_mov_b32_e32 v4, v8
	v_mov_b32_e32 v5, v9
	s_and_saveexec_b64 s[50:51], s[40:41]
; %bb.1382:                             ;   in Loop: Header=BB2_902 Depth=4
	v_bfe_u32 v2, v8, 21, 1
	v_add_co_u32_e64 v2, s[40:41], v8, v2
	v_add_co_u32_e64 v4, s[40:41], -1, v2
; %bb.1383:                             ;   in Loop: Header=BB2_902 Depth=4
	s_or_b64 exec, exec, s[50:51]
	v_add_u32_e32 v2, 0xffffff81, v13
	v_mov_b32_e32 v5, 0xffffff82
	v_cndmask_b32_e64 v2, v2, v5, s[28:29]
	v_lshrrev_b32_e32 v5, 23, v8
	v_add3_u32 v13, v19, v2, v5
	v_add_u32_e32 v5, 14, v13
	v_and_b32_e32 v2, 0x1fffff, v4
	v_add_u32_e32 v2, v2, v8
	v_cmp_ne_u32_e64 s[28:29], 0, v5
                                        ; implicit-def: $vgpr8_vgpr9
                                        ; implicit-def: $vgpr4
	s_and_saveexec_b64 s[40:41], s[28:29]
	s_xor_b64 s[40:41], exec, s[40:41]
; %bb.1384:                             ;   in Loop: Header=BB2_902 Depth=4
	v_cmp_lt_u64_e64 s[28:29], s[88:89], v[2:3]
	v_add_u32_e32 v4, 15, v13
	v_cndmask_b32_e64 v4, v5, v4, s[28:29]
	v_cndmask_b32_e64 v5, 0, 1, s[28:29]
	v_lshrrev_b64 v[8:9], v5, v[2:3]
; %bb.1385:                             ;   in Loop: Header=BB2_902 Depth=4
	s_andn2_saveexec_b64 s[28:29], s[40:41]
; %bb.1386:                             ;   in Loop: Header=BB2_902 Depth=4
	v_mov_b32_e32 v9, v3
	v_bfe_u32 v4, v2, 23, 1
	v_mov_b32_e32 v8, v2
; %bb.1387:                             ;   in Loop: Header=BB2_902 Depth=4
	s_or_b64 exec, exec, s[28:29]
	v_lshrrev_b64 v[8:9], 21, v[8:9]
	v_cmp_gt_i32_e64 s[28:29], 32, v4
	v_cndmask_b32_e64 v9, 0, v9, s[28:29]
	v_cndmask_b32_e64 v8, 3, v8, s[28:29]
	v_min_i32_e32 v2, 31, v4
	v_cmp_eq_u64_e64 s[40:41], 0, v[8:9]
	v_lshlrev_b32_e32 v2, 2, v2
	v_cmp_eq_u32_e64 s[28:29], 0, v4
	v_and_b32_e32 v2, 0xfc, v2
	v_and_or_b32 v2, v8, 3, v2
	s_and_b64 s[28:29], s[28:29], s[40:41]
	v_cndmask_b32_e64 v2, v2, 0, s[28:29]
	v_or_b32_e32 v13, v2, v1
.LBB2_1388:                             ;   in Loop: Header=BB2_902 Depth=4
	s_or_b64 exec, exec, s[48:49]
                                        ; implicit-def: $vgpr1
.LBB2_1389:                             ;   in Loop: Header=BB2_902 Depth=4
	s_andn2_saveexec_b64 s[28:29], s[38:39]
; %bb.1390:                             ;   in Loop: Header=BB2_902 Depth=4
	v_or_b32_e32 v13, 0x7b, v1
; %bb.1391:                             ;   in Loop: Header=BB2_902 Depth=4
	s_or_b64 exec, exec, s[28:29]
                                        ; implicit-def: $vgpr4
.LBB2_1392:                             ;   in Loop: Header=BB2_902 Depth=4
	s_andn2_saveexec_b64 s[40:41], s[42:43]
	s_cbranch_execz .LBB2_1398
; %bb.1393:                             ;   in Loop: Header=BB2_902 Depth=4
	v_cmp_ne_u64_e64 s[28:29], 0, v[2:3]
                                        ; implicit-def: $vgpr13
	s_and_saveexec_b64 s[42:43], s[28:29]
	s_xor_b64 s[28:29], exec, s[42:43]
; %bb.1394:                             ;   in Loop: Header=BB2_902 Depth=4
	v_or_b32_sdwa v13, v4, s81 dst_sel:DWORD dst_unused:UNUSED_PAD src0_sel:BYTE_3 src1_sel:DWORD
                                        ; implicit-def: $vgpr4
; %bb.1395:                             ;   in Loop: Header=BB2_902 Depth=4
	s_andn2_saveexec_b64 s[42:43], s[28:29]
; %bb.1396:                             ;   in Loop: Header=BB2_902 Depth=4
	v_cmp_lt_i32_e64 s[28:29], -1, v4
	v_cndmask_b32_e64 v13, v0, v49, s[28:29]
; %bb.1397:                             ;   in Loop: Header=BB2_902 Depth=4
	s_or_b64 exec, exec, s[42:43]
.LBB2_1398:                             ;   in Loop: Header=BB2_902 Depth=4
	s_or_b64 exec, exec, s[40:41]
	v_cmp_lt_u64_e64 s[28:29], s[56:57], v[14:15]
	v_mov_b32_e32 v1, 0
	s_and_saveexec_b64 s[40:41], s[28:29]
	s_cbranch_execz .LBB2_1406
; %bb.1399:                             ;   in Loop: Header=BB2_902 Depth=4
	v_lshrrev_b32_e32 v2, 24, v15
	v_cmp_ne_u32_e64 s[28:29], s82, v2
	v_bfrev_b32_e32 v1, 1
	s_and_saveexec_b64 s[42:43], s[28:29]
	s_cbranch_execz .LBB2_1405
; %bb.1400:                             ;   in Loop: Header=BB2_902 Depth=4
	v_and_b32_e32 v1, 0x7c000000, v15
	v_bfe_u32 v4, v15, 24, 2
	v_cmp_ne_u32_e64 s[28:29], s83, v1
                                        ; implicit-def: $vgpr1
	s_and_saveexec_b64 s[38:39], s[28:29]
	s_xor_b64 s[38:39], exec, s[38:39]
	s_cbranch_execz .LBB2_1402
; %bb.1401:                             ;   in Loop: Header=BB2_902 Depth=4
	v_ffbh_u32_e32 v1, v4
	v_min_u32_e32 v8, 32, v1
	v_subrev_u32_e32 v1, 29, v8
	v_lshlrev_b64 v[1:2], v1, v[2:3]
	v_bfe_u32 v5, v15, 26, 5
	v_sub_u32_e32 v2, 30, v8
	v_and_b32_e32 v1, 3, v1
	v_cmp_eq_u32_e64 s[28:29], 0, v5
	v_cndmask_b32_e64 v2, v5, v2, s[28:29]
	v_cndmask_b32_e64 v1, v4, v1, s[28:29]
	v_and_b32_e32 v4, 0x80000000, v15
	v_lshl_add_u32 v2, v2, 23, v4
	v_lshl_or_b32 v1, v1, 21, v2
	v_add_u32_e32 v1, 0x38000000, v1
                                        ; implicit-def: $vgpr4
                                        ; implicit-def: $vgpr14_vgpr15
.LBB2_1402:                             ;   in Loop: Header=BB2_902 Depth=4
	s_andn2_saveexec_b64 s[38:39], s[38:39]
; %bb.1403:                             ;   in Loop: Header=BB2_902 Depth=4
	v_cmp_lt_i64_e64 s[28:29], -1, v[14:15]
	v_cndmask_b32_e64 v1, v27, v6, s[28:29]
	v_cmp_eq_u32_e64 s[28:29], 0, v4
	v_cndmask_b32_e64 v1, v7, v1, s[28:29]
; %bb.1404:                             ;   in Loop: Header=BB2_902 Depth=4
	s_or_b64 exec, exec, s[38:39]
.LBB2_1405:                             ;   in Loop: Header=BB2_902 Depth=4
	s_or_b64 exec, exec, s[42:43]
.LBB2_1406:                             ;   in Loop: Header=BB2_902 Depth=4
	s_or_b64 exec, exec, s[40:41]
	v_bfe_u32 v8, v11, 24, 2
	v_and_b32_e32 v4, 0x7c000000, v11
	v_cmp_eq_u32_e64 s[28:29], s83, v4
	v_ffbh_u32_e32 v4, v8
	v_min_u32_e32 v14, 32, v4
	v_lshrrev_b32_e32 v2, 24, v11
	v_subrev_u32_e32 v4, 29, v14
	v_bfe_u32 v9, v11, 26, 5
	v_lshlrev_b64 v[4:5], v4, v[2:3]
	v_cmp_eq_u32_e64 s[40:41], 0, v9
	v_sub_u32_e32 v5, 30, v14
	v_and_b32_e32 v4, 3, v4
	v_cndmask_b32_e64 v5, v9, v5, s[40:41]
	v_and_b32_e32 v9, 0x80000000, v11
	v_cmp_lt_i64_e64 s[42:43], -1, v[10:11]
	v_cndmask_b32_e64 v4, v8, v4, s[40:41]
	v_lshl_add_u32 v5, v5, 23, v9
	v_lshl_or_b32 v4, v4, 21, v5
	v_cmp_eq_u32_e64 s[40:41], 0, v8
	v_cndmask_b32_e64 v5, v27, v6, s[42:43]
	v_add_u32_e32 v4, 0x38000000, v4
	v_cndmask_b32_e64 v5, v7, v5, s[40:41]
	v_cndmask_b32_e64 v4, v4, v5, s[28:29]
	v_cmp_ne_u32_e64 s[28:29], s82, v2
	v_cndmask_b32_e64 v2, v53, v4, s[28:29]
	v_cmp_lt_u64_e64 s[28:29], s[56:57], v[10:11]
	v_mov_b32_e32 v9, v3
	v_cndmask_b32_e64 v2, 0, v2, s[28:29]
	v_mul_f32_e32 v5, v2, v1
	v_and_b32_e32 v8, 0x7f800000, v5
	v_cmp_ne_u64_e64 s[28:29], s[62:63], v[8:9]
	v_and_b32_e32 v2, 0x7fffff, v5
                                        ; implicit-def: $vgpr4
	s_and_saveexec_b64 s[40:41], s[28:29]
	s_xor_b64 s[42:43], exec, s[40:41]
	s_cbranch_execz .LBB2_1420
; %bb.1407:                             ;   in Loop: Header=BB2_902 Depth=4
	v_and_b32_e32 v8, 0x7fffffff, v5
	v_mov_b32_e32 v9, v3
	v_cmp_gt_u64_e64 s[28:29], s[78:79], v[8:9]
	v_and_b32_sdwa v1, v5, s82 dst_sel:DWORD dst_unused:UNUSED_PAD src0_sel:BYTE_3 src1_sel:DWORD
                                        ; implicit-def: $vgpr4
	s_and_saveexec_b64 s[40:41], s[28:29]
	s_xor_b64 s[38:39], exec, s[40:41]
	s_cbranch_execz .LBB2_1417
; %bb.1408:                             ;   in Loop: Header=BB2_902 Depth=4
	v_mov_b32_e32 v4, 0
	v_cmp_ne_u32_e64 s[28:29], 0, v5
	s_and_saveexec_b64 s[48:49], s[28:29]
	s_cbranch_execz .LBB2_1416
; %bb.1409:                             ;   in Loop: Header=BB2_902 Depth=4
	v_bfe_u32 v10, v5, 23, 8
	v_cmp_gt_u32_e64 s[40:41], s44, v10
	v_sub_u32_e32 v4, 0x71, v10
	v_cmp_eq_u32_e64 s[28:29], 0, v10
	v_cndmask_b32_e64 v4, 0, v4, s[40:41]
	v_mov_b32_e32 v8, 0x70
	v_cndmask_b32_e64 v11, v4, v8, s[28:29]
	v_or_b32_e32 v5, 0x800000, v2
	v_add_u32_e32 v4, 21, v11
	v_cndmask_b32_e64 v2, v5, v2, s[28:29]
	v_lshlrev_b64 v[4:5], v4, -1
	v_add_u32_e32 v8, 20, v11
	v_lshlrev_b64 v[8:9], v8, 1
	v_bfi_b32 v5, v5, 0, 0
	v_bfi_b32 v4, v4, 0, v2
	v_cmp_eq_u64_e64 s[40:41], v[4:5], v[8:9]
	v_lshrrev_b64 v[8:9], v11, v[2:3]
	v_mov_b32_e32 v4, v8
	v_mov_b32_e32 v5, v9
	s_and_saveexec_b64 s[50:51], s[40:41]
; %bb.1410:                             ;   in Loop: Header=BB2_902 Depth=4
	v_bfe_u32 v2, v8, 21, 1
	v_add_co_u32_e64 v2, s[40:41], v8, v2
	v_add_co_u32_e64 v4, s[40:41], -1, v2
; %bb.1411:                             ;   in Loop: Header=BB2_902 Depth=4
	s_or_b64 exec, exec, s[50:51]
	v_add_u32_e32 v2, 0xffffff81, v10
	v_mov_b32_e32 v5, 0xffffff82
	v_cndmask_b32_e64 v2, v2, v5, s[28:29]
	v_lshrrev_b32_e32 v5, 23, v8
	v_add3_u32 v10, v11, v2, v5
	v_add_u32_e32 v5, 14, v10
	v_and_b32_e32 v2, 0x1fffff, v4
	v_add_u32_e32 v2, v2, v8
	v_cmp_ne_u32_e64 s[28:29], 0, v5
                                        ; implicit-def: $vgpr8_vgpr9
                                        ; implicit-def: $vgpr4
	s_and_saveexec_b64 s[40:41], s[28:29]
	s_xor_b64 s[40:41], exec, s[40:41]
; %bb.1412:                             ;   in Loop: Header=BB2_902 Depth=4
	v_cmp_lt_u64_e64 s[28:29], s[88:89], v[2:3]
	v_add_u32_e32 v4, 15, v10
	v_cndmask_b32_e64 v4, v5, v4, s[28:29]
	v_cndmask_b32_e64 v5, 0, 1, s[28:29]
	v_lshrrev_b64 v[8:9], v5, v[2:3]
; %bb.1413:                             ;   in Loop: Header=BB2_902 Depth=4
	s_andn2_saveexec_b64 s[28:29], s[40:41]
; %bb.1414:                             ;   in Loop: Header=BB2_902 Depth=4
	v_mov_b32_e32 v9, v3
	v_bfe_u32 v4, v2, 23, 1
	v_mov_b32_e32 v8, v2
; %bb.1415:                             ;   in Loop: Header=BB2_902 Depth=4
	s_or_b64 exec, exec, s[28:29]
	v_lshrrev_b64 v[8:9], 21, v[8:9]
	v_cmp_gt_i32_e64 s[28:29], 32, v4
	v_cndmask_b32_e64 v9, 0, v9, s[28:29]
	v_cndmask_b32_e64 v8, 3, v8, s[28:29]
	v_min_i32_e32 v2, 31, v4
	v_cmp_eq_u64_e64 s[40:41], 0, v[8:9]
	v_lshlrev_b32_e32 v2, 2, v2
	v_cmp_eq_u32_e64 s[28:29], 0, v4
	v_and_b32_e32 v2, 0xfc, v2
	v_and_or_b32 v2, v8, 3, v2
	s_and_b64 s[28:29], s[28:29], s[40:41]
	v_cndmask_b32_e64 v2, v2, 0, s[28:29]
	v_or_b32_e32 v4, v2, v1
.LBB2_1416:                             ;   in Loop: Header=BB2_902 Depth=4
	s_or_b64 exec, exec, s[48:49]
                                        ; implicit-def: $vgpr1
.LBB2_1417:                             ;   in Loop: Header=BB2_902 Depth=4
	s_andn2_saveexec_b64 s[28:29], s[38:39]
; %bb.1418:                             ;   in Loop: Header=BB2_902 Depth=4
	v_or_b32_e32 v4, 0x7b, v1
; %bb.1419:                             ;   in Loop: Header=BB2_902 Depth=4
	s_or_b64 exec, exec, s[28:29]
                                        ; implicit-def: $vgpr5
.LBB2_1420:                             ;   in Loop: Header=BB2_902 Depth=4
	s_andn2_saveexec_b64 s[40:41], s[42:43]
	s_cbranch_execz .LBB2_901
; %bb.1421:                             ;   in Loop: Header=BB2_902 Depth=4
	v_cmp_ne_u64_e64 s[28:29], 0, v[2:3]
                                        ; implicit-def: $vgpr4
	s_and_saveexec_b64 s[42:43], s[28:29]
	s_xor_b64 s[28:29], exec, s[42:43]
; %bb.1422:                             ;   in Loop: Header=BB2_902 Depth=4
	v_or_b32_sdwa v4, v5, s81 dst_sel:DWORD dst_unused:UNUSED_PAD src0_sel:BYTE_3 src1_sel:DWORD
                                        ; implicit-def: $vgpr5
; %bb.1423:                             ;   in Loop: Header=BB2_902 Depth=4
	s_andn2_saveexec_b64 s[42:43], s[28:29]
	s_cbranch_execz .LBB2_900
; %bb.1424:                             ;   in Loop: Header=BB2_902 Depth=4
	v_cmp_lt_i32_e64 s[28:29], -1, v5
	v_cndmask_b32_e64 v4, v0, v49, s[28:29]
	s_branch .LBB2_900
.LBB2_1425:                             ;   in Loop: Header=BB2_902 Depth=4
	s_or_saveexec_b64 s[40:41], s[40:41]
	v_bfrev_b32_e32 v2, 1
	s_xor_b64 exec, exec, s[40:41]
	s_cbranch_execz .LBB2_914
.LBB2_1426:                             ;   in Loop: Header=BB2_902 Depth=4
	v_cmp_ne_u16_sdwa s[42:43], v8, v3 src0_sel:BYTE_0 src1_sel:DWORD
	s_andn2_b64 s[28:29], s[28:29], exec
	s_and_b64 s[42:43], s[42:43], exec
	v_mov_b32_e32 v2, 0
	s_or_b64 s[28:29], s[28:29], s[42:43]
	s_or_b64 exec, exec, s[40:41]
	s_and_saveexec_b64 s[38:39], s[28:29]
	s_cbranch_execnz .LBB2_915
	s_branch .LBB2_916
.LBB2_1427:                             ;   in Loop: Header=BB2_902 Depth=4
	s_or_saveexec_b64 s[42:43], s[42:43]
	v_bfrev_b32_e32 v4, 1
	s_xor_b64 exec, exec, s[42:43]
	s_cbranch_execz .LBB2_948
.LBB2_1428:                             ;   in Loop: Header=BB2_902 Depth=4
	v_cmp_ne_u16_e64 s[28:29], 0, v2
	s_andn2_b64 s[40:41], s[40:41], exec
	s_and_b64 s[28:29], s[28:29], exec
	v_mov_b32_e32 v4, 0
	s_or_b64 s[40:41], s[40:41], s[28:29]
	s_or_b64 exec, exec, s[42:43]
	s_and_saveexec_b64 s[38:39], s[40:41]
	s_cbranch_execnz .LBB2_949
	s_branch .LBB2_950
.LBB2_1429:                             ;   in Loop: Header=BB2_902 Depth=4
	s_or_saveexec_b64 s[40:41], s[40:41]
	v_bfrev_b32_e32 v4, 1
	s_xor_b64 exec, exec, s[40:41]
	s_cbranch_execz .LBB2_982
.LBB2_1430:                             ;   in Loop: Header=BB2_902 Depth=4
	v_cmp_ne_u16_sdwa s[42:43], v2, v3 src0_sel:BYTE_0 src1_sel:DWORD
	s_andn2_b64 s[28:29], s[28:29], exec
	s_and_b64 s[42:43], s[42:43], exec
	v_mov_b32_e32 v4, 0
	s_or_b64 s[28:29], s[28:29], s[42:43]
	s_or_b64 exec, exec, s[40:41]
	s_and_saveexec_b64 s[38:39], s[28:29]
	s_cbranch_execnz .LBB2_983
	s_branch .LBB2_984
.LBB2_1431:                             ;   in Loop: Header=BB2_902 Depth=4
	s_or_saveexec_b64 s[42:43], s[42:43]
	v_bfrev_b32_e32 v4, 1
	s_xor_b64 exec, exec, s[42:43]
	s_cbranch_execz .LBB2_1080
.LBB2_1432:                             ;   in Loop: Header=BB2_902 Depth=4
	v_cmp_ne_u16_e64 s[28:29], 0, v2
	s_andn2_b64 s[40:41], s[40:41], exec
	s_and_b64 s[28:29], s[28:29], exec
	v_mov_b32_e32 v4, 0
	s_or_b64 s[40:41], s[40:41], s[28:29]
	s_or_b64 exec, exec, s[42:43]
	s_and_saveexec_b64 s[38:39], s[40:41]
	s_cbranch_execnz .LBB2_1081
	s_branch .LBB2_1082
.LBB2_1433:                             ;   in Loop: Header=BB2_902 Depth=4
	s_or_saveexec_b64 s[40:41], s[40:41]
	v_bfrev_b32_e32 v4, 1
	s_xor_b64 exec, exec, s[40:41]
	s_cbranch_execz .LBB2_1114
.LBB2_1434:                             ;   in Loop: Header=BB2_902 Depth=4
	v_cmp_ne_u16_sdwa s[42:43], v2, v3 src0_sel:BYTE_0 src1_sel:DWORD
	s_andn2_b64 s[28:29], s[28:29], exec
	s_and_b64 s[42:43], s[42:43], exec
	v_mov_b32_e32 v4, 0
	s_or_b64 s[28:29], s[28:29], s[42:43]
	s_or_b64 exec, exec, s[40:41]
	s_and_saveexec_b64 s[38:39], s[28:29]
	s_cbranch_execnz .LBB2_1115
	s_branch .LBB2_1116
.LBB2_1435:                             ;   in Loop: Header=BB2_902 Depth=4
	s_or_saveexec_b64 s[40:41], s[40:41]
	v_bfrev_b32_e32 v2, 1
	s_xor_b64 exec, exec, s[40:41]
	s_cbranch_execz .LBB2_1176
.LBB2_1436:                             ;   in Loop: Header=BB2_902 Depth=4
	v_cmp_ne_u16_sdwa s[42:43], v10, v3 src0_sel:BYTE_0 src1_sel:DWORD
	s_andn2_b64 s[28:29], s[28:29], exec
	s_and_b64 s[42:43], s[42:43], exec
	v_mov_b32_e32 v2, 0
	s_or_b64 s[28:29], s[28:29], s[42:43]
	s_or_b64 exec, exec, s[40:41]
	s_and_saveexec_b64 s[38:39], s[28:29]
	s_cbranch_execnz .LBB2_1177
	s_branch .LBB2_1178
.LBB2_1437:                             ;   in Loop: Header=BB2_902 Depth=4
	s_or_saveexec_b64 s[42:43], s[42:43]
	v_bfrev_b32_e32 v4, 1
	s_xor_b64 exec, exec, s[42:43]
	s_cbranch_execz .LBB2_1210
.LBB2_1438:                             ;   in Loop: Header=BB2_902 Depth=4
	v_cmp_ne_u16_e64 s[28:29], 0, v2
	s_andn2_b64 s[40:41], s[40:41], exec
	s_and_b64 s[28:29], s[28:29], exec
	v_mov_b32_e32 v4, 0
	s_or_b64 s[40:41], s[40:41], s[28:29]
	s_or_b64 exec, exec, s[42:43]
	s_and_saveexec_b64 s[38:39], s[40:41]
	s_cbranch_execnz .LBB2_1211
	s_branch .LBB2_1212
.LBB2_1439:                             ;   in Loop: Header=BB2_902 Depth=4
	s_or_saveexec_b64 s[40:41], s[40:41]
	v_bfrev_b32_e32 v4, 1
	s_xor_b64 exec, exec, s[40:41]
	s_cbranch_execz .LBB2_1244
.LBB2_1440:                             ;   in Loop: Header=BB2_902 Depth=4
	v_cmp_ne_u16_sdwa s[42:43], v2, v3 src0_sel:BYTE_0 src1_sel:DWORD
	s_andn2_b64 s[28:29], s[28:29], exec
	s_and_b64 s[42:43], s[42:43], exec
	v_mov_b32_e32 v4, 0
	s_or_b64 s[28:29], s[28:29], s[42:43]
	s_or_b64 exec, exec, s[40:41]
	s_and_saveexec_b64 s[38:39], s[28:29]
	s_cbranch_execnz .LBB2_1245
	s_branch .LBB2_1246
.LBB2_1441:                             ;   in Loop: Header=BB2_902 Depth=4
	s_or_saveexec_b64 s[42:43], s[42:43]
	v_bfrev_b32_e32 v4, 1
	s_xor_b64 exec, exec, s[42:43]
	s_cbranch_execz .LBB2_1342
.LBB2_1442:                             ;   in Loop: Header=BB2_902 Depth=4
	v_cmp_ne_u16_e64 s[28:29], 0, v2
	s_andn2_b64 s[40:41], s[40:41], exec
	s_and_b64 s[28:29], s[28:29], exec
	v_mov_b32_e32 v4, 0
	s_or_b64 s[40:41], s[40:41], s[28:29]
	s_or_b64 exec, exec, s[42:43]
	s_and_saveexec_b64 s[38:39], s[40:41]
	s_cbranch_execnz .LBB2_1343
	s_branch .LBB2_1344
.LBB2_1443:                             ;   in Loop: Header=BB2_902 Depth=4
	s_or_saveexec_b64 s[40:41], s[40:41]
	v_bfrev_b32_e32 v4, 1
	s_xor_b64 exec, exec, s[40:41]
	s_cbranch_execz .LBB2_1376
.LBB2_1444:                             ;   in Loop: Header=BB2_902 Depth=4
	v_cmp_ne_u16_sdwa s[42:43], v2, v3 src0_sel:BYTE_0 src1_sel:DWORD
	s_andn2_b64 s[28:29], s[28:29], exec
	s_and_b64 s[42:43], s[42:43], exec
	v_mov_b32_e32 v4, 0
	s_or_b64 s[28:29], s[28:29], s[42:43]
	s_or_b64 exec, exec, s[40:41]
	s_and_saveexec_b64 s[38:39], s[28:29]
	s_cbranch_execnz .LBB2_1377
	s_branch .LBB2_1378
.LBB2_1445:                             ;   in Loop: Header=BB2_274 Depth=3
	s_or_b64 exec, exec, s[36:37]
	buffer_load_dword v47, off, s[0:3], s33 offset:168 ; 4-byte Folded Reload
	buffer_load_dword v56, off, s[0:3], s33 offset:172 ; 4-byte Folded Reload
	;; [unrolled: 1-line block ×13, first 2 shown]
.LBB2_1446:                             ;   in Loop: Header=BB2_274 Depth=3
	s_or_b64 exec, exec, s[34:35]
	s_waitcnt vmcnt(4)
	v_and_b32_e32 v2, 15, v8
	s_waitcnt vmcnt(0)
	v_cndmask_b32_e32 v24, v14, v2, vcc
	v_mov_b32_e32 v17, 0
	v_cmp_ne_u32_e64 s[28:29], 0, v24
	s_mov_b64 s[42:43], 0
                                        ; implicit-def: $vgpr25
                                        ; implicit-def: $vgpr1
	s_and_saveexec_b64 s[40:41], s[28:29]
	s_cbranch_execz .LBB2_1448
; %bb.1447:                             ;   in Loop: Header=BB2_274 Depth=3
	v_sub_u32_e32 v1, v14, v2
	v_cndmask_b32_e32 v1, 0, v1, vcc
	v_cmp_lt_i32_e32 vcc, 0, v31
	v_add3_u32 v17, v11, v9, v1
	v_cndmask_b32_e32 v1, 0, v35, vcc
	v_sub_u32_e32 v1, v1, v31
	v_lshl_add_u32 v25, v1, 6, v10
	v_ashrrev_i32_e32 v1, 31, v25
	v_lshrrev_b32_e32 v1, 26, v1
	v_add_u32_e32 v1, v25, v1
	v_ashrrev_i32_e32 v1, 6, v1
	s_mov_b64 s[42:43], exec
.LBB2_1448:                             ;   in Loop: Header=BB2_274 Depth=3
	s_or_b64 exec, exec, s[40:41]
	s_and_b64 s[42:43], s[42:43], exec
.LBB2_1449:                             ;   in Loop: Header=BB2_274 Depth=3
	s_or_b64 exec, exec, s[30:31]
	s_and_saveexec_b64 s[40:41], s[42:43]
	s_cbranch_execz .LBB2_1818
.LBB2_1450:                             ;   in Loop: Header=BB2_274 Depth=3
	v_ashrrev_i32_e32 v2, 31, v24
	v_lshrrev_b32_e32 v2, 23, v2
	v_add_u32_e32 v2, v24, v2
	v_ashrrev_i32_e32 v41, 9, v2
	s_waitcnt vmcnt(0)
	v_sub_u32_e32 v61, v41, v1
	v_ashrrev_i32_e32 v2, 31, v25
	v_cmp_lt_i32_e32 vcc, 0, v61
	v_lshrrev_b32_e32 v2, 26, v2
	s_and_saveexec_b64 s[42:43], vcc
	s_cbranch_execz .LBB2_1774
; %bb.1451:                             ;   in Loop: Header=BB2_274 Depth=3
	buffer_store_dword v2, off, s[0:3], s33 offset:176 ; 4-byte Folded Spill
	v_add_u32_e32 v2, v25, v2
	v_and_b32_e32 v2, 0xffffffc0, v2
	v_sub_u32_e32 v2, v25, v2
	v_lshlrev_b32_e32 v1, 9, v1
	v_add3_u32 v4, v17, v2, v1
	s_trap 2
	ds_read_b64 v[1:2], v0
	v_ashrrev_i32_e32 v5, 31, v4
	v_add_co_u32_e32 v8, vcc, v4, v44
	v_addc_co_u32_e32 v9, vcc, v5, v45, vcc
	s_waitcnt lgkmcnt(0)
	v_add_co_u32_e32 v10, vcc, v1, v4
	v_addc_co_u32_e32 v11, vcc, v2, v5, vcc
	v_add_co_u32_e32 v1, vcc, 0x1c0, v12
	v_addc_co_u32_e32 v2, vcc, 0, v13, vcc
	;; [unrolled: 2-line block ×3, first 2 shown]
	s_mov_b64 s[30:31], 0
	s_branch .LBB2_1454
.LBB2_1452:                             ;   in Loop: Header=BB2_1454 Depth=4
	s_or_b64 exec, exec, s[34:35]
.LBB2_1453:                             ;   in Loop: Header=BB2_1454 Depth=4
	s_or_b64 exec, exec, s[28:29]
	v_add_co_u32_e32 v1, vcc, 0xfffffe40, v12
	v_addc_co_u32_e32 v2, vcc, -1, v13, vcc
	flat_store_byte v[1:2], v52 glc slc
	v_add_co_u32_e32 v1, vcc, 0xfffffe80, v12
	v_addc_co_u32_e32 v2, vcc, -1, v13, vcc
	flat_store_byte v[1:2], v21 glc slc
	;; [unrolled: 3-line block ×6, first 2 shown]
	v_add_co_u32_e32 v1, vcc, s68, v12
	v_addc_co_u32_e32 v2, vcc, -1, v13, vcc
	v_add_co_u32_e32 v8, vcc, v8, v48
	v_addc_co_u32_e32 v9, vcc, 0, v9, vcc
	v_add_co_u32_e32 v10, vcc, v10, v48
	v_addc_co_u32_e32 v11, vcc, 0, v11, vcc
	v_sub_u32_e32 v61, v61, v35
	v_cmp_gt_i32_e32 vcc, 1, v61
	flat_store_byte v[1:2], v16 glc slc
	flat_store_byte v[12:13], v4 glc slc
	s_or_b64 s[30:31], vcc, s[30:31]
	v_add_co_u32_e32 v12, vcc, v12, v48
	v_addc_co_u32_e32 v13, vcc, 0, v13, vcc
	s_andn2_b64 exec, exec, s[30:31]
	s_cbranch_execz .LBB2_1773
.LBB2_1454:                             ;   Parent Loop BB2_47 Depth=1
                                        ;     Parent Loop BB2_271 Depth=2
                                        ;       Parent Loop BB2_274 Depth=3
                                        ; =>      This Inner Loop Header: Depth=4
	flat_load_sbyte v2, v[8:9] glc slc
	flat_load_sbyte v30, v[8:9] offset:64 glc slc
	flat_load_sbyte v19, v[8:9] offset:128 glc slc
	;; [unrolled: 1-line block ×7, first 2 shown]
	flat_load_sbyte v15, v[10:11] glc slc
	flat_load_sbyte v20, v[10:11] offset:64 glc slc
	flat_load_sbyte v18, v[10:11] offset:128 glc slc
	;; [unrolled: 1-line block ×7, first 2 shown]
	v_mov_b32_e32 v1, 0
	v_mov_b32_e32 v4, 0
	s_waitcnt vmcnt(0) lgkmcnt(0)
	v_cmp_ne_u16_e32 vcc, 0, v2
	s_and_saveexec_b64 s[28:29], vcc
	s_cbranch_execz .LBB2_1462
; %bb.1455:                             ;   in Loop: Header=BB2_1454 Depth=4
	v_cmp_ne_u16_e32 vcc, s70, v2
	v_bfrev_b32_e32 v4, 1
	s_and_saveexec_b64 s[34:35], vcc
	s_cbranch_execz .LBB2_1461
; %bb.1456:                             ;   in Loop: Header=BB2_1454 Depth=4
	v_and_b32_e32 v4, 0x7c, v2
	v_and_b32_e32 v5, 3, v2
	v_cmp_ne_u32_e32 vcc, s71, v4
                                        ; implicit-def: $vgpr4
	s_and_saveexec_b64 s[36:37], vcc
	s_xor_b64 s[36:37], exec, s[36:37]
	s_cbranch_execz .LBB2_1458
; %bb.1457:                             ;   in Loop: Header=BB2_1454 Depth=4
	v_ffbh_u32_e32 v16, v5
	v_min_u32_e32 v16, 32, v16
	v_and_b32_e32 v4, 0xff, v2
	v_subrev_u32_e32 v21, 29, v16
	v_bfe_u32 v4, v4, 2, 5
	v_lshlrev_b64 v[39:40], v21, v[2:3]
	v_sub_u32_e32 v16, 30, v16
	v_cmp_eq_u32_e32 vcc, 0, v4
	v_and_b32_e32 v21, 3, v39
	v_cndmask_b32_e32 v4, v4, v16, vcc
	v_and_b32_sdwa v2, sext(v2), s80 dst_sel:DWORD dst_unused:UNUSED_PAD src0_sel:WORD_0 src1_sel:DWORD
	v_cndmask_b32_e32 v5, v5, v21, vcc
	v_lshl_add_u32 v2, v4, 23, v2
	v_lshl_or_b32 v2, v5, 21, v2
	v_add_u32_e32 v4, 0x38000000, v2
                                        ; implicit-def: $vgpr5
.LBB2_1458:                             ;   in Loop: Header=BB2_1454 Depth=4
	s_andn2_saveexec_b64 s[36:37], s[36:37]
; %bb.1459:                             ;   in Loop: Header=BB2_1454 Depth=4
	v_cmp_lt_i16_e32 vcc, -1, v2
	v_cndmask_b32_e32 v2, v27, v6, vcc
	v_cmp_eq_u32_e32 vcc, 0, v5
	v_cndmask_b32_e32 v4, v7, v2, vcc
; %bb.1460:                             ;   in Loop: Header=BB2_1454 Depth=4
	s_or_b64 exec, exec, s[36:37]
.LBB2_1461:                             ;   in Loop: Header=BB2_1454 Depth=4
	s_or_b64 exec, exec, s[34:35]
.LBB2_1462:                             ;   in Loop: Header=BB2_1454 Depth=4
	s_or_b64 exec, exec, s[28:29]
	v_cmp_ne_u16_e32 vcc, 0, v15
	s_and_saveexec_b64 s[28:29], vcc
	s_cbranch_execz .LBB2_1470
; %bb.1463:                             ;   in Loop: Header=BB2_1454 Depth=4
	v_cmp_ne_u16_e32 vcc, s70, v15
	v_bfrev_b32_e32 v1, 1
	s_and_saveexec_b64 s[34:35], vcc
	s_cbranch_execz .LBB2_1469
; %bb.1464:                             ;   in Loop: Header=BB2_1454 Depth=4
	v_and_b32_e32 v1, 0x7c, v15
	v_and_b32_e32 v2, 3, v15
	v_cmp_ne_u32_e32 vcc, s71, v1
                                        ; implicit-def: $vgpr1
	s_and_saveexec_b64 s[36:37], vcc
	s_xor_b64 s[36:37], exec, s[36:37]
	s_cbranch_execz .LBB2_1466
; %bb.1465:                             ;   in Loop: Header=BB2_1454 Depth=4
	v_ffbh_u32_e32 v5, v2
	v_min_u32_e32 v5, 32, v5
	v_and_b32_e32 v1, 0xff, v15
	v_mov_b32_e32 v16, v3
	v_subrev_u32_e32 v21, 29, v5
	v_bfe_u32 v1, v1, 2, 5
	v_lshlrev_b64 v[39:40], v21, v[15:16]
	v_sub_u32_e32 v5, 30, v5
	v_cmp_eq_u32_e32 vcc, 0, v1
	v_and_b32_e32 v16, 3, v39
	v_cndmask_b32_e32 v1, v1, v5, vcc
	v_and_b32_sdwa v5, sext(v15), s80 dst_sel:DWORD dst_unused:UNUSED_PAD src0_sel:WORD_0 src1_sel:DWORD
	v_cndmask_b32_e32 v2, v2, v16, vcc
	v_lshl_add_u32 v1, v1, 23, v5
	v_lshl_or_b32 v1, v2, 21, v1
	v_add_u32_e32 v1, 0x38000000, v1
                                        ; implicit-def: $vgpr2
                                        ; implicit-def: $vgpr15
.LBB2_1466:                             ;   in Loop: Header=BB2_1454 Depth=4
	s_andn2_saveexec_b64 s[36:37], s[36:37]
; %bb.1467:                             ;   in Loop: Header=BB2_1454 Depth=4
	v_cmp_lt_i16_e32 vcc, -1, v15
	v_cndmask_b32_e32 v1, v27, v6, vcc
	v_cmp_eq_u32_e32 vcc, 0, v2
	v_cndmask_b32_e32 v1, v7, v1, vcc
; %bb.1468:                             ;   in Loop: Header=BB2_1454 Depth=4
	s_or_b64 exec, exec, s[36:37]
.LBB2_1469:                             ;   in Loop: Header=BB2_1454 Depth=4
	s_or_b64 exec, exec, s[34:35]
.LBB2_1470:                             ;   in Loop: Header=BB2_1454 Depth=4
	s_or_b64 exec, exec, s[28:29]
	v_mul_f32_e32 v1, v4, v1
	v_and_b32_e32 v4, 0x7f800000, v1
	v_mov_b32_e32 v5, v3
	v_cmp_ne_u64_e32 vcc, s[62:63], v[4:5]
	v_and_b32_e32 v2, 0x7fffff, v1
                                        ; implicit-def: $vgpr52
	s_and_saveexec_b64 s[28:29], vcc
	s_xor_b64 s[34:35], exec, s[28:29]
	s_cbranch_execz .LBB2_1488
; %bb.1471:                             ;   in Loop: Header=BB2_1454 Depth=4
	v_and_b32_e32 v4, 0x7fffffff, v1
	v_mov_b32_e32 v5, v3
	v_cmp_gt_u64_e32 vcc, s[78:79], v[4:5]
	v_and_b32_sdwa v21, v1, s82 dst_sel:DWORD dst_unused:UNUSED_PAD src0_sel:BYTE_3 src1_sel:DWORD
                                        ; implicit-def: $vgpr52
	s_and_saveexec_b64 s[28:29], vcc
	s_xor_b64 s[36:37], exec, s[28:29]
	s_cbranch_execz .LBB2_1485
; %bb.1472:                             ;   in Loop: Header=BB2_1454 Depth=4
	v_cmp_ne_u32_e32 vcc, 0, v1
	v_mov_b32_e32 v52, 0
	s_and_saveexec_b64 s[38:39], vcc
	s_cbranch_execz .LBB2_1484
; %bb.1473:                             ;   in Loop: Header=BB2_1454 Depth=4
	v_bfe_u32 v1, v1, 23, 8
	v_cmp_gt_u32_e64 s[28:29], s44, v1
	v_sub_u32_e32 v4, 0x71, v1
	v_cmp_eq_u32_e32 vcc, 0, v1
	v_cndmask_b32_e64 v4, 0, v4, s[28:29]
	v_mov_b32_e32 v15, 0x70
	v_cndmask_b32_e32 v31, v4, v15, vcc
	v_or_b32_e32 v5, 0x800000, v2
	v_add_u32_e32 v4, 21, v31
	v_cndmask_b32_e32 v2, v5, v2, vcc
	v_lshlrev_b64 v[4:5], v4, -1
	v_add_u32_e32 v15, 20, v31
	v_lshlrev_b64 v[15:16], v15, 1
	v_bfi_b32 v5, v5, 0, 0
	v_bfi_b32 v4, v4, 0, v2
	v_cmp_eq_u64_e64 s[28:29], v[4:5], v[15:16]
	v_lshrrev_b64 v[15:16], v31, v[2:3]
	v_mov_b32_e32 v4, v15
	v_mov_b32_e32 v5, v16
	s_and_saveexec_b64 s[48:49], s[28:29]
; %bb.1474:                             ;   in Loop: Header=BB2_1454 Depth=4
	v_bfe_u32 v2, v15, 21, 1
	v_add_co_u32_e64 v2, s[28:29], v15, v2
	v_add_co_u32_e64 v4, s[28:29], -1, v2
; %bb.1475:                             ;   in Loop: Header=BB2_1454 Depth=4
	s_or_b64 exec, exec, s[48:49]
	v_add_u32_e32 v1, 0xffffff81, v1
	v_mov_b32_e32 v2, 0xffffff82
	v_cndmask_b32_e32 v1, v1, v2, vcc
	v_lshrrev_b32_e32 v2, 23, v15
	v_add3_u32 v31, v31, v1, v2
	v_add_u32_e32 v5, 14, v31
	v_and_b32_e32 v1, 0x1fffff, v4
	v_add_u32_e32 v2, v1, v15
	v_cmp_ne_u32_e32 vcc, 0, v5
                                        ; implicit-def: $vgpr15_vgpr16
                                        ; implicit-def: $vgpr1
	s_and_saveexec_b64 s[28:29], vcc
	s_xor_b64 s[28:29], exec, s[28:29]
; %bb.1476:                             ;   in Loop: Header=BB2_1454 Depth=4
	v_cmp_lt_u64_e32 vcc, s[88:89], v[2:3]
	v_add_u32_e32 v1, 15, v31
	v_cndmask_b32_e64 v4, 0, 1, vcc
	v_cndmask_b32_e32 v1, v5, v1, vcc
	v_lshrrev_b64 v[15:16], v4, v[2:3]
; %bb.1477:                             ;   in Loop: Header=BB2_1454 Depth=4
	s_andn2_saveexec_b64 s[28:29], s[28:29]
; %bb.1478:                             ;   in Loop: Header=BB2_1454 Depth=4
	v_mov_b32_e32 v16, v3
	v_bfe_u32 v1, v2, 23, 1
	v_mov_b32_e32 v15, v2
; %bb.1479:                             ;   in Loop: Header=BB2_1454 Depth=4
	s_or_b64 exec, exec, s[28:29]
	v_lshrrev_b64 v[4:5], 21, v[15:16]
	v_cmp_gt_i32_e32 vcc, 32, v1
	v_cndmask_b32_e32 v16, 0, v5, vcc
	v_cndmask_b32_e32 v15, 3, v4, vcc
	v_cmp_ne_u64_e32 vcc, 0, v[15:16]
	v_cmp_ne_u32_e64 s[28:29], 0, v1
	s_or_b64 s[28:29], s[28:29], vcc
                                        ; implicit-def: $vgpr52
	s_and_saveexec_b64 vcc, s[28:29]
	s_xor_b64 s[28:29], exec, vcc
; %bb.1480:                             ;   in Loop: Header=BB2_1454 Depth=4
	v_min_i32_e32 v1, 31, v1
	v_lshl_or_b32 v1, v1, 2, v21
	v_and_or_b32 v52, v15, 3, v1
                                        ; implicit-def: $vgpr21
; %bb.1481:                             ;   in Loop: Header=BB2_1454 Depth=4
	s_andn2_saveexec_b64 s[28:29], s[28:29]
; %bb.1482:                             ;   in Loop: Header=BB2_1454 Depth=4
	v_mov_b32_e32 v52, v21
; %bb.1483:                             ;   in Loop: Header=BB2_1454 Depth=4
	s_or_b64 exec, exec, s[28:29]
.LBB2_1484:                             ;   in Loop: Header=BB2_1454 Depth=4
	s_or_b64 exec, exec, s[38:39]
                                        ; implicit-def: $vgpr21
.LBB2_1485:                             ;   in Loop: Header=BB2_1454 Depth=4
	s_andn2_saveexec_b64 s[28:29], s[36:37]
; %bb.1486:                             ;   in Loop: Header=BB2_1454 Depth=4
	v_or_b32_e32 v52, 0x7b, v21
; %bb.1487:                             ;   in Loop: Header=BB2_1454 Depth=4
	s_or_b64 exec, exec, s[28:29]
                                        ; implicit-def: $vgpr1
.LBB2_1488:                             ;   in Loop: Header=BB2_1454 Depth=4
	s_andn2_saveexec_b64 s[28:29], s[34:35]
	s_cbranch_execz .LBB2_1494
; %bb.1489:                             ;   in Loop: Header=BB2_1454 Depth=4
	v_cmp_ne_u64_e32 vcc, 0, v[2:3]
                                        ; implicit-def: $vgpr52
	s_and_saveexec_b64 s[34:35], vcc
	s_xor_b64 vcc, exec, s[34:35]
; %bb.1490:                             ;   in Loop: Header=BB2_1454 Depth=4
	v_or_b32_sdwa v52, v1, s81 dst_sel:DWORD dst_unused:UNUSED_PAD src0_sel:BYTE_3 src1_sel:DWORD
                                        ; implicit-def: $vgpr1
; %bb.1491:                             ;   in Loop: Header=BB2_1454 Depth=4
	s_andn2_saveexec_b64 s[34:35], vcc
; %bb.1492:                             ;   in Loop: Header=BB2_1454 Depth=4
	v_cmp_lt_i32_e32 vcc, -1, v1
	v_cndmask_b32_e32 v52, -4, v49, vcc
; %bb.1493:                             ;   in Loop: Header=BB2_1454 Depth=4
	s_or_b64 exec, exec, s[34:35]
.LBB2_1494:                             ;   in Loop: Header=BB2_1454 Depth=4
	s_or_b64 exec, exec, s[28:29]
	v_cmp_ne_u16_e32 vcc, 0, v30
	v_mov_b32_e32 v1, 0
	v_mov_b32_e32 v2, 0
	s_and_saveexec_b64 s[28:29], vcc
	s_cbranch_execz .LBB2_1502
; %bb.1495:                             ;   in Loop: Header=BB2_1454 Depth=4
	v_cmp_ne_u16_e32 vcc, s70, v30
	v_bfrev_b32_e32 v2, 1
	s_and_saveexec_b64 s[34:35], vcc
	s_cbranch_execz .LBB2_1501
; %bb.1496:                             ;   in Loop: Header=BB2_1454 Depth=4
	v_and_b32_e32 v2, 0x7c, v30
	v_and_b32_e32 v4, 3, v30
	v_cmp_ne_u32_e32 vcc, s71, v2
                                        ; implicit-def: $vgpr2
	s_and_saveexec_b64 s[36:37], vcc
	s_xor_b64 s[36:37], exec, s[36:37]
	s_cbranch_execz .LBB2_1498
; %bb.1497:                             ;   in Loop: Header=BB2_1454 Depth=4
	v_ffbh_u32_e32 v5, v4
	v_min_u32_e32 v5, 32, v5
	v_and_b32_e32 v2, 0xff, v30
	v_mov_b32_e32 v31, v3
	v_subrev_u32_e32 v15, 29, v5
	v_bfe_u32 v2, v2, 2, 5
	v_lshlrev_b64 v[15:16], v15, v[30:31]
	v_sub_u32_e32 v5, 30, v5
	v_cmp_eq_u32_e32 vcc, 0, v2
	v_and_b32_e32 v15, 3, v15
	v_cndmask_b32_e32 v2, v2, v5, vcc
	v_and_b32_sdwa v5, sext(v30), s80 dst_sel:DWORD dst_unused:UNUSED_PAD src0_sel:WORD_0 src1_sel:DWORD
	v_cndmask_b32_e32 v4, v4, v15, vcc
	v_lshl_add_u32 v2, v2, 23, v5
	v_lshl_or_b32 v2, v4, 21, v2
	v_add_u32_e32 v2, 0x38000000, v2
                                        ; implicit-def: $vgpr4
                                        ; implicit-def: $vgpr30
.LBB2_1498:                             ;   in Loop: Header=BB2_1454 Depth=4
	s_andn2_saveexec_b64 s[36:37], s[36:37]
; %bb.1499:                             ;   in Loop: Header=BB2_1454 Depth=4
	v_cmp_lt_i16_e32 vcc, -1, v30
	v_cndmask_b32_e32 v2, v27, v6, vcc
	v_cmp_eq_u32_e32 vcc, 0, v4
	v_cndmask_b32_e32 v2, v7, v2, vcc
; %bb.1500:                             ;   in Loop: Header=BB2_1454 Depth=4
	s_or_b64 exec, exec, s[36:37]
.LBB2_1501:                             ;   in Loop: Header=BB2_1454 Depth=4
	s_or_b64 exec, exec, s[34:35]
.LBB2_1502:                             ;   in Loop: Header=BB2_1454 Depth=4
	s_or_b64 exec, exec, s[28:29]
	v_cmp_ne_u16_e32 vcc, 0, v20
	s_and_saveexec_b64 s[28:29], vcc
	s_cbranch_execz .LBB2_1510
; %bb.1503:                             ;   in Loop: Header=BB2_1454 Depth=4
	v_cmp_ne_u16_e32 vcc, s70, v20
	v_bfrev_b32_e32 v1, 1
	s_and_saveexec_b64 s[34:35], vcc
	s_cbranch_execz .LBB2_1509
; %bb.1504:                             ;   in Loop: Header=BB2_1454 Depth=4
	v_and_b32_e32 v1, 0x7c, v20
	v_and_b32_e32 v4, 3, v20
	v_cmp_ne_u32_e32 vcc, s71, v1
                                        ; implicit-def: $vgpr1
	s_and_saveexec_b64 s[36:37], vcc
	s_xor_b64 s[36:37], exec, s[36:37]
	s_cbranch_execz .LBB2_1506
; %bb.1505:                             ;   in Loop: Header=BB2_1454 Depth=4
	v_ffbh_u32_e32 v5, v4
	v_min_u32_e32 v5, 32, v5
	v_and_b32_e32 v1, 0xff, v20
	v_mov_b32_e32 v21, v3
	v_subrev_u32_e32 v15, 29, v5
	v_bfe_u32 v1, v1, 2, 5
	v_lshlrev_b64 v[15:16], v15, v[20:21]
	v_sub_u32_e32 v5, 30, v5
	v_cmp_eq_u32_e32 vcc, 0, v1
	v_and_b32_e32 v15, 3, v15
	v_cndmask_b32_e32 v1, v1, v5, vcc
	v_and_b32_sdwa v5, sext(v20), s80 dst_sel:DWORD dst_unused:UNUSED_PAD src0_sel:WORD_0 src1_sel:DWORD
	v_cndmask_b32_e32 v4, v4, v15, vcc
	v_lshl_add_u32 v1, v1, 23, v5
	v_lshl_or_b32 v1, v4, 21, v1
	v_add_u32_e32 v1, 0x38000000, v1
                                        ; implicit-def: $vgpr4
                                        ; implicit-def: $vgpr20
.LBB2_1506:                             ;   in Loop: Header=BB2_1454 Depth=4
	s_andn2_saveexec_b64 s[36:37], s[36:37]
; %bb.1507:                             ;   in Loop: Header=BB2_1454 Depth=4
	v_cmp_lt_i16_e32 vcc, -1, v20
	v_cndmask_b32_e32 v1, v27, v6, vcc
	v_cmp_eq_u32_e32 vcc, 0, v4
	v_cndmask_b32_e32 v1, v7, v1, vcc
; %bb.1508:                             ;   in Loop: Header=BB2_1454 Depth=4
	s_or_b64 exec, exec, s[36:37]
.LBB2_1509:                             ;   in Loop: Header=BB2_1454 Depth=4
	s_or_b64 exec, exec, s[34:35]
.LBB2_1510:                             ;   in Loop: Header=BB2_1454 Depth=4
	s_or_b64 exec, exec, s[28:29]
	v_mul_f32_e32 v1, v2, v1
	v_and_b32_e32 v4, 0x7f800000, v1
	v_mov_b32_e32 v5, v3
	v_cmp_ne_u64_e32 vcc, s[62:63], v[4:5]
	v_and_b32_e32 v2, 0x7fffff, v1
                                        ; implicit-def: $vgpr21
	s_and_saveexec_b64 s[28:29], vcc
	s_xor_b64 s[34:35], exec, s[28:29]
	s_cbranch_execz .LBB2_1528
; %bb.1511:                             ;   in Loop: Header=BB2_1454 Depth=4
	v_and_b32_e32 v4, 0x7fffffff, v1
	v_mov_b32_e32 v5, v3
	v_cmp_gt_u64_e32 vcc, s[78:79], v[4:5]
	v_and_b32_sdwa v20, v1, s82 dst_sel:DWORD dst_unused:UNUSED_PAD src0_sel:BYTE_3 src1_sel:DWORD
                                        ; implicit-def: $vgpr21
	s_and_saveexec_b64 s[28:29], vcc
	s_xor_b64 s[36:37], exec, s[28:29]
	s_cbranch_execz .LBB2_1525
; %bb.1512:                             ;   in Loop: Header=BB2_1454 Depth=4
	v_cmp_ne_u32_e32 vcc, 0, v1
	v_mov_b32_e32 v21, 0
	s_and_saveexec_b64 s[38:39], vcc
	s_cbranch_execz .LBB2_1524
; %bb.1513:                             ;   in Loop: Header=BB2_1454 Depth=4
	v_bfe_u32 v1, v1, 23, 8
	v_cmp_gt_u32_e64 s[28:29], s44, v1
	v_sub_u32_e32 v4, 0x71, v1
	v_cmp_eq_u32_e32 vcc, 0, v1
	v_cndmask_b32_e64 v4, 0, v4, s[28:29]
	v_mov_b32_e32 v15, 0x70
	v_cndmask_b32_e32 v21, v4, v15, vcc
	v_or_b32_e32 v5, 0x800000, v2
	v_add_u32_e32 v4, 21, v21
	v_cndmask_b32_e32 v2, v5, v2, vcc
	v_lshlrev_b64 v[4:5], v4, -1
	v_add_u32_e32 v15, 20, v21
	v_lshlrev_b64 v[15:16], v15, 1
	v_bfi_b32 v5, v5, 0, 0
	v_bfi_b32 v4, v4, 0, v2
	v_cmp_eq_u64_e64 s[28:29], v[4:5], v[15:16]
	v_lshrrev_b64 v[15:16], v21, v[2:3]
	v_mov_b32_e32 v4, v15
	v_mov_b32_e32 v5, v16
	s_and_saveexec_b64 s[48:49], s[28:29]
; %bb.1514:                             ;   in Loop: Header=BB2_1454 Depth=4
	v_bfe_u32 v2, v15, 21, 1
	v_add_co_u32_e64 v2, s[28:29], v15, v2
	v_add_co_u32_e64 v4, s[28:29], -1, v2
; %bb.1515:                             ;   in Loop: Header=BB2_1454 Depth=4
	s_or_b64 exec, exec, s[48:49]
	v_add_u32_e32 v1, 0xffffff81, v1
	v_mov_b32_e32 v2, 0xffffff82
	v_cndmask_b32_e32 v1, v1, v2, vcc
	v_lshrrev_b32_e32 v2, 23, v15
	v_add3_u32 v21, v21, v1, v2
	v_add_u32_e32 v5, 14, v21
	v_and_b32_e32 v1, 0x1fffff, v4
	v_add_u32_e32 v2, v1, v15
	v_cmp_ne_u32_e32 vcc, 0, v5
                                        ; implicit-def: $vgpr15_vgpr16
                                        ; implicit-def: $vgpr1
	s_and_saveexec_b64 s[28:29], vcc
	s_xor_b64 s[28:29], exec, s[28:29]
; %bb.1516:                             ;   in Loop: Header=BB2_1454 Depth=4
	v_cmp_lt_u64_e32 vcc, s[88:89], v[2:3]
	v_add_u32_e32 v1, 15, v21
	v_cndmask_b32_e64 v4, 0, 1, vcc
	v_lshrrev_b64 v[15:16], v4, v[2:3]
	v_cndmask_b32_e32 v1, v5, v1, vcc
; %bb.1517:                             ;   in Loop: Header=BB2_1454 Depth=4
	s_andn2_saveexec_b64 s[28:29], s[28:29]
; %bb.1518:                             ;   in Loop: Header=BB2_1454 Depth=4
	v_mov_b32_e32 v16, v3
	v_bfe_u32 v1, v2, 23, 1
	v_mov_b32_e32 v15, v2
; %bb.1519:                             ;   in Loop: Header=BB2_1454 Depth=4
	s_or_b64 exec, exec, s[28:29]
	v_lshrrev_b64 v[4:5], 21, v[15:16]
	v_cmp_gt_i32_e32 vcc, 32, v1
	v_cndmask_b32_e32 v16, 0, v5, vcc
	v_cndmask_b32_e32 v15, 3, v4, vcc
	v_cmp_ne_u64_e32 vcc, 0, v[15:16]
	v_cmp_ne_u32_e64 s[28:29], 0, v1
	s_or_b64 s[28:29], s[28:29], vcc
                                        ; implicit-def: $vgpr21
	s_and_saveexec_b64 vcc, s[28:29]
	s_xor_b64 s[28:29], exec, vcc
; %bb.1520:                             ;   in Loop: Header=BB2_1454 Depth=4
	v_min_i32_e32 v1, 31, v1
	v_lshl_or_b32 v1, v1, 2, v20
	v_and_or_b32 v21, v15, 3, v1
                                        ; implicit-def: $vgpr20
; %bb.1521:                             ;   in Loop: Header=BB2_1454 Depth=4
	s_andn2_saveexec_b64 s[28:29], s[28:29]
; %bb.1522:                             ;   in Loop: Header=BB2_1454 Depth=4
	v_mov_b32_e32 v21, v20
; %bb.1523:                             ;   in Loop: Header=BB2_1454 Depth=4
	s_or_b64 exec, exec, s[28:29]
.LBB2_1524:                             ;   in Loop: Header=BB2_1454 Depth=4
	s_or_b64 exec, exec, s[38:39]
                                        ; implicit-def: $vgpr20
.LBB2_1525:                             ;   in Loop: Header=BB2_1454 Depth=4
	s_andn2_saveexec_b64 s[28:29], s[36:37]
; %bb.1526:                             ;   in Loop: Header=BB2_1454 Depth=4
	v_or_b32_e32 v21, 0x7b, v20
; %bb.1527:                             ;   in Loop: Header=BB2_1454 Depth=4
	s_or_b64 exec, exec, s[28:29]
                                        ; implicit-def: $vgpr1
.LBB2_1528:                             ;   in Loop: Header=BB2_1454 Depth=4
	s_andn2_saveexec_b64 s[28:29], s[34:35]
	s_cbranch_execz .LBB2_1534
; %bb.1529:                             ;   in Loop: Header=BB2_1454 Depth=4
	v_cmp_ne_u64_e32 vcc, 0, v[2:3]
                                        ; implicit-def: $vgpr21
	s_and_saveexec_b64 s[34:35], vcc
	s_xor_b64 vcc, exec, s[34:35]
; %bb.1530:                             ;   in Loop: Header=BB2_1454 Depth=4
	v_or_b32_sdwa v21, v1, s81 dst_sel:DWORD dst_unused:UNUSED_PAD src0_sel:BYTE_3 src1_sel:DWORD
                                        ; implicit-def: $vgpr1
; %bb.1531:                             ;   in Loop: Header=BB2_1454 Depth=4
	s_andn2_saveexec_b64 s[34:35], vcc
; %bb.1532:                             ;   in Loop: Header=BB2_1454 Depth=4
	v_cmp_lt_i32_e32 vcc, -1, v1
	v_cndmask_b32_e32 v21, -4, v49, vcc
; %bb.1533:                             ;   in Loop: Header=BB2_1454 Depth=4
	s_or_b64 exec, exec, s[34:35]
.LBB2_1534:                             ;   in Loop: Header=BB2_1454 Depth=4
	s_or_b64 exec, exec, s[28:29]
	v_cmp_ne_u16_e32 vcc, 0, v19
	v_mov_b32_e32 v1, 0
	v_mov_b32_e32 v2, 0
	s_and_saveexec_b64 s[28:29], vcc
	s_cbranch_execz .LBB2_1542
; %bb.1535:                             ;   in Loop: Header=BB2_1454 Depth=4
	v_cmp_ne_u16_e32 vcc, s70, v19
	v_bfrev_b32_e32 v2, 1
	s_and_saveexec_b64 s[34:35], vcc
	s_cbranch_execz .LBB2_1541
; %bb.1536:                             ;   in Loop: Header=BB2_1454 Depth=4
	v_and_b32_e32 v2, 0x7c, v19
	v_and_b32_e32 v4, 3, v19
	v_cmp_ne_u32_e32 vcc, s71, v2
                                        ; implicit-def: $vgpr2
	s_and_saveexec_b64 s[36:37], vcc
	s_xor_b64 s[36:37], exec, s[36:37]
	s_cbranch_execz .LBB2_1538
; %bb.1537:                             ;   in Loop: Header=BB2_1454 Depth=4
	v_ffbh_u32_e32 v5, v4
	v_min_u32_e32 v5, 32, v5
	v_and_b32_e32 v2, 0xff, v19
	v_mov_b32_e32 v20, v3
	v_subrev_u32_e32 v15, 29, v5
	v_bfe_u32 v2, v2, 2, 5
	v_lshlrev_b64 v[15:16], v15, v[19:20]
	v_sub_u32_e32 v5, 30, v5
	v_cmp_eq_u32_e32 vcc, 0, v2
	v_and_b32_e32 v15, 3, v15
	v_cndmask_b32_e32 v2, v2, v5, vcc
	v_and_b32_sdwa v5, sext(v19), s80 dst_sel:DWORD dst_unused:UNUSED_PAD src0_sel:WORD_0 src1_sel:DWORD
	v_cndmask_b32_e32 v4, v4, v15, vcc
	v_lshl_add_u32 v2, v2, 23, v5
	v_lshl_or_b32 v2, v4, 21, v2
	v_add_u32_e32 v2, 0x38000000, v2
                                        ; implicit-def: $vgpr4
                                        ; implicit-def: $vgpr19
.LBB2_1538:                             ;   in Loop: Header=BB2_1454 Depth=4
	s_andn2_saveexec_b64 s[36:37], s[36:37]
; %bb.1539:                             ;   in Loop: Header=BB2_1454 Depth=4
	v_cmp_lt_i16_e32 vcc, -1, v19
	v_cndmask_b32_e32 v2, v27, v6, vcc
	v_cmp_eq_u32_e32 vcc, 0, v4
	v_cndmask_b32_e32 v2, v7, v2, vcc
; %bb.1540:                             ;   in Loop: Header=BB2_1454 Depth=4
	s_or_b64 exec, exec, s[36:37]
.LBB2_1541:                             ;   in Loop: Header=BB2_1454 Depth=4
	s_or_b64 exec, exec, s[34:35]
.LBB2_1542:                             ;   in Loop: Header=BB2_1454 Depth=4
	s_or_b64 exec, exec, s[28:29]
	v_cmp_ne_u16_e32 vcc, 0, v18
	s_and_saveexec_b64 s[28:29], vcc
	s_cbranch_execz .LBB2_1550
; %bb.1543:                             ;   in Loop: Header=BB2_1454 Depth=4
	v_cmp_ne_u16_e32 vcc, s70, v18
	v_bfrev_b32_e32 v1, 1
	s_and_saveexec_b64 s[34:35], vcc
	s_cbranch_execz .LBB2_1549
; %bb.1544:                             ;   in Loop: Header=BB2_1454 Depth=4
	v_and_b32_e32 v1, 0x7c, v18
	v_and_b32_e32 v4, 3, v18
	v_cmp_ne_u32_e32 vcc, s71, v1
                                        ; implicit-def: $vgpr1
	s_and_saveexec_b64 s[36:37], vcc
	s_xor_b64 s[36:37], exec, s[36:37]
	s_cbranch_execz .LBB2_1546
; %bb.1545:                             ;   in Loop: Header=BB2_1454 Depth=4
	v_ffbh_u32_e32 v5, v4
	v_min_u32_e32 v5, 32, v5
	v_and_b32_e32 v1, 0xff, v18
	v_mov_b32_e32 v19, v3
	v_subrev_u32_e32 v15, 29, v5
	v_bfe_u32 v1, v1, 2, 5
	v_lshlrev_b64 v[15:16], v15, v[18:19]
	v_sub_u32_e32 v5, 30, v5
	v_cmp_eq_u32_e32 vcc, 0, v1
	v_and_b32_e32 v15, 3, v15
	v_cndmask_b32_e32 v1, v1, v5, vcc
	v_and_b32_sdwa v5, sext(v18), s80 dst_sel:DWORD dst_unused:UNUSED_PAD src0_sel:WORD_0 src1_sel:DWORD
	v_cndmask_b32_e32 v4, v4, v15, vcc
	v_lshl_add_u32 v1, v1, 23, v5
	v_lshl_or_b32 v1, v4, 21, v1
	v_add_u32_e32 v1, 0x38000000, v1
                                        ; implicit-def: $vgpr4
                                        ; implicit-def: $vgpr18
.LBB2_1546:                             ;   in Loop: Header=BB2_1454 Depth=4
	s_andn2_saveexec_b64 s[36:37], s[36:37]
; %bb.1547:                             ;   in Loop: Header=BB2_1454 Depth=4
	v_cmp_lt_i16_e32 vcc, -1, v18
	v_cndmask_b32_e32 v1, v27, v6, vcc
	v_cmp_eq_u32_e32 vcc, 0, v4
	v_cndmask_b32_e32 v1, v7, v1, vcc
; %bb.1548:                             ;   in Loop: Header=BB2_1454 Depth=4
	s_or_b64 exec, exec, s[36:37]
.LBB2_1549:                             ;   in Loop: Header=BB2_1454 Depth=4
	s_or_b64 exec, exec, s[34:35]
.LBB2_1550:                             ;   in Loop: Header=BB2_1454 Depth=4
	s_or_b64 exec, exec, s[28:29]
	v_mul_f32_e32 v1, v2, v1
	v_and_b32_e32 v4, 0x7f800000, v1
	v_mov_b32_e32 v5, v3
	v_cmp_ne_u64_e32 vcc, s[62:63], v[4:5]
	v_and_b32_e32 v2, 0x7fffff, v1
                                        ; implicit-def: $vgpr18
	s_and_saveexec_b64 s[28:29], vcc
	s_xor_b64 s[34:35], exec, s[28:29]
	s_cbranch_execz .LBB2_1568
; %bb.1551:                             ;   in Loop: Header=BB2_1454 Depth=4
	v_and_b32_e32 v4, 0x7fffffff, v1
	v_mov_b32_e32 v5, v3
	v_cmp_gt_u64_e32 vcc, s[78:79], v[4:5]
	v_and_b32_sdwa v19, v1, s82 dst_sel:DWORD dst_unused:UNUSED_PAD src0_sel:BYTE_3 src1_sel:DWORD
                                        ; implicit-def: $vgpr18
	s_and_saveexec_b64 s[28:29], vcc
	s_xor_b64 s[36:37], exec, s[28:29]
	s_cbranch_execz .LBB2_1565
; %bb.1552:                             ;   in Loop: Header=BB2_1454 Depth=4
	v_cmp_ne_u32_e32 vcc, 0, v1
	v_mov_b32_e32 v18, 0
	s_and_saveexec_b64 s[38:39], vcc
	s_cbranch_execz .LBB2_1564
; %bb.1553:                             ;   in Loop: Header=BB2_1454 Depth=4
	v_bfe_u32 v1, v1, 23, 8
	v_cmp_gt_u32_e64 s[28:29], s44, v1
	v_sub_u32_e32 v4, 0x71, v1
	v_cmp_eq_u32_e32 vcc, 0, v1
	v_cndmask_b32_e64 v4, 0, v4, s[28:29]
	v_mov_b32_e32 v15, 0x70
	v_cndmask_b32_e32 v18, v4, v15, vcc
	v_or_b32_e32 v5, 0x800000, v2
	v_add_u32_e32 v4, 21, v18
	v_cndmask_b32_e32 v2, v5, v2, vcc
	v_lshlrev_b64 v[4:5], v4, -1
	v_add_u32_e32 v15, 20, v18
	v_lshlrev_b64 v[15:16], v15, 1
	v_bfi_b32 v5, v5, 0, 0
	v_bfi_b32 v4, v4, 0, v2
	v_cmp_eq_u64_e64 s[28:29], v[4:5], v[15:16]
	v_lshrrev_b64 v[15:16], v18, v[2:3]
	v_mov_b32_e32 v4, v15
	v_mov_b32_e32 v5, v16
	s_and_saveexec_b64 s[48:49], s[28:29]
; %bb.1554:                             ;   in Loop: Header=BB2_1454 Depth=4
	v_bfe_u32 v2, v15, 21, 1
	v_add_co_u32_e64 v2, s[28:29], v15, v2
	v_add_co_u32_e64 v4, s[28:29], -1, v2
; %bb.1555:                             ;   in Loop: Header=BB2_1454 Depth=4
	s_or_b64 exec, exec, s[48:49]
	v_add_u32_e32 v1, 0xffffff81, v1
	v_mov_b32_e32 v2, 0xffffff82
	v_cndmask_b32_e32 v1, v1, v2, vcc
	v_lshrrev_b32_e32 v2, 23, v15
	v_add3_u32 v18, v18, v1, v2
	v_add_u32_e32 v5, 14, v18
	v_and_b32_e32 v1, 0x1fffff, v4
	v_add_u32_e32 v2, v1, v15
	v_cmp_ne_u32_e32 vcc, 0, v5
                                        ; implicit-def: $vgpr15_vgpr16
                                        ; implicit-def: $vgpr1
	s_and_saveexec_b64 s[28:29], vcc
	s_xor_b64 s[28:29], exec, s[28:29]
; %bb.1556:                             ;   in Loop: Header=BB2_1454 Depth=4
	v_cmp_lt_u64_e32 vcc, s[88:89], v[2:3]
	v_add_u32_e32 v1, 15, v18
	v_cndmask_b32_e64 v4, 0, 1, vcc
	v_lshrrev_b64 v[15:16], v4, v[2:3]
	v_cndmask_b32_e32 v1, v5, v1, vcc
; %bb.1557:                             ;   in Loop: Header=BB2_1454 Depth=4
	s_andn2_saveexec_b64 s[28:29], s[28:29]
; %bb.1558:                             ;   in Loop: Header=BB2_1454 Depth=4
	v_mov_b32_e32 v16, v3
	v_bfe_u32 v1, v2, 23, 1
	v_mov_b32_e32 v15, v2
; %bb.1559:                             ;   in Loop: Header=BB2_1454 Depth=4
	s_or_b64 exec, exec, s[28:29]
	v_lshrrev_b64 v[4:5], 21, v[15:16]
	v_cmp_gt_i32_e32 vcc, 32, v1
	v_cndmask_b32_e32 v16, 0, v5, vcc
	v_cndmask_b32_e32 v15, 3, v4, vcc
	v_cmp_ne_u64_e32 vcc, 0, v[15:16]
	v_cmp_ne_u32_e64 s[28:29], 0, v1
	s_or_b64 s[28:29], s[28:29], vcc
                                        ; implicit-def: $vgpr18
	s_and_saveexec_b64 vcc, s[28:29]
	s_xor_b64 s[28:29], exec, vcc
; %bb.1560:                             ;   in Loop: Header=BB2_1454 Depth=4
	v_min_i32_e32 v1, 31, v1
	v_lshl_or_b32 v1, v1, 2, v19
	v_and_or_b32 v18, v15, 3, v1
                                        ; implicit-def: $vgpr19
; %bb.1561:                             ;   in Loop: Header=BB2_1454 Depth=4
	s_andn2_saveexec_b64 s[28:29], s[28:29]
; %bb.1562:                             ;   in Loop: Header=BB2_1454 Depth=4
	v_mov_b32_e32 v18, v19
; %bb.1563:                             ;   in Loop: Header=BB2_1454 Depth=4
	s_or_b64 exec, exec, s[28:29]
.LBB2_1564:                             ;   in Loop: Header=BB2_1454 Depth=4
	s_or_b64 exec, exec, s[38:39]
                                        ; implicit-def: $vgpr19
.LBB2_1565:                             ;   in Loop: Header=BB2_1454 Depth=4
	s_andn2_saveexec_b64 s[28:29], s[36:37]
; %bb.1566:                             ;   in Loop: Header=BB2_1454 Depth=4
	v_or_b32_e32 v18, 0x7b, v19
; %bb.1567:                             ;   in Loop: Header=BB2_1454 Depth=4
	s_or_b64 exec, exec, s[28:29]
                                        ; implicit-def: $vgpr1
.LBB2_1568:                             ;   in Loop: Header=BB2_1454 Depth=4
	s_andn2_saveexec_b64 s[28:29], s[34:35]
	s_cbranch_execz .LBB2_1574
; %bb.1569:                             ;   in Loop: Header=BB2_1454 Depth=4
	v_cmp_ne_u64_e32 vcc, 0, v[2:3]
                                        ; implicit-def: $vgpr18
	s_and_saveexec_b64 s[34:35], vcc
	s_xor_b64 vcc, exec, s[34:35]
; %bb.1570:                             ;   in Loop: Header=BB2_1454 Depth=4
	v_or_b32_sdwa v18, v1, s81 dst_sel:DWORD dst_unused:UNUSED_PAD src0_sel:BYTE_3 src1_sel:DWORD
                                        ; implicit-def: $vgpr1
; %bb.1571:                             ;   in Loop: Header=BB2_1454 Depth=4
	s_andn2_saveexec_b64 s[34:35], vcc
; %bb.1572:                             ;   in Loop: Header=BB2_1454 Depth=4
	v_cmp_lt_i32_e32 vcc, -1, v1
	v_cndmask_b32_e32 v18, -4, v49, vcc
; %bb.1573:                             ;   in Loop: Header=BB2_1454 Depth=4
	s_or_b64 exec, exec, s[34:35]
.LBB2_1574:                             ;   in Loop: Header=BB2_1454 Depth=4
	s_or_b64 exec, exec, s[28:29]
	v_cmp_ne_u16_e32 vcc, 0, v58
	v_mov_b32_e32 v1, 0
	v_mov_b32_e32 v2, 0
	s_and_saveexec_b64 s[28:29], vcc
	s_cbranch_execz .LBB2_1582
; %bb.1575:                             ;   in Loop: Header=BB2_1454 Depth=4
	v_cmp_ne_u16_e32 vcc, s70, v58
	v_bfrev_b32_e32 v2, 1
	s_and_saveexec_b64 s[34:35], vcc
	s_cbranch_execz .LBB2_1581
; %bb.1576:                             ;   in Loop: Header=BB2_1454 Depth=4
	v_and_b32_e32 v2, 0x7c, v58
	v_and_b32_e32 v4, 3, v58
	v_cmp_ne_u32_e32 vcc, s71, v2
                                        ; implicit-def: $vgpr2
	s_and_saveexec_b64 s[36:37], vcc
	s_xor_b64 s[36:37], exec, s[36:37]
	s_cbranch_execz .LBB2_1578
; %bb.1577:                             ;   in Loop: Header=BB2_1454 Depth=4
	v_ffbh_u32_e32 v5, v4
	v_min_u32_e32 v5, 32, v5
	v_and_b32_e32 v2, 0xff, v58
	v_mov_b32_e32 v59, v3
	v_subrev_u32_e32 v15, 29, v5
	v_bfe_u32 v2, v2, 2, 5
	v_lshlrev_b64 v[15:16], v15, v[58:59]
	v_sub_u32_e32 v5, 30, v5
	v_cmp_eq_u32_e32 vcc, 0, v2
	v_and_b32_e32 v15, 3, v15
	v_cndmask_b32_e32 v2, v2, v5, vcc
	v_and_b32_sdwa v5, sext(v58), s80 dst_sel:DWORD dst_unused:UNUSED_PAD src0_sel:WORD_0 src1_sel:DWORD
	v_cndmask_b32_e32 v4, v4, v15, vcc
	v_lshl_add_u32 v2, v2, 23, v5
	v_lshl_or_b32 v2, v4, 21, v2
	v_add_u32_e32 v2, 0x38000000, v2
                                        ; implicit-def: $vgpr4
                                        ; implicit-def: $vgpr58
.LBB2_1578:                             ;   in Loop: Header=BB2_1454 Depth=4
	s_andn2_saveexec_b64 s[36:37], s[36:37]
; %bb.1579:                             ;   in Loop: Header=BB2_1454 Depth=4
	v_cmp_lt_i16_e32 vcc, -1, v58
	v_cndmask_b32_e32 v2, v27, v6, vcc
	v_cmp_eq_u32_e32 vcc, 0, v4
	v_cndmask_b32_e32 v2, v7, v2, vcc
; %bb.1580:                             ;   in Loop: Header=BB2_1454 Depth=4
	s_or_b64 exec, exec, s[36:37]
.LBB2_1581:                             ;   in Loop: Header=BB2_1454 Depth=4
	s_or_b64 exec, exec, s[34:35]
.LBB2_1582:                             ;   in Loop: Header=BB2_1454 Depth=4
	s_or_b64 exec, exec, s[28:29]
	v_cmp_ne_u16_e32 vcc, 0, v57
	s_and_saveexec_b64 s[28:29], vcc
	s_cbranch_execz .LBB2_1590
; %bb.1583:                             ;   in Loop: Header=BB2_1454 Depth=4
	v_cmp_ne_u16_e32 vcc, s70, v57
	v_bfrev_b32_e32 v1, 1
	s_and_saveexec_b64 s[34:35], vcc
	s_cbranch_execz .LBB2_1589
; %bb.1584:                             ;   in Loop: Header=BB2_1454 Depth=4
	v_and_b32_e32 v1, 0x7c, v57
	v_and_b32_e32 v4, 3, v57
	v_cmp_ne_u32_e32 vcc, s71, v1
                                        ; implicit-def: $vgpr1
	s_and_saveexec_b64 s[36:37], vcc
	s_xor_b64 s[36:37], exec, s[36:37]
	s_cbranch_execz .LBB2_1586
; %bb.1585:                             ;   in Loop: Header=BB2_1454 Depth=4
	v_ffbh_u32_e32 v5, v4
	v_min_u32_e32 v5, 32, v5
	v_and_b32_e32 v1, 0xff, v57
	v_mov_b32_e32 v58, v3
	v_subrev_u32_e32 v15, 29, v5
	v_bfe_u32 v1, v1, 2, 5
	v_lshlrev_b64 v[15:16], v15, v[57:58]
	v_sub_u32_e32 v5, 30, v5
	v_cmp_eq_u32_e32 vcc, 0, v1
	v_and_b32_e32 v15, 3, v15
	v_cndmask_b32_e32 v1, v1, v5, vcc
	v_and_b32_sdwa v5, sext(v57), s80 dst_sel:DWORD dst_unused:UNUSED_PAD src0_sel:WORD_0 src1_sel:DWORD
	v_cndmask_b32_e32 v4, v4, v15, vcc
	v_lshl_add_u32 v1, v1, 23, v5
	v_lshl_or_b32 v1, v4, 21, v1
	v_add_u32_e32 v1, 0x38000000, v1
                                        ; implicit-def: $vgpr4
                                        ; implicit-def: $vgpr57
.LBB2_1586:                             ;   in Loop: Header=BB2_1454 Depth=4
	s_andn2_saveexec_b64 s[36:37], s[36:37]
; %bb.1587:                             ;   in Loop: Header=BB2_1454 Depth=4
	v_cmp_lt_i16_e32 vcc, -1, v57
	v_cndmask_b32_e32 v1, v27, v6, vcc
	v_cmp_eq_u32_e32 vcc, 0, v4
	v_cndmask_b32_e32 v1, v7, v1, vcc
; %bb.1588:                             ;   in Loop: Header=BB2_1454 Depth=4
	s_or_b64 exec, exec, s[36:37]
.LBB2_1589:                             ;   in Loop: Header=BB2_1454 Depth=4
	s_or_b64 exec, exec, s[34:35]
.LBB2_1590:                             ;   in Loop: Header=BB2_1454 Depth=4
	s_or_b64 exec, exec, s[28:29]
	v_mul_f32_e32 v1, v2, v1
	v_and_b32_e32 v4, 0x7f800000, v1
	v_mov_b32_e32 v5, v3
	v_cmp_ne_u64_e32 vcc, s[62:63], v[4:5]
	v_and_b32_e32 v2, 0x7fffff, v1
                                        ; implicit-def: $vgpr19
	s_and_saveexec_b64 s[28:29], vcc
	s_xor_b64 s[34:35], exec, s[28:29]
	s_cbranch_execz .LBB2_1608
; %bb.1591:                             ;   in Loop: Header=BB2_1454 Depth=4
	v_and_b32_e32 v4, 0x7fffffff, v1
	v_mov_b32_e32 v5, v3
	v_cmp_gt_u64_e32 vcc, s[78:79], v[4:5]
	v_and_b32_sdwa v20, v1, s82 dst_sel:DWORD dst_unused:UNUSED_PAD src0_sel:BYTE_3 src1_sel:DWORD
                                        ; implicit-def: $vgpr19
	s_and_saveexec_b64 s[28:29], vcc
	s_xor_b64 s[36:37], exec, s[28:29]
	s_cbranch_execz .LBB2_1605
; %bb.1592:                             ;   in Loop: Header=BB2_1454 Depth=4
	v_cmp_ne_u32_e32 vcc, 0, v1
	v_mov_b32_e32 v19, 0
	s_and_saveexec_b64 s[38:39], vcc
	s_cbranch_execz .LBB2_1604
; %bb.1593:                             ;   in Loop: Header=BB2_1454 Depth=4
	v_bfe_u32 v1, v1, 23, 8
	v_cmp_gt_u32_e64 s[28:29], s44, v1
	v_sub_u32_e32 v4, 0x71, v1
	v_cmp_eq_u32_e32 vcc, 0, v1
	v_cndmask_b32_e64 v4, 0, v4, s[28:29]
	v_mov_b32_e32 v15, 0x70
	v_cndmask_b32_e32 v19, v4, v15, vcc
	v_or_b32_e32 v5, 0x800000, v2
	v_add_u32_e32 v4, 21, v19
	v_cndmask_b32_e32 v2, v5, v2, vcc
	v_lshlrev_b64 v[4:5], v4, -1
	v_add_u32_e32 v15, 20, v19
	v_lshlrev_b64 v[15:16], v15, 1
	v_bfi_b32 v5, v5, 0, 0
	v_bfi_b32 v4, v4, 0, v2
	v_cmp_eq_u64_e64 s[28:29], v[4:5], v[15:16]
	v_lshrrev_b64 v[15:16], v19, v[2:3]
	v_mov_b32_e32 v4, v15
	v_mov_b32_e32 v5, v16
	s_and_saveexec_b64 s[48:49], s[28:29]
; %bb.1594:                             ;   in Loop: Header=BB2_1454 Depth=4
	v_bfe_u32 v2, v15, 21, 1
	v_add_co_u32_e64 v2, s[28:29], v15, v2
	v_add_co_u32_e64 v4, s[28:29], -1, v2
; %bb.1595:                             ;   in Loop: Header=BB2_1454 Depth=4
	s_or_b64 exec, exec, s[48:49]
	v_add_u32_e32 v1, 0xffffff81, v1
	v_mov_b32_e32 v2, 0xffffff82
	v_cndmask_b32_e32 v1, v1, v2, vcc
	v_lshrrev_b32_e32 v2, 23, v15
	v_add3_u32 v19, v19, v1, v2
	v_add_u32_e32 v5, 14, v19
	v_and_b32_e32 v1, 0x1fffff, v4
	v_add_u32_e32 v2, v1, v15
	v_cmp_ne_u32_e32 vcc, 0, v5
                                        ; implicit-def: $vgpr15_vgpr16
                                        ; implicit-def: $vgpr1
	s_and_saveexec_b64 s[28:29], vcc
	s_xor_b64 s[28:29], exec, s[28:29]
; %bb.1596:                             ;   in Loop: Header=BB2_1454 Depth=4
	v_cmp_lt_u64_e32 vcc, s[88:89], v[2:3]
	v_add_u32_e32 v1, 15, v19
	v_cndmask_b32_e64 v4, 0, 1, vcc
	v_lshrrev_b64 v[15:16], v4, v[2:3]
	v_cndmask_b32_e32 v1, v5, v1, vcc
; %bb.1597:                             ;   in Loop: Header=BB2_1454 Depth=4
	s_andn2_saveexec_b64 s[28:29], s[28:29]
; %bb.1598:                             ;   in Loop: Header=BB2_1454 Depth=4
	v_mov_b32_e32 v16, v3
	v_bfe_u32 v1, v2, 23, 1
	v_mov_b32_e32 v15, v2
; %bb.1599:                             ;   in Loop: Header=BB2_1454 Depth=4
	s_or_b64 exec, exec, s[28:29]
	v_lshrrev_b64 v[4:5], 21, v[15:16]
	v_cmp_gt_i32_e32 vcc, 32, v1
	v_cndmask_b32_e32 v16, 0, v5, vcc
	v_cndmask_b32_e32 v15, 3, v4, vcc
	v_cmp_ne_u64_e32 vcc, 0, v[15:16]
	v_cmp_ne_u32_e64 s[28:29], 0, v1
	s_or_b64 s[28:29], s[28:29], vcc
                                        ; implicit-def: $vgpr19
	s_and_saveexec_b64 vcc, s[28:29]
	s_xor_b64 s[28:29], exec, vcc
; %bb.1600:                             ;   in Loop: Header=BB2_1454 Depth=4
	v_min_i32_e32 v1, 31, v1
	v_lshl_or_b32 v1, v1, 2, v20
	v_and_or_b32 v19, v15, 3, v1
                                        ; implicit-def: $vgpr20
; %bb.1601:                             ;   in Loop: Header=BB2_1454 Depth=4
	s_andn2_saveexec_b64 s[28:29], s[28:29]
; %bb.1602:                             ;   in Loop: Header=BB2_1454 Depth=4
	v_mov_b32_e32 v19, v20
; %bb.1603:                             ;   in Loop: Header=BB2_1454 Depth=4
	s_or_b64 exec, exec, s[28:29]
.LBB2_1604:                             ;   in Loop: Header=BB2_1454 Depth=4
	s_or_b64 exec, exec, s[38:39]
                                        ; implicit-def: $vgpr20
.LBB2_1605:                             ;   in Loop: Header=BB2_1454 Depth=4
	s_andn2_saveexec_b64 s[28:29], s[36:37]
; %bb.1606:                             ;   in Loop: Header=BB2_1454 Depth=4
	v_or_b32_e32 v19, 0x7b, v20
; %bb.1607:                             ;   in Loop: Header=BB2_1454 Depth=4
	s_or_b64 exec, exec, s[28:29]
                                        ; implicit-def: $vgpr1
.LBB2_1608:                             ;   in Loop: Header=BB2_1454 Depth=4
	s_andn2_saveexec_b64 s[28:29], s[34:35]
	s_cbranch_execz .LBB2_1614
; %bb.1609:                             ;   in Loop: Header=BB2_1454 Depth=4
	v_cmp_ne_u64_e32 vcc, 0, v[2:3]
                                        ; implicit-def: $vgpr19
	s_and_saveexec_b64 s[34:35], vcc
	s_xor_b64 vcc, exec, s[34:35]
; %bb.1610:                             ;   in Loop: Header=BB2_1454 Depth=4
	v_or_b32_sdwa v19, v1, s81 dst_sel:DWORD dst_unused:UNUSED_PAD src0_sel:BYTE_3 src1_sel:DWORD
                                        ; implicit-def: $vgpr1
; %bb.1611:                             ;   in Loop: Header=BB2_1454 Depth=4
	s_andn2_saveexec_b64 s[34:35], vcc
; %bb.1612:                             ;   in Loop: Header=BB2_1454 Depth=4
	v_cmp_lt_i32_e32 vcc, -1, v1
	v_cndmask_b32_e32 v19, -4, v49, vcc
; %bb.1613:                             ;   in Loop: Header=BB2_1454 Depth=4
	s_or_b64 exec, exec, s[34:35]
.LBB2_1614:                             ;   in Loop: Header=BB2_1454 Depth=4
	s_or_b64 exec, exec, s[28:29]
	v_cmp_ne_u16_e32 vcc, 0, v56
	v_mov_b32_e32 v1, 0
	v_mov_b32_e32 v2, 0
	s_and_saveexec_b64 s[28:29], vcc
	s_cbranch_execz .LBB2_1622
; %bb.1615:                             ;   in Loop: Header=BB2_1454 Depth=4
	v_cmp_ne_u16_e32 vcc, s70, v56
	v_bfrev_b32_e32 v2, 1
	s_and_saveexec_b64 s[34:35], vcc
	s_cbranch_execz .LBB2_1621
; %bb.1616:                             ;   in Loop: Header=BB2_1454 Depth=4
	v_and_b32_e32 v2, 0x7c, v56
	v_and_b32_e32 v4, 3, v56
	v_cmp_ne_u32_e32 vcc, s71, v2
                                        ; implicit-def: $vgpr2
	s_and_saveexec_b64 s[36:37], vcc
	s_xor_b64 s[36:37], exec, s[36:37]
	s_cbranch_execz .LBB2_1618
; %bb.1617:                             ;   in Loop: Header=BB2_1454 Depth=4
	v_ffbh_u32_e32 v5, v4
	v_min_u32_e32 v5, 32, v5
	v_and_b32_e32 v2, 0xff, v56
	v_mov_b32_e32 v57, v3
	v_subrev_u32_e32 v15, 29, v5
	v_bfe_u32 v2, v2, 2, 5
	v_lshlrev_b64 v[15:16], v15, v[56:57]
	v_sub_u32_e32 v5, 30, v5
	v_cmp_eq_u32_e32 vcc, 0, v2
	v_and_b32_e32 v15, 3, v15
	v_cndmask_b32_e32 v2, v2, v5, vcc
	v_and_b32_sdwa v5, sext(v56), s80 dst_sel:DWORD dst_unused:UNUSED_PAD src0_sel:WORD_0 src1_sel:DWORD
	v_cndmask_b32_e32 v4, v4, v15, vcc
	v_lshl_add_u32 v2, v2, 23, v5
	v_lshl_or_b32 v2, v4, 21, v2
	v_add_u32_e32 v2, 0x38000000, v2
                                        ; implicit-def: $vgpr4
                                        ; implicit-def: $vgpr56
.LBB2_1618:                             ;   in Loop: Header=BB2_1454 Depth=4
	s_andn2_saveexec_b64 s[36:37], s[36:37]
; %bb.1619:                             ;   in Loop: Header=BB2_1454 Depth=4
	v_cmp_lt_i16_e32 vcc, -1, v56
	v_cndmask_b32_e32 v2, v27, v6, vcc
	v_cmp_eq_u32_e32 vcc, 0, v4
	v_cndmask_b32_e32 v2, v7, v2, vcc
; %bb.1620:                             ;   in Loop: Header=BB2_1454 Depth=4
	s_or_b64 exec, exec, s[36:37]
.LBB2_1621:                             ;   in Loop: Header=BB2_1454 Depth=4
	s_or_b64 exec, exec, s[34:35]
.LBB2_1622:                             ;   in Loop: Header=BB2_1454 Depth=4
	s_or_b64 exec, exec, s[28:29]
	v_cmp_ne_u16_e32 vcc, 0, v55
	s_and_saveexec_b64 s[28:29], vcc
	s_cbranch_execz .LBB2_1630
; %bb.1623:                             ;   in Loop: Header=BB2_1454 Depth=4
	v_cmp_ne_u16_e32 vcc, s70, v55
	v_bfrev_b32_e32 v1, 1
	s_and_saveexec_b64 s[34:35], vcc
	s_cbranch_execz .LBB2_1629
; %bb.1624:                             ;   in Loop: Header=BB2_1454 Depth=4
	v_and_b32_e32 v1, 0x7c, v55
	v_and_b32_e32 v4, 3, v55
	v_cmp_ne_u32_e32 vcc, s71, v1
                                        ; implicit-def: $vgpr1
	s_and_saveexec_b64 s[36:37], vcc
	s_xor_b64 s[36:37], exec, s[36:37]
	s_cbranch_execz .LBB2_1626
; %bb.1625:                             ;   in Loop: Header=BB2_1454 Depth=4
	v_ffbh_u32_e32 v5, v4
	v_min_u32_e32 v5, 32, v5
	v_and_b32_e32 v1, 0xff, v55
	v_mov_b32_e32 v56, v3
	v_subrev_u32_e32 v15, 29, v5
	v_bfe_u32 v1, v1, 2, 5
	v_lshlrev_b64 v[15:16], v15, v[55:56]
	v_sub_u32_e32 v5, 30, v5
	v_cmp_eq_u32_e32 vcc, 0, v1
	v_and_b32_e32 v15, 3, v15
	v_cndmask_b32_e32 v1, v1, v5, vcc
	v_and_b32_sdwa v5, sext(v55), s80 dst_sel:DWORD dst_unused:UNUSED_PAD src0_sel:WORD_0 src1_sel:DWORD
	v_cndmask_b32_e32 v4, v4, v15, vcc
	v_lshl_add_u32 v1, v1, 23, v5
	v_lshl_or_b32 v1, v4, 21, v1
	v_add_u32_e32 v1, 0x38000000, v1
                                        ; implicit-def: $vgpr4
                                        ; implicit-def: $vgpr55
.LBB2_1626:                             ;   in Loop: Header=BB2_1454 Depth=4
	s_andn2_saveexec_b64 s[36:37], s[36:37]
; %bb.1627:                             ;   in Loop: Header=BB2_1454 Depth=4
	v_cmp_lt_i16_e32 vcc, -1, v55
	v_cndmask_b32_e32 v1, v27, v6, vcc
	v_cmp_eq_u32_e32 vcc, 0, v4
	v_cndmask_b32_e32 v1, v7, v1, vcc
; %bb.1628:                             ;   in Loop: Header=BB2_1454 Depth=4
	s_or_b64 exec, exec, s[36:37]
.LBB2_1629:                             ;   in Loop: Header=BB2_1454 Depth=4
	s_or_b64 exec, exec, s[34:35]
.LBB2_1630:                             ;   in Loop: Header=BB2_1454 Depth=4
	s_or_b64 exec, exec, s[28:29]
	v_mul_f32_e32 v1, v2, v1
	v_and_b32_e32 v4, 0x7f800000, v1
	v_mov_b32_e32 v5, v3
	v_cmp_ne_u64_e32 vcc, s[62:63], v[4:5]
	v_and_b32_e32 v2, 0x7fffff, v1
                                        ; implicit-def: $vgpr20
	s_and_saveexec_b64 s[28:29], vcc
	s_xor_b64 s[34:35], exec, s[28:29]
	s_cbranch_execz .LBB2_1648
; %bb.1631:                             ;   in Loop: Header=BB2_1454 Depth=4
	v_and_b32_e32 v4, 0x7fffffff, v1
	v_mov_b32_e32 v5, v3
	v_cmp_gt_u64_e32 vcc, s[78:79], v[4:5]
	v_and_b32_sdwa v30, v1, s82 dst_sel:DWORD dst_unused:UNUSED_PAD src0_sel:BYTE_3 src1_sel:DWORD
                                        ; implicit-def: $vgpr20
	s_and_saveexec_b64 s[28:29], vcc
	s_xor_b64 s[36:37], exec, s[28:29]
	s_cbranch_execz .LBB2_1645
; %bb.1632:                             ;   in Loop: Header=BB2_1454 Depth=4
	v_cmp_ne_u32_e32 vcc, 0, v1
	v_mov_b32_e32 v20, 0
	s_and_saveexec_b64 s[38:39], vcc
	s_cbranch_execz .LBB2_1644
; %bb.1633:                             ;   in Loop: Header=BB2_1454 Depth=4
	v_bfe_u32 v1, v1, 23, 8
	v_cmp_gt_u32_e64 s[28:29], s44, v1
	v_sub_u32_e32 v4, 0x71, v1
	v_cmp_eq_u32_e32 vcc, 0, v1
	v_cndmask_b32_e64 v4, 0, v4, s[28:29]
	v_mov_b32_e32 v15, 0x70
	v_cndmask_b32_e32 v20, v4, v15, vcc
	v_or_b32_e32 v5, 0x800000, v2
	v_add_u32_e32 v4, 21, v20
	v_cndmask_b32_e32 v2, v5, v2, vcc
	v_lshlrev_b64 v[4:5], v4, -1
	v_add_u32_e32 v15, 20, v20
	v_lshlrev_b64 v[15:16], v15, 1
	v_bfi_b32 v5, v5, 0, 0
	v_bfi_b32 v4, v4, 0, v2
	v_cmp_eq_u64_e64 s[28:29], v[4:5], v[15:16]
	v_lshrrev_b64 v[15:16], v20, v[2:3]
	v_mov_b32_e32 v4, v15
	v_mov_b32_e32 v5, v16
	s_and_saveexec_b64 s[48:49], s[28:29]
; %bb.1634:                             ;   in Loop: Header=BB2_1454 Depth=4
	v_bfe_u32 v2, v15, 21, 1
	v_add_co_u32_e64 v2, s[28:29], v15, v2
	v_add_co_u32_e64 v4, s[28:29], -1, v2
; %bb.1635:                             ;   in Loop: Header=BB2_1454 Depth=4
	s_or_b64 exec, exec, s[48:49]
	v_add_u32_e32 v1, 0xffffff81, v1
	v_mov_b32_e32 v2, 0xffffff82
	v_cndmask_b32_e32 v1, v1, v2, vcc
	v_lshrrev_b32_e32 v2, 23, v15
	v_add3_u32 v20, v20, v1, v2
	v_add_u32_e32 v5, 14, v20
	v_and_b32_e32 v1, 0x1fffff, v4
	v_add_u32_e32 v2, v1, v15
	v_cmp_ne_u32_e32 vcc, 0, v5
                                        ; implicit-def: $vgpr15_vgpr16
                                        ; implicit-def: $vgpr1
	s_and_saveexec_b64 s[28:29], vcc
	s_xor_b64 s[28:29], exec, s[28:29]
; %bb.1636:                             ;   in Loop: Header=BB2_1454 Depth=4
	v_cmp_lt_u64_e32 vcc, s[88:89], v[2:3]
	v_add_u32_e32 v1, 15, v20
	v_cndmask_b32_e64 v4, 0, 1, vcc
	v_lshrrev_b64 v[15:16], v4, v[2:3]
	v_cndmask_b32_e32 v1, v5, v1, vcc
; %bb.1637:                             ;   in Loop: Header=BB2_1454 Depth=4
	s_andn2_saveexec_b64 s[28:29], s[28:29]
; %bb.1638:                             ;   in Loop: Header=BB2_1454 Depth=4
	v_mov_b32_e32 v16, v3
	v_bfe_u32 v1, v2, 23, 1
	v_mov_b32_e32 v15, v2
; %bb.1639:                             ;   in Loop: Header=BB2_1454 Depth=4
	s_or_b64 exec, exec, s[28:29]
	v_lshrrev_b64 v[4:5], 21, v[15:16]
	v_cmp_gt_i32_e32 vcc, 32, v1
	v_cndmask_b32_e32 v16, 0, v5, vcc
	v_cndmask_b32_e32 v15, 3, v4, vcc
	v_cmp_ne_u64_e32 vcc, 0, v[15:16]
	v_cmp_ne_u32_e64 s[28:29], 0, v1
	s_or_b64 s[28:29], s[28:29], vcc
                                        ; implicit-def: $vgpr20
	s_and_saveexec_b64 vcc, s[28:29]
	s_xor_b64 s[28:29], exec, vcc
; %bb.1640:                             ;   in Loop: Header=BB2_1454 Depth=4
	v_min_i32_e32 v1, 31, v1
	v_lshl_or_b32 v1, v1, 2, v30
	v_and_or_b32 v20, v15, 3, v1
                                        ; implicit-def: $vgpr30
; %bb.1641:                             ;   in Loop: Header=BB2_1454 Depth=4
	s_andn2_saveexec_b64 s[28:29], s[28:29]
; %bb.1642:                             ;   in Loop: Header=BB2_1454 Depth=4
	v_mov_b32_e32 v20, v30
; %bb.1643:                             ;   in Loop: Header=BB2_1454 Depth=4
	s_or_b64 exec, exec, s[28:29]
.LBB2_1644:                             ;   in Loop: Header=BB2_1454 Depth=4
	s_or_b64 exec, exec, s[38:39]
                                        ; implicit-def: $vgpr30
.LBB2_1645:                             ;   in Loop: Header=BB2_1454 Depth=4
	s_andn2_saveexec_b64 s[28:29], s[36:37]
; %bb.1646:                             ;   in Loop: Header=BB2_1454 Depth=4
	v_or_b32_e32 v20, 0x7b, v30
; %bb.1647:                             ;   in Loop: Header=BB2_1454 Depth=4
	s_or_b64 exec, exec, s[28:29]
                                        ; implicit-def: $vgpr1
.LBB2_1648:                             ;   in Loop: Header=BB2_1454 Depth=4
	s_andn2_saveexec_b64 s[28:29], s[34:35]
	s_cbranch_execz .LBB2_1654
; %bb.1649:                             ;   in Loop: Header=BB2_1454 Depth=4
	v_cmp_ne_u64_e32 vcc, 0, v[2:3]
                                        ; implicit-def: $vgpr20
	s_and_saveexec_b64 s[34:35], vcc
	s_xor_b64 vcc, exec, s[34:35]
; %bb.1650:                             ;   in Loop: Header=BB2_1454 Depth=4
	v_or_b32_sdwa v20, v1, s81 dst_sel:DWORD dst_unused:UNUSED_PAD src0_sel:BYTE_3 src1_sel:DWORD
                                        ; implicit-def: $vgpr1
; %bb.1651:                             ;   in Loop: Header=BB2_1454 Depth=4
	s_andn2_saveexec_b64 s[34:35], vcc
; %bb.1652:                             ;   in Loop: Header=BB2_1454 Depth=4
	v_cmp_lt_i32_e32 vcc, -1, v1
	v_cndmask_b32_e32 v20, -4, v49, vcc
; %bb.1653:                             ;   in Loop: Header=BB2_1454 Depth=4
	s_or_b64 exec, exec, s[34:35]
.LBB2_1654:                             ;   in Loop: Header=BB2_1454 Depth=4
	s_or_b64 exec, exec, s[28:29]
	v_cmp_ne_u16_e32 vcc, 0, v46
	v_mov_b32_e32 v1, 0
	v_mov_b32_e32 v2, 0
	s_and_saveexec_b64 s[28:29], vcc
	s_cbranch_execz .LBB2_1662
; %bb.1655:                             ;   in Loop: Header=BB2_1454 Depth=4
	v_cmp_ne_u16_e32 vcc, s70, v46
	v_bfrev_b32_e32 v2, 1
	s_and_saveexec_b64 s[34:35], vcc
	s_cbranch_execz .LBB2_1661
; %bb.1656:                             ;   in Loop: Header=BB2_1454 Depth=4
	v_and_b32_e32 v2, 0x7c, v46
	v_and_b32_e32 v4, 3, v46
	v_cmp_ne_u32_e32 vcc, s71, v2
                                        ; implicit-def: $vgpr2
	s_and_saveexec_b64 s[36:37], vcc
	s_xor_b64 s[36:37], exec, s[36:37]
	s_cbranch_execz .LBB2_1658
; %bb.1657:                             ;   in Loop: Header=BB2_1454 Depth=4
	v_ffbh_u32_e32 v5, v4
	v_min_u32_e32 v5, 32, v5
	v_and_b32_e32 v2, 0xff, v46
	v_mov_b32_e32 v47, v3
	v_subrev_u32_e32 v15, 29, v5
	v_bfe_u32 v2, v2, 2, 5
	v_lshlrev_b64 v[15:16], v15, v[46:47]
	v_sub_u32_e32 v5, 30, v5
	v_cmp_eq_u32_e32 vcc, 0, v2
	v_and_b32_e32 v15, 3, v15
	v_cndmask_b32_e32 v2, v2, v5, vcc
	v_and_b32_sdwa v5, sext(v46), s80 dst_sel:DWORD dst_unused:UNUSED_PAD src0_sel:WORD_0 src1_sel:DWORD
	v_cndmask_b32_e32 v4, v4, v15, vcc
	v_lshl_add_u32 v2, v2, 23, v5
	v_lshl_or_b32 v2, v4, 21, v2
	v_add_u32_e32 v2, 0x38000000, v2
                                        ; implicit-def: $vgpr4
                                        ; implicit-def: $vgpr46
.LBB2_1658:                             ;   in Loop: Header=BB2_1454 Depth=4
	s_andn2_saveexec_b64 s[36:37], s[36:37]
; %bb.1659:                             ;   in Loop: Header=BB2_1454 Depth=4
	v_cmp_lt_i16_e32 vcc, -1, v46
	v_cndmask_b32_e32 v2, v27, v6, vcc
	v_cmp_eq_u32_e32 vcc, 0, v4
	v_cndmask_b32_e32 v2, v7, v2, vcc
; %bb.1660:                             ;   in Loop: Header=BB2_1454 Depth=4
	s_or_b64 exec, exec, s[36:37]
.LBB2_1661:                             ;   in Loop: Header=BB2_1454 Depth=4
	s_or_b64 exec, exec, s[34:35]
.LBB2_1662:                             ;   in Loop: Header=BB2_1454 Depth=4
	s_or_b64 exec, exec, s[28:29]
	v_cmp_ne_u16_e32 vcc, 0, v45
	s_and_saveexec_b64 s[28:29], vcc
	s_cbranch_execz .LBB2_1670
; %bb.1663:                             ;   in Loop: Header=BB2_1454 Depth=4
	v_cmp_ne_u16_e32 vcc, s70, v45
	v_bfrev_b32_e32 v1, 1
	s_and_saveexec_b64 s[34:35], vcc
	s_cbranch_execz .LBB2_1669
; %bb.1664:                             ;   in Loop: Header=BB2_1454 Depth=4
	v_and_b32_e32 v1, 0x7c, v45
	v_and_b32_e32 v4, 3, v45
	v_cmp_ne_u32_e32 vcc, s71, v1
                                        ; implicit-def: $vgpr1
	s_and_saveexec_b64 s[36:37], vcc
	s_xor_b64 s[36:37], exec, s[36:37]
	s_cbranch_execz .LBB2_1666
; %bb.1665:                             ;   in Loop: Header=BB2_1454 Depth=4
	v_ffbh_u32_e32 v5, v4
	v_min_u32_e32 v5, 32, v5
	v_and_b32_e32 v1, 0xff, v45
	v_mov_b32_e32 v46, v3
	v_subrev_u32_e32 v15, 29, v5
	v_bfe_u32 v1, v1, 2, 5
	v_lshlrev_b64 v[15:16], v15, v[45:46]
	v_sub_u32_e32 v5, 30, v5
	v_cmp_eq_u32_e32 vcc, 0, v1
	v_and_b32_e32 v15, 3, v15
	v_cndmask_b32_e32 v1, v1, v5, vcc
	v_and_b32_sdwa v5, sext(v45), s80 dst_sel:DWORD dst_unused:UNUSED_PAD src0_sel:WORD_0 src1_sel:DWORD
	v_cndmask_b32_e32 v4, v4, v15, vcc
	v_lshl_add_u32 v1, v1, 23, v5
	v_lshl_or_b32 v1, v4, 21, v1
	v_add_u32_e32 v1, 0x38000000, v1
                                        ; implicit-def: $vgpr4
                                        ; implicit-def: $vgpr45
.LBB2_1666:                             ;   in Loop: Header=BB2_1454 Depth=4
	s_andn2_saveexec_b64 s[36:37], s[36:37]
; %bb.1667:                             ;   in Loop: Header=BB2_1454 Depth=4
	v_cmp_lt_i16_e32 vcc, -1, v45
	v_cndmask_b32_e32 v1, v27, v6, vcc
	v_cmp_eq_u32_e32 vcc, 0, v4
	v_cndmask_b32_e32 v1, v7, v1, vcc
; %bb.1668:                             ;   in Loop: Header=BB2_1454 Depth=4
	s_or_b64 exec, exec, s[36:37]
.LBB2_1669:                             ;   in Loop: Header=BB2_1454 Depth=4
	s_or_b64 exec, exec, s[34:35]
.LBB2_1670:                             ;   in Loop: Header=BB2_1454 Depth=4
	s_or_b64 exec, exec, s[28:29]
	v_mul_f32_e32 v1, v2, v1
	v_and_b32_e32 v4, 0x7f800000, v1
	v_mov_b32_e32 v5, v3
	v_cmp_ne_u64_e32 vcc, s[62:63], v[4:5]
	v_and_b32_e32 v2, 0x7fffff, v1
                                        ; implicit-def: $vgpr30
	s_and_saveexec_b64 s[28:29], vcc
	s_xor_b64 s[34:35], exec, s[28:29]
	s_cbranch_execz .LBB2_1688
; %bb.1671:                             ;   in Loop: Header=BB2_1454 Depth=4
	v_and_b32_e32 v4, 0x7fffffff, v1
	v_mov_b32_e32 v5, v3
	v_cmp_gt_u64_e32 vcc, s[78:79], v[4:5]
	v_and_b32_sdwa v31, v1, s82 dst_sel:DWORD dst_unused:UNUSED_PAD src0_sel:BYTE_3 src1_sel:DWORD
                                        ; implicit-def: $vgpr30
	s_and_saveexec_b64 s[28:29], vcc
	s_xor_b64 s[36:37], exec, s[28:29]
	s_cbranch_execz .LBB2_1685
; %bb.1672:                             ;   in Loop: Header=BB2_1454 Depth=4
	v_cmp_ne_u32_e32 vcc, 0, v1
	v_mov_b32_e32 v30, 0
	s_and_saveexec_b64 s[38:39], vcc
	s_cbranch_execz .LBB2_1684
; %bb.1673:                             ;   in Loop: Header=BB2_1454 Depth=4
	v_bfe_u32 v1, v1, 23, 8
	v_cmp_gt_u32_e64 s[28:29], s44, v1
	v_sub_u32_e32 v4, 0x71, v1
	v_cmp_eq_u32_e32 vcc, 0, v1
	v_cndmask_b32_e64 v4, 0, v4, s[28:29]
	v_mov_b32_e32 v15, 0x70
	v_cndmask_b32_e32 v30, v4, v15, vcc
	v_or_b32_e32 v5, 0x800000, v2
	v_add_u32_e32 v4, 21, v30
	v_cndmask_b32_e32 v2, v5, v2, vcc
	v_lshlrev_b64 v[4:5], v4, -1
	v_add_u32_e32 v15, 20, v30
	v_lshlrev_b64 v[15:16], v15, 1
	v_bfi_b32 v5, v5, 0, 0
	v_bfi_b32 v4, v4, 0, v2
	v_cmp_eq_u64_e64 s[28:29], v[4:5], v[15:16]
	v_lshrrev_b64 v[15:16], v30, v[2:3]
	v_mov_b32_e32 v4, v15
	v_mov_b32_e32 v5, v16
	s_and_saveexec_b64 s[48:49], s[28:29]
; %bb.1674:                             ;   in Loop: Header=BB2_1454 Depth=4
	v_bfe_u32 v2, v15, 21, 1
	v_add_co_u32_e64 v2, s[28:29], v15, v2
	v_add_co_u32_e64 v4, s[28:29], -1, v2
; %bb.1675:                             ;   in Loop: Header=BB2_1454 Depth=4
	s_or_b64 exec, exec, s[48:49]
	v_add_u32_e32 v1, 0xffffff81, v1
	v_mov_b32_e32 v2, 0xffffff82
	v_cndmask_b32_e32 v1, v1, v2, vcc
	v_lshrrev_b32_e32 v2, 23, v15
	v_add3_u32 v30, v30, v1, v2
	v_add_u32_e32 v5, 14, v30
	v_and_b32_e32 v1, 0x1fffff, v4
	v_add_u32_e32 v2, v1, v15
	v_cmp_ne_u32_e32 vcc, 0, v5
                                        ; implicit-def: $vgpr15_vgpr16
                                        ; implicit-def: $vgpr1
	s_and_saveexec_b64 s[28:29], vcc
	s_xor_b64 s[28:29], exec, s[28:29]
; %bb.1676:                             ;   in Loop: Header=BB2_1454 Depth=4
	v_cmp_lt_u64_e32 vcc, s[88:89], v[2:3]
	v_add_u32_e32 v1, 15, v30
	v_cndmask_b32_e64 v4, 0, 1, vcc
	v_lshrrev_b64 v[15:16], v4, v[2:3]
	v_cndmask_b32_e32 v1, v5, v1, vcc
; %bb.1677:                             ;   in Loop: Header=BB2_1454 Depth=4
	s_andn2_saveexec_b64 s[28:29], s[28:29]
; %bb.1678:                             ;   in Loop: Header=BB2_1454 Depth=4
	v_mov_b32_e32 v16, v3
	v_bfe_u32 v1, v2, 23, 1
	v_mov_b32_e32 v15, v2
; %bb.1679:                             ;   in Loop: Header=BB2_1454 Depth=4
	s_or_b64 exec, exec, s[28:29]
	v_lshrrev_b64 v[4:5], 21, v[15:16]
	v_cmp_gt_i32_e32 vcc, 32, v1
	v_cndmask_b32_e32 v16, 0, v5, vcc
	v_cndmask_b32_e32 v15, 3, v4, vcc
	v_cmp_ne_u64_e32 vcc, 0, v[15:16]
	v_cmp_ne_u32_e64 s[28:29], 0, v1
	s_or_b64 s[28:29], s[28:29], vcc
                                        ; implicit-def: $vgpr30
	s_and_saveexec_b64 vcc, s[28:29]
	s_xor_b64 s[28:29], exec, vcc
; %bb.1680:                             ;   in Loop: Header=BB2_1454 Depth=4
	v_min_i32_e32 v1, 31, v1
	v_lshl_or_b32 v1, v1, 2, v31
	v_and_or_b32 v30, v15, 3, v1
                                        ; implicit-def: $vgpr31
; %bb.1681:                             ;   in Loop: Header=BB2_1454 Depth=4
	s_andn2_saveexec_b64 s[28:29], s[28:29]
; %bb.1682:                             ;   in Loop: Header=BB2_1454 Depth=4
	v_mov_b32_e32 v30, v31
; %bb.1683:                             ;   in Loop: Header=BB2_1454 Depth=4
	s_or_b64 exec, exec, s[28:29]
.LBB2_1684:                             ;   in Loop: Header=BB2_1454 Depth=4
	s_or_b64 exec, exec, s[38:39]
                                        ; implicit-def: $vgpr31
.LBB2_1685:                             ;   in Loop: Header=BB2_1454 Depth=4
	s_andn2_saveexec_b64 s[28:29], s[36:37]
; %bb.1686:                             ;   in Loop: Header=BB2_1454 Depth=4
	v_or_b32_e32 v30, 0x7b, v31
; %bb.1687:                             ;   in Loop: Header=BB2_1454 Depth=4
	s_or_b64 exec, exec, s[28:29]
                                        ; implicit-def: $vgpr1
.LBB2_1688:                             ;   in Loop: Header=BB2_1454 Depth=4
	s_andn2_saveexec_b64 s[28:29], s[34:35]
	s_cbranch_execz .LBB2_1694
; %bb.1689:                             ;   in Loop: Header=BB2_1454 Depth=4
	v_cmp_ne_u64_e32 vcc, 0, v[2:3]
                                        ; implicit-def: $vgpr30
	s_and_saveexec_b64 s[34:35], vcc
	s_xor_b64 vcc, exec, s[34:35]
; %bb.1690:                             ;   in Loop: Header=BB2_1454 Depth=4
	v_or_b32_sdwa v30, v1, s81 dst_sel:DWORD dst_unused:UNUSED_PAD src0_sel:BYTE_3 src1_sel:DWORD
                                        ; implicit-def: $vgpr1
; %bb.1691:                             ;   in Loop: Header=BB2_1454 Depth=4
	s_andn2_saveexec_b64 s[34:35], vcc
; %bb.1692:                             ;   in Loop: Header=BB2_1454 Depth=4
	v_cmp_lt_i32_e32 vcc, -1, v1
	v_cndmask_b32_e32 v30, -4, v49, vcc
; %bb.1693:                             ;   in Loop: Header=BB2_1454 Depth=4
	s_or_b64 exec, exec, s[34:35]
.LBB2_1694:                             ;   in Loop: Header=BB2_1454 Depth=4
	s_or_b64 exec, exec, s[28:29]
	v_cmp_ne_u16_e32 vcc, 0, v44
	v_mov_b32_e32 v1, 0
	v_mov_b32_e32 v2, 0
	s_and_saveexec_b64 s[28:29], vcc
	s_cbranch_execz .LBB2_1702
; %bb.1695:                             ;   in Loop: Header=BB2_1454 Depth=4
	v_cmp_ne_u16_e32 vcc, s70, v44
	v_bfrev_b32_e32 v2, 1
	s_and_saveexec_b64 s[34:35], vcc
	s_cbranch_execz .LBB2_1701
; %bb.1696:                             ;   in Loop: Header=BB2_1454 Depth=4
	v_and_b32_e32 v2, 0x7c, v44
	v_and_b32_e32 v4, 3, v44
	v_cmp_ne_u32_e32 vcc, s71, v2
                                        ; implicit-def: $vgpr2
	s_and_saveexec_b64 s[36:37], vcc
	s_xor_b64 s[36:37], exec, s[36:37]
	s_cbranch_execz .LBB2_1698
; %bb.1697:                             ;   in Loop: Header=BB2_1454 Depth=4
	v_ffbh_u32_e32 v5, v4
	v_min_u32_e32 v5, 32, v5
	v_and_b32_e32 v2, 0xff, v44
	v_mov_b32_e32 v45, v3
	v_subrev_u32_e32 v15, 29, v5
	v_bfe_u32 v2, v2, 2, 5
	v_lshlrev_b64 v[15:16], v15, v[44:45]
	v_sub_u32_e32 v5, 30, v5
	v_cmp_eq_u32_e32 vcc, 0, v2
	v_and_b32_e32 v15, 3, v15
	v_cndmask_b32_e32 v2, v2, v5, vcc
	v_and_b32_sdwa v5, sext(v44), s80 dst_sel:DWORD dst_unused:UNUSED_PAD src0_sel:WORD_0 src1_sel:DWORD
	v_cndmask_b32_e32 v4, v4, v15, vcc
	v_lshl_add_u32 v2, v2, 23, v5
	v_lshl_or_b32 v2, v4, 21, v2
	v_add_u32_e32 v2, 0x38000000, v2
                                        ; implicit-def: $vgpr4
                                        ; implicit-def: $vgpr44
.LBB2_1698:                             ;   in Loop: Header=BB2_1454 Depth=4
	s_andn2_saveexec_b64 s[36:37], s[36:37]
; %bb.1699:                             ;   in Loop: Header=BB2_1454 Depth=4
	v_cmp_lt_i16_e32 vcc, -1, v44
	v_cndmask_b32_e32 v2, v27, v6, vcc
	v_cmp_eq_u32_e32 vcc, 0, v4
	v_cndmask_b32_e32 v2, v7, v2, vcc
; %bb.1700:                             ;   in Loop: Header=BB2_1454 Depth=4
	s_or_b64 exec, exec, s[36:37]
.LBB2_1701:                             ;   in Loop: Header=BB2_1454 Depth=4
	s_or_b64 exec, exec, s[34:35]
.LBB2_1702:                             ;   in Loop: Header=BB2_1454 Depth=4
	s_or_b64 exec, exec, s[28:29]
	v_cmp_ne_u16_e32 vcc, 0, v43
	s_and_saveexec_b64 s[28:29], vcc
	s_cbranch_execz .LBB2_1710
; %bb.1703:                             ;   in Loop: Header=BB2_1454 Depth=4
	v_cmp_ne_u16_e32 vcc, s70, v43
	v_bfrev_b32_e32 v1, 1
	s_and_saveexec_b64 s[34:35], vcc
	s_cbranch_execz .LBB2_1709
; %bb.1704:                             ;   in Loop: Header=BB2_1454 Depth=4
	v_and_b32_e32 v1, 0x7c, v43
	v_and_b32_e32 v4, 3, v43
	v_cmp_ne_u32_e32 vcc, s71, v1
                                        ; implicit-def: $vgpr1
	s_and_saveexec_b64 s[36:37], vcc
	s_xor_b64 s[36:37], exec, s[36:37]
	s_cbranch_execz .LBB2_1706
; %bb.1705:                             ;   in Loop: Header=BB2_1454 Depth=4
	v_ffbh_u32_e32 v5, v4
	v_min_u32_e32 v5, 32, v5
	v_and_b32_e32 v1, 0xff, v43
	v_mov_b32_e32 v44, v3
	v_subrev_u32_e32 v15, 29, v5
	v_bfe_u32 v1, v1, 2, 5
	v_lshlrev_b64 v[15:16], v15, v[43:44]
	v_sub_u32_e32 v5, 30, v5
	v_cmp_eq_u32_e32 vcc, 0, v1
	v_and_b32_e32 v15, 3, v15
	v_cndmask_b32_e32 v1, v1, v5, vcc
	v_and_b32_sdwa v5, sext(v43), s80 dst_sel:DWORD dst_unused:UNUSED_PAD src0_sel:WORD_0 src1_sel:DWORD
	v_cndmask_b32_e32 v4, v4, v15, vcc
	v_lshl_add_u32 v1, v1, 23, v5
	v_lshl_or_b32 v1, v4, 21, v1
	v_add_u32_e32 v1, 0x38000000, v1
                                        ; implicit-def: $vgpr4
                                        ; implicit-def: $vgpr43
.LBB2_1706:                             ;   in Loop: Header=BB2_1454 Depth=4
	s_andn2_saveexec_b64 s[36:37], s[36:37]
; %bb.1707:                             ;   in Loop: Header=BB2_1454 Depth=4
	v_cmp_lt_i16_e32 vcc, -1, v43
	v_cndmask_b32_e32 v1, v27, v6, vcc
	v_cmp_eq_u32_e32 vcc, 0, v4
	v_cndmask_b32_e32 v1, v7, v1, vcc
; %bb.1708:                             ;   in Loop: Header=BB2_1454 Depth=4
	s_or_b64 exec, exec, s[36:37]
.LBB2_1709:                             ;   in Loop: Header=BB2_1454 Depth=4
	s_or_b64 exec, exec, s[34:35]
.LBB2_1710:                             ;   in Loop: Header=BB2_1454 Depth=4
	s_or_b64 exec, exec, s[28:29]
	v_mul_f32_e32 v1, v2, v1
	v_and_b32_e32 v4, 0x7f800000, v1
	v_mov_b32_e32 v5, v3
	v_cmp_ne_u64_e32 vcc, s[62:63], v[4:5]
	v_and_b32_e32 v2, 0x7fffff, v1
                                        ; implicit-def: $vgpr16
	s_and_saveexec_b64 s[28:29], vcc
	s_xor_b64 s[34:35], exec, s[28:29]
	s_cbranch_execz .LBB2_1728
; %bb.1711:                             ;   in Loop: Header=BB2_1454 Depth=4
	v_and_b32_e32 v4, 0x7fffffff, v1
	v_mov_b32_e32 v5, v3
	v_cmp_gt_u64_e32 vcc, s[78:79], v[4:5]
	v_and_b32_sdwa v31, v1, s82 dst_sel:DWORD dst_unused:UNUSED_PAD src0_sel:BYTE_3 src1_sel:DWORD
                                        ; implicit-def: $vgpr16
	s_and_saveexec_b64 s[28:29], vcc
	s_xor_b64 s[36:37], exec, s[28:29]
	s_cbranch_execz .LBB2_1725
; %bb.1712:                             ;   in Loop: Header=BB2_1454 Depth=4
	v_cmp_ne_u32_e32 vcc, 0, v1
	v_mov_b32_e32 v16, 0
	s_and_saveexec_b64 s[38:39], vcc
	s_cbranch_execz .LBB2_1724
; %bb.1713:                             ;   in Loop: Header=BB2_1454 Depth=4
	v_bfe_u32 v1, v1, 23, 8
	v_cmp_gt_u32_e64 s[28:29], s44, v1
	v_sub_u32_e32 v4, 0x71, v1
	v_cmp_eq_u32_e32 vcc, 0, v1
	v_cndmask_b32_e64 v4, 0, v4, s[28:29]
	v_mov_b32_e32 v15, 0x70
	v_cndmask_b32_e32 v39, v4, v15, vcc
	v_or_b32_e32 v5, 0x800000, v2
	v_add_u32_e32 v4, 21, v39
	v_cndmask_b32_e32 v2, v5, v2, vcc
	v_lshlrev_b64 v[4:5], v4, -1
	v_add_u32_e32 v15, 20, v39
	v_lshlrev_b64 v[15:16], v15, 1
	v_bfi_b32 v5, v5, 0, 0
	v_bfi_b32 v4, v4, 0, v2
	v_cmp_eq_u64_e64 s[28:29], v[4:5], v[15:16]
	v_lshrrev_b64 v[15:16], v39, v[2:3]
	v_mov_b32_e32 v4, v15
	v_mov_b32_e32 v5, v16
	s_and_saveexec_b64 s[48:49], s[28:29]
; %bb.1714:                             ;   in Loop: Header=BB2_1454 Depth=4
	v_bfe_u32 v2, v15, 21, 1
	v_add_co_u32_e64 v2, s[28:29], v15, v2
	v_add_co_u32_e64 v4, s[28:29], -1, v2
; %bb.1715:                             ;   in Loop: Header=BB2_1454 Depth=4
	s_or_b64 exec, exec, s[48:49]
	v_add_u32_e32 v1, 0xffffff81, v1
	v_mov_b32_e32 v2, 0xffffff82
	v_cndmask_b32_e32 v1, v1, v2, vcc
	v_lshrrev_b32_e32 v2, 23, v15
	v_add3_u32 v39, v39, v1, v2
	v_add_u32_e32 v5, 14, v39
	v_and_b32_e32 v1, 0x1fffff, v4
	v_add_u32_e32 v2, v1, v15
	v_cmp_ne_u32_e32 vcc, 0, v5
                                        ; implicit-def: $vgpr15_vgpr16
                                        ; implicit-def: $vgpr1
	s_and_saveexec_b64 s[28:29], vcc
	s_xor_b64 s[28:29], exec, s[28:29]
; %bb.1716:                             ;   in Loop: Header=BB2_1454 Depth=4
	v_cmp_lt_u64_e32 vcc, s[88:89], v[2:3]
	v_add_u32_e32 v1, 15, v39
	v_cndmask_b32_e64 v4, 0, 1, vcc
	v_lshrrev_b64 v[15:16], v4, v[2:3]
	v_cndmask_b32_e32 v1, v5, v1, vcc
; %bb.1717:                             ;   in Loop: Header=BB2_1454 Depth=4
	s_andn2_saveexec_b64 s[28:29], s[28:29]
; %bb.1718:                             ;   in Loop: Header=BB2_1454 Depth=4
	v_mov_b32_e32 v16, v3
	v_bfe_u32 v1, v2, 23, 1
	v_mov_b32_e32 v15, v2
; %bb.1719:                             ;   in Loop: Header=BB2_1454 Depth=4
	s_or_b64 exec, exec, s[28:29]
	v_lshrrev_b64 v[4:5], 21, v[15:16]
	v_cmp_gt_i32_e32 vcc, 32, v1
	v_cndmask_b32_e32 v16, 0, v5, vcc
	v_cndmask_b32_e32 v15, 3, v4, vcc
	v_cmp_ne_u64_e32 vcc, 0, v[15:16]
	v_cmp_ne_u32_e64 s[28:29], 0, v1
	s_or_b64 s[28:29], s[28:29], vcc
                                        ; implicit-def: $vgpr16
	s_and_saveexec_b64 vcc, s[28:29]
	s_xor_b64 s[28:29], exec, vcc
; %bb.1720:                             ;   in Loop: Header=BB2_1454 Depth=4
	v_min_i32_e32 v1, 31, v1
	v_lshl_or_b32 v1, v1, 2, v31
	v_and_or_b32 v16, v15, 3, v1
                                        ; implicit-def: $vgpr31
; %bb.1721:                             ;   in Loop: Header=BB2_1454 Depth=4
	s_andn2_saveexec_b64 s[28:29], s[28:29]
; %bb.1722:                             ;   in Loop: Header=BB2_1454 Depth=4
	v_mov_b32_e32 v16, v31
; %bb.1723:                             ;   in Loop: Header=BB2_1454 Depth=4
	s_or_b64 exec, exec, s[28:29]
.LBB2_1724:                             ;   in Loop: Header=BB2_1454 Depth=4
	s_or_b64 exec, exec, s[38:39]
                                        ; implicit-def: $vgpr31
.LBB2_1725:                             ;   in Loop: Header=BB2_1454 Depth=4
	s_andn2_saveexec_b64 s[28:29], s[36:37]
; %bb.1726:                             ;   in Loop: Header=BB2_1454 Depth=4
	v_or_b32_e32 v16, 0x7b, v31
; %bb.1727:                             ;   in Loop: Header=BB2_1454 Depth=4
	s_or_b64 exec, exec, s[28:29]
                                        ; implicit-def: $vgpr1
.LBB2_1728:                             ;   in Loop: Header=BB2_1454 Depth=4
	s_andn2_saveexec_b64 s[28:29], s[34:35]
	s_cbranch_execz .LBB2_1734
; %bb.1729:                             ;   in Loop: Header=BB2_1454 Depth=4
	v_cmp_ne_u64_e32 vcc, 0, v[2:3]
                                        ; implicit-def: $vgpr16
	s_and_saveexec_b64 s[34:35], vcc
	s_xor_b64 vcc, exec, s[34:35]
; %bb.1730:                             ;   in Loop: Header=BB2_1454 Depth=4
	v_or_b32_sdwa v16, v1, s81 dst_sel:DWORD dst_unused:UNUSED_PAD src0_sel:BYTE_3 src1_sel:DWORD
                                        ; implicit-def: $vgpr1
; %bb.1731:                             ;   in Loop: Header=BB2_1454 Depth=4
	s_andn2_saveexec_b64 s[34:35], vcc
; %bb.1732:                             ;   in Loop: Header=BB2_1454 Depth=4
	v_cmp_lt_i32_e32 vcc, -1, v1
	v_cndmask_b32_e32 v16, -4, v49, vcc
; %bb.1733:                             ;   in Loop: Header=BB2_1454 Depth=4
	s_or_b64 exec, exec, s[34:35]
.LBB2_1734:                             ;   in Loop: Header=BB2_1454 Depth=4
	s_or_b64 exec, exec, s[28:29]
	v_cmp_ne_u16_e32 vcc, 0, v42
	v_mov_b32_e32 v1, 0
	v_mov_b32_e32 v2, 0
	s_and_saveexec_b64 s[28:29], vcc
	s_cbranch_execz .LBB2_1742
; %bb.1735:                             ;   in Loop: Header=BB2_1454 Depth=4
	v_cmp_ne_u16_e32 vcc, s70, v42
	v_bfrev_b32_e32 v2, 1
	s_and_saveexec_b64 s[34:35], vcc
	s_cbranch_execz .LBB2_1741
; %bb.1736:                             ;   in Loop: Header=BB2_1454 Depth=4
	v_and_b32_e32 v2, 0x7c, v42
	v_and_b32_e32 v4, 3, v42
	v_cmp_ne_u32_e32 vcc, s71, v2
                                        ; implicit-def: $vgpr2
	s_and_saveexec_b64 s[36:37], vcc
	s_xor_b64 s[36:37], exec, s[36:37]
	s_cbranch_execz .LBB2_1738
; %bb.1737:                             ;   in Loop: Header=BB2_1454 Depth=4
	v_ffbh_u32_e32 v5, v4
	v_min_u32_e32 v5, 32, v5
	v_and_b32_e32 v2, 0xff, v42
	v_mov_b32_e32 v43, v3
	v_subrev_u32_e32 v15, 29, v5
	v_bfe_u32 v2, v2, 2, 5
	v_lshlrev_b64 v[39:40], v15, v[42:43]
	v_sub_u32_e32 v5, 30, v5
	v_cmp_eq_u32_e32 vcc, 0, v2
	v_and_b32_e32 v15, 3, v39
	v_cndmask_b32_e32 v2, v2, v5, vcc
	v_and_b32_sdwa v5, sext(v42), s80 dst_sel:DWORD dst_unused:UNUSED_PAD src0_sel:WORD_0 src1_sel:DWORD
	v_cndmask_b32_e32 v4, v4, v15, vcc
	v_lshl_add_u32 v2, v2, 23, v5
	v_lshl_or_b32 v2, v4, 21, v2
	v_add_u32_e32 v2, 0x38000000, v2
                                        ; implicit-def: $vgpr4
                                        ; implicit-def: $vgpr42
.LBB2_1738:                             ;   in Loop: Header=BB2_1454 Depth=4
	s_andn2_saveexec_b64 s[36:37], s[36:37]
; %bb.1739:                             ;   in Loop: Header=BB2_1454 Depth=4
	v_cmp_lt_i16_e32 vcc, -1, v42
	v_cndmask_b32_e32 v2, v27, v6, vcc
	v_cmp_eq_u32_e32 vcc, 0, v4
	v_cndmask_b32_e32 v2, v7, v2, vcc
; %bb.1740:                             ;   in Loop: Header=BB2_1454 Depth=4
	s_or_b64 exec, exec, s[36:37]
.LBB2_1741:                             ;   in Loop: Header=BB2_1454 Depth=4
	s_or_b64 exec, exec, s[34:35]
.LBB2_1742:                             ;   in Loop: Header=BB2_1454 Depth=4
	s_or_b64 exec, exec, s[28:29]
	v_cmp_ne_u16_e32 vcc, 0, v14
	s_and_saveexec_b64 s[28:29], vcc
	s_cbranch_execz .LBB2_1750
; %bb.1743:                             ;   in Loop: Header=BB2_1454 Depth=4
	v_cmp_ne_u16_e32 vcc, s70, v14
	v_bfrev_b32_e32 v1, 1
	s_and_saveexec_b64 s[34:35], vcc
	s_cbranch_execz .LBB2_1749
; %bb.1744:                             ;   in Loop: Header=BB2_1454 Depth=4
	v_and_b32_e32 v1, 0x7c, v14
	v_and_b32_e32 v4, 3, v14
	v_cmp_ne_u32_e32 vcc, s71, v1
                                        ; implicit-def: $vgpr1
	s_and_saveexec_b64 s[36:37], vcc
	s_xor_b64 s[36:37], exec, s[36:37]
	s_cbranch_execz .LBB2_1746
; %bb.1745:                             ;   in Loop: Header=BB2_1454 Depth=4
	v_ffbh_u32_e32 v5, v4
	v_min_u32_e32 v5, 32, v5
	v_and_b32_e32 v1, 0xff, v14
	v_mov_b32_e32 v15, v3
	v_subrev_u32_e32 v31, 29, v5
	v_bfe_u32 v1, v1, 2, 5
	v_lshlrev_b64 v[39:40], v31, v[14:15]
	v_sub_u32_e32 v5, 30, v5
	v_cmp_eq_u32_e32 vcc, 0, v1
	v_and_b32_e32 v15, 3, v39
	v_cndmask_b32_e32 v1, v1, v5, vcc
	v_and_b32_sdwa v5, sext(v14), s80 dst_sel:DWORD dst_unused:UNUSED_PAD src0_sel:WORD_0 src1_sel:DWORD
	v_cndmask_b32_e32 v4, v4, v15, vcc
	v_lshl_add_u32 v1, v1, 23, v5
	v_lshl_or_b32 v1, v4, 21, v1
	v_add_u32_e32 v1, 0x38000000, v1
                                        ; implicit-def: $vgpr4
                                        ; implicit-def: $vgpr14
.LBB2_1746:                             ;   in Loop: Header=BB2_1454 Depth=4
	s_andn2_saveexec_b64 s[36:37], s[36:37]
; %bb.1747:                             ;   in Loop: Header=BB2_1454 Depth=4
	v_cmp_lt_i16_e32 vcc, -1, v14
	v_cndmask_b32_e32 v1, v27, v6, vcc
	v_cmp_eq_u32_e32 vcc, 0, v4
	v_cndmask_b32_e32 v1, v7, v1, vcc
; %bb.1748:                             ;   in Loop: Header=BB2_1454 Depth=4
	s_or_b64 exec, exec, s[36:37]
.LBB2_1749:                             ;   in Loop: Header=BB2_1454 Depth=4
	s_or_b64 exec, exec, s[34:35]
.LBB2_1750:                             ;   in Loop: Header=BB2_1454 Depth=4
	s_or_b64 exec, exec, s[28:29]
	v_mul_f32_e32 v1, v2, v1
	v_and_b32_e32 v4, 0x7f800000, v1
	v_mov_b32_e32 v5, v3
	v_cmp_ne_u64_e32 vcc, s[62:63], v[4:5]
	v_and_b32_e32 v2, 0x7fffff, v1
                                        ; implicit-def: $vgpr4
	s_and_saveexec_b64 s[28:29], vcc
	s_xor_b64 s[34:35], exec, s[28:29]
	s_cbranch_execz .LBB2_1768
; %bb.1751:                             ;   in Loop: Header=BB2_1454 Depth=4
	v_and_b32_e32 v4, 0x7fffffff, v1
	v_mov_b32_e32 v5, v3
	v_cmp_gt_u64_e32 vcc, s[78:79], v[4:5]
	v_and_b32_sdwa v31, v1, s82 dst_sel:DWORD dst_unused:UNUSED_PAD src0_sel:BYTE_3 src1_sel:DWORD
                                        ; implicit-def: $vgpr4
	s_and_saveexec_b64 s[28:29], vcc
	s_xor_b64 s[36:37], exec, s[28:29]
	s_cbranch_execz .LBB2_1765
; %bb.1752:                             ;   in Loop: Header=BB2_1454 Depth=4
	v_cmp_ne_u32_e32 vcc, 0, v1
	v_mov_b32_e32 v4, 0
	s_and_saveexec_b64 s[38:39], vcc
	s_cbranch_execz .LBB2_1764
; %bb.1753:                             ;   in Loop: Header=BB2_1454 Depth=4
	v_bfe_u32 v1, v1, 23, 8
	v_cmp_gt_u32_e64 s[28:29], s44, v1
	v_sub_u32_e32 v4, 0x71, v1
	v_cmp_eq_u32_e32 vcc, 0, v1
	v_cndmask_b32_e64 v4, 0, v4, s[28:29]
	v_mov_b32_e32 v14, 0x70
	v_cndmask_b32_e32 v39, v4, v14, vcc
	v_or_b32_e32 v5, 0x800000, v2
	v_add_u32_e32 v4, 21, v39
	v_cndmask_b32_e32 v2, v5, v2, vcc
	v_lshlrev_b64 v[4:5], v4, -1
	v_add_u32_e32 v14, 20, v39
	v_lshlrev_b64 v[14:15], v14, 1
	v_bfi_b32 v5, v5, 0, 0
	v_bfi_b32 v4, v4, 0, v2
	v_cmp_eq_u64_e64 s[28:29], v[4:5], v[14:15]
	v_lshrrev_b64 v[14:15], v39, v[2:3]
	v_mov_b32_e32 v4, v14
	v_mov_b32_e32 v5, v15
	s_and_saveexec_b64 s[48:49], s[28:29]
; %bb.1754:                             ;   in Loop: Header=BB2_1454 Depth=4
	v_bfe_u32 v2, v14, 21, 1
	v_add_co_u32_e64 v2, s[28:29], v14, v2
	v_add_co_u32_e64 v4, s[28:29], -1, v2
; %bb.1755:                             ;   in Loop: Header=BB2_1454 Depth=4
	s_or_b64 exec, exec, s[48:49]
	v_add_u32_e32 v1, 0xffffff81, v1
	v_mov_b32_e32 v2, 0xffffff82
	v_cndmask_b32_e32 v1, v1, v2, vcc
	v_lshrrev_b32_e32 v2, 23, v14
	v_add3_u32 v39, v39, v1, v2
	v_add_u32_e32 v5, 14, v39
	v_and_b32_e32 v1, 0x1fffff, v4
	v_add_u32_e32 v2, v1, v14
	v_cmp_ne_u32_e32 vcc, 0, v5
                                        ; implicit-def: $vgpr14_vgpr15
                                        ; implicit-def: $vgpr1
	s_and_saveexec_b64 s[28:29], vcc
	s_xor_b64 s[28:29], exec, s[28:29]
; %bb.1756:                             ;   in Loop: Header=BB2_1454 Depth=4
	v_cmp_lt_u64_e32 vcc, s[88:89], v[2:3]
	v_add_u32_e32 v1, 15, v39
	v_cndmask_b32_e64 v4, 0, 1, vcc
	v_lshrrev_b64 v[14:15], v4, v[2:3]
	v_cndmask_b32_e32 v1, v5, v1, vcc
; %bb.1757:                             ;   in Loop: Header=BB2_1454 Depth=4
	s_andn2_saveexec_b64 s[28:29], s[28:29]
; %bb.1758:                             ;   in Loop: Header=BB2_1454 Depth=4
	v_mov_b32_e32 v15, v3
	v_bfe_u32 v1, v2, 23, 1
	v_mov_b32_e32 v14, v2
; %bb.1759:                             ;   in Loop: Header=BB2_1454 Depth=4
	s_or_b64 exec, exec, s[28:29]
	v_lshrrev_b64 v[4:5], 21, v[14:15]
	v_cmp_gt_i32_e32 vcc, 32, v1
	v_cndmask_b32_e32 v15, 0, v5, vcc
	v_cndmask_b32_e32 v14, 3, v4, vcc
	v_cmp_ne_u64_e32 vcc, 0, v[14:15]
	v_cmp_ne_u32_e64 s[28:29], 0, v1
	s_or_b64 s[28:29], s[28:29], vcc
                                        ; implicit-def: $vgpr4
	s_and_saveexec_b64 vcc, s[28:29]
	s_xor_b64 s[28:29], exec, vcc
; %bb.1760:                             ;   in Loop: Header=BB2_1454 Depth=4
	v_min_i32_e32 v1, 31, v1
	v_lshl_or_b32 v1, v1, 2, v31
	v_and_or_b32 v4, v14, 3, v1
                                        ; implicit-def: $vgpr31
; %bb.1761:                             ;   in Loop: Header=BB2_1454 Depth=4
	s_andn2_saveexec_b64 s[28:29], s[28:29]
; %bb.1762:                             ;   in Loop: Header=BB2_1454 Depth=4
	v_mov_b32_e32 v4, v31
; %bb.1763:                             ;   in Loop: Header=BB2_1454 Depth=4
	s_or_b64 exec, exec, s[28:29]
.LBB2_1764:                             ;   in Loop: Header=BB2_1454 Depth=4
	s_or_b64 exec, exec, s[38:39]
                                        ; implicit-def: $vgpr31
.LBB2_1765:                             ;   in Loop: Header=BB2_1454 Depth=4
	s_andn2_saveexec_b64 s[28:29], s[36:37]
; %bb.1766:                             ;   in Loop: Header=BB2_1454 Depth=4
	v_or_b32_e32 v4, 0x7b, v31
; %bb.1767:                             ;   in Loop: Header=BB2_1454 Depth=4
	s_or_b64 exec, exec, s[28:29]
                                        ; implicit-def: $vgpr1
.LBB2_1768:                             ;   in Loop: Header=BB2_1454 Depth=4
	s_andn2_saveexec_b64 s[28:29], s[34:35]
	s_cbranch_execz .LBB2_1453
; %bb.1769:                             ;   in Loop: Header=BB2_1454 Depth=4
	v_cmp_ne_u64_e32 vcc, 0, v[2:3]
                                        ; implicit-def: $vgpr4
	s_and_saveexec_b64 s[34:35], vcc
	s_xor_b64 vcc, exec, s[34:35]
; %bb.1770:                             ;   in Loop: Header=BB2_1454 Depth=4
	v_or_b32_sdwa v4, v1, s81 dst_sel:DWORD dst_unused:UNUSED_PAD src0_sel:BYTE_3 src1_sel:DWORD
                                        ; implicit-def: $vgpr1
; %bb.1771:                             ;   in Loop: Header=BB2_1454 Depth=4
	s_andn2_saveexec_b64 s[34:35], vcc
	s_cbranch_execz .LBB2_1452
; %bb.1772:                             ;   in Loop: Header=BB2_1454 Depth=4
	v_cmp_lt_i32_e32 vcc, -1, v1
	v_cndmask_b32_e32 v4, -4, v49, vcc
	s_branch .LBB2_1452
.LBB2_1773:                             ;   in Loop: Header=BB2_274 Depth=3
	s_or_b64 exec, exec, s[30:31]
	buffer_load_dword v47, off, s[0:3], s33 offset:168 ; 4-byte Folded Reload
	buffer_load_dword v56, off, s[0:3], s33 offset:172 ; 4-byte Folded Reload
	;; [unrolled: 1-line block ×7, first 2 shown]
.LBB2_1774:                             ;   in Loop: Header=BB2_274 Depth=3
	s_or_b64 exec, exec, s[42:43]
	v_lshlrev_b32_e32 v1, 9, v41
	v_cmp_ne_u32_e32 vcc, v24, v1
	s_and_b64 exec, exec, vcc
	s_cbranch_execz .LBB2_1818
; %bb.1775:                             ;   in Loop: Header=BB2_274 Depth=3
	s_waitcnt vmcnt(0)
	v_add_u32_e32 v2, v25, v2
	v_and_b32_e32 v2, 0xffffffc0, v2
	v_sub_u32_e32 v2, v25, v2
	v_lshlrev_b32_e32 v4, 6, v61
	v_sub_u32_e32 v2, v2, v4
	v_add_u32_e32 v1, v1, v2
	v_sub_u32_e32 v16, v24, v1
	v_cmp_lt_i32_e32 vcc, 0, v16
	s_and_b64 exec, exec, vcc
	s_cbranch_execz .LBB2_1818
; %bb.1776:                             ;   in Loop: Header=BB2_274 Depth=3
	s_trap 2
	ds_read_b128 v[8:11], v0
	v_add_u32_e32 v4, v1, v17
	ds_read_b64 v[1:2], v0
	v_ashrrev_i32_e32 v5, 31, v4
	s_mov_b64 s[42:43], 0
	s_waitcnt lgkmcnt(0)
	v_add_co_u32_e32 v8, vcc, v8, v4
	v_addc_co_u32_e32 v9, vcc, v9, v5, vcc
	v_add_co_u32_e32 v10, vcc, v10, v4
	v_addc_co_u32_e32 v11, vcc, v11, v5, vcc
	;; [unrolled: 2-line block ×3, first 2 shown]
	s_branch .LBB2_1779
.LBB2_1777:                             ;   in Loop: Header=BB2_1779 Depth=4
	s_or_b64 exec, exec, s[30:31]
.LBB2_1778:                             ;   in Loop: Header=BB2_1779 Depth=4
	s_or_b64 exec, exec, s[28:29]
	v_add_co_u32_e32 v8, vcc, v8, v46
	v_addc_co_u32_e32 v9, vcc, 0, v9, vcc
	v_add_co_u32_e32 v10, vcc, v10, v46
	v_addc_co_u32_e32 v11, vcc, 0, v11, vcc
	v_sub_u32_e32 v16, v16, v46
	v_cmp_gt_i32_e32 vcc, 1, v16
	flat_store_byte v[12:13], v1 glc slc
	s_or_b64 s[42:43], vcc, s[42:43]
	v_add_co_u32_e32 v12, vcc, v12, v46
	v_addc_co_u32_e32 v13, vcc, 0, v13, vcc
	s_andn2_b64 exec, exec, s[42:43]
	s_cbranch_execz .LBB2_1818
.LBB2_1779:                             ;   Parent Loop BB2_47 Depth=1
                                        ;     Parent Loop BB2_271 Depth=2
                                        ;       Parent Loop BB2_274 Depth=3
                                        ; =>      This Inner Loop Header: Depth=4
	flat_load_sbyte v2, v[8:9] glc slc
	flat_load_sbyte v14, v[10:11] glc slc
	v_mov_b32_e32 v1, 0
	v_mov_b32_e32 v4, 0
	s_waitcnt vmcnt(0) lgkmcnt(0)
	v_cmp_ne_u16_e32 vcc, 0, v2
	s_and_saveexec_b64 s[28:29], vcc
	s_cbranch_execz .LBB2_1787
; %bb.1780:                             ;   in Loop: Header=BB2_1779 Depth=4
	v_cmp_ne_u16_e32 vcc, s70, v2
	v_bfrev_b32_e32 v4, 1
	s_and_saveexec_b64 s[30:31], vcc
	s_cbranch_execz .LBB2_1786
; %bb.1781:                             ;   in Loop: Header=BB2_1779 Depth=4
	v_and_b32_e32 v4, 0x7c, v2
	v_and_b32_e32 v5, 3, v2
	v_cmp_ne_u32_e32 vcc, s71, v4
                                        ; implicit-def: $vgpr4
	s_and_saveexec_b64 s[34:35], vcc
	s_xor_b64 s[34:35], exec, s[34:35]
	s_cbranch_execz .LBB2_1783
; %bb.1782:                             ;   in Loop: Header=BB2_1779 Depth=4
	v_ffbh_u32_e32 v15, v5
	v_min_u32_e32 v15, 32, v15
	v_and_b32_e32 v4, 0xff, v2
	v_subrev_u32_e32 v17, 29, v15
	v_bfe_u32 v4, v4, 2, 5
	v_lshlrev_b64 v[17:18], v17, v[2:3]
	v_sub_u32_e32 v15, 30, v15
	v_cmp_eq_u32_e32 vcc, 0, v4
	v_and_b32_e32 v17, 3, v17
	v_cndmask_b32_e32 v4, v4, v15, vcc
	v_and_b32_sdwa v2, sext(v2), s80 dst_sel:DWORD dst_unused:UNUSED_PAD src0_sel:WORD_0 src1_sel:DWORD
	v_cndmask_b32_e32 v5, v5, v17, vcc
	v_lshl_add_u32 v2, v4, 23, v2
	v_lshl_or_b32 v2, v5, 21, v2
	v_add_u32_e32 v4, 0x38000000, v2
                                        ; implicit-def: $vgpr5
.LBB2_1783:                             ;   in Loop: Header=BB2_1779 Depth=4
	s_andn2_saveexec_b64 s[34:35], s[34:35]
; %bb.1784:                             ;   in Loop: Header=BB2_1779 Depth=4
	v_cmp_lt_i16_e32 vcc, -1, v2
	v_cndmask_b32_e32 v2, v27, v6, vcc
	v_cmp_eq_u32_e32 vcc, 0, v5
	v_cndmask_b32_e32 v4, v7, v2, vcc
; %bb.1785:                             ;   in Loop: Header=BB2_1779 Depth=4
	s_or_b64 exec, exec, s[34:35]
.LBB2_1786:                             ;   in Loop: Header=BB2_1779 Depth=4
	s_or_b64 exec, exec, s[30:31]
.LBB2_1787:                             ;   in Loop: Header=BB2_1779 Depth=4
	s_or_b64 exec, exec, s[28:29]
	v_cmp_ne_u16_e32 vcc, 0, v14
	s_and_saveexec_b64 s[28:29], vcc
	s_cbranch_execz .LBB2_1795
; %bb.1788:                             ;   in Loop: Header=BB2_1779 Depth=4
	v_cmp_ne_u16_e32 vcc, s70, v14
	v_bfrev_b32_e32 v1, 1
	s_and_saveexec_b64 s[30:31], vcc
	s_cbranch_execz .LBB2_1794
; %bb.1789:                             ;   in Loop: Header=BB2_1779 Depth=4
	v_and_b32_e32 v1, 0x7c, v14
	v_and_b32_e32 v2, 3, v14
	v_cmp_ne_u32_e32 vcc, s71, v1
                                        ; implicit-def: $vgpr1
	s_and_saveexec_b64 s[34:35], vcc
	s_xor_b64 s[34:35], exec, s[34:35]
	s_cbranch_execz .LBB2_1791
; %bb.1790:                             ;   in Loop: Header=BB2_1779 Depth=4
	v_ffbh_u32_e32 v17, v2
	v_min_u32_e32 v17, 32, v17
	v_and_b32_e32 v1, 0xff, v14
	v_mov_b32_e32 v15, v3
	v_subrev_u32_e32 v18, 29, v17
	v_bfe_u32 v1, v1, 2, 5
	v_and_b32_sdwa v5, sext(v14), s80 dst_sel:DWORD dst_unused:UNUSED_PAD src0_sel:WORD_0 src1_sel:DWORD
	v_lshlrev_b64 v[14:15], v18, v[14:15]
	v_sub_u32_e32 v15, 30, v17
	v_cmp_eq_u32_e32 vcc, 0, v1
	v_and_b32_e32 v14, 3, v14
	v_cndmask_b32_e32 v1, v1, v15, vcc
	v_cndmask_b32_e32 v2, v2, v14, vcc
	v_lshl_add_u32 v1, v1, 23, v5
	v_lshl_or_b32 v1, v2, 21, v1
	v_add_u32_e32 v1, 0x38000000, v1
                                        ; implicit-def: $vgpr14
                                        ; implicit-def: $vgpr2
.LBB2_1791:                             ;   in Loop: Header=BB2_1779 Depth=4
	s_andn2_saveexec_b64 s[34:35], s[34:35]
; %bb.1792:                             ;   in Loop: Header=BB2_1779 Depth=4
	v_cmp_lt_i16_e32 vcc, -1, v14
	v_cndmask_b32_e32 v1, v27, v6, vcc
	v_cmp_eq_u32_e32 vcc, 0, v2
	v_cndmask_b32_e32 v1, v7, v1, vcc
; %bb.1793:                             ;   in Loop: Header=BB2_1779 Depth=4
	s_or_b64 exec, exec, s[34:35]
.LBB2_1794:                             ;   in Loop: Header=BB2_1779 Depth=4
	s_or_b64 exec, exec, s[30:31]
.LBB2_1795:                             ;   in Loop: Header=BB2_1779 Depth=4
	s_or_b64 exec, exec, s[28:29]
	v_mul_f32_e32 v4, v4, v1
	v_and_b32_e32 v1, 0x7f800000, v4
	v_mov_b32_e32 v2, v3
	v_cmp_ne_u64_e32 vcc, s[62:63], v[1:2]
	v_and_b32_e32 v2, 0x7fffff, v4
                                        ; implicit-def: $vgpr1
	s_and_saveexec_b64 s[28:29], vcc
	s_xor_b64 s[30:31], exec, s[28:29]
	s_cbranch_execz .LBB2_1813
; %bb.1796:                             ;   in Loop: Header=BB2_1779 Depth=4
	v_and_b32_e32 v14, 0x7fffffff, v4
	v_mov_b32_e32 v15, v3
	v_cmp_gt_u64_e32 vcc, s[78:79], v[14:15]
	v_and_b32_sdwa v17, v4, s82 dst_sel:DWORD dst_unused:UNUSED_PAD src0_sel:BYTE_3 src1_sel:DWORD
                                        ; implicit-def: $vgpr1
	s_and_saveexec_b64 s[28:29], vcc
	s_xor_b64 s[34:35], exec, s[28:29]
	s_cbranch_execz .LBB2_1810
; %bb.1797:                             ;   in Loop: Header=BB2_1779 Depth=4
	v_cmp_ne_u32_e32 vcc, 0, v4
	v_mov_b32_e32 v1, 0
	s_and_saveexec_b64 s[36:37], vcc
	s_cbranch_execz .LBB2_1809
; %bb.1798:                             ;   in Loop: Header=BB2_1779 Depth=4
	v_bfe_u32 v1, v4, 23, 8
	v_cmp_gt_u32_e64 s[28:29], s44, v1
	v_sub_u32_e32 v4, 0x71, v1
	v_cmp_eq_u32_e32 vcc, 0, v1
	v_cndmask_b32_e64 v4, 0, v4, s[28:29]
	v_mov_b32_e32 v14, 0x70
	v_cndmask_b32_e32 v18, v4, v14, vcc
	v_or_b32_e32 v5, 0x800000, v2
	v_add_u32_e32 v4, 21, v18
	v_cndmask_b32_e32 v2, v5, v2, vcc
	v_lshlrev_b64 v[4:5], v4, -1
	v_add_u32_e32 v14, 20, v18
	v_lshlrev_b64 v[14:15], v14, 1
	v_bfi_b32 v5, v5, 0, 0
	v_bfi_b32 v4, v4, 0, v2
	v_cmp_eq_u64_e64 s[28:29], v[4:5], v[14:15]
	v_lshrrev_b64 v[14:15], v18, v[2:3]
	v_mov_b32_e32 v4, v14
	v_mov_b32_e32 v5, v15
	s_and_saveexec_b64 s[38:39], s[28:29]
; %bb.1799:                             ;   in Loop: Header=BB2_1779 Depth=4
	v_bfe_u32 v2, v14, 21, 1
	v_add_co_u32_e64 v2, s[28:29], v14, v2
	v_add_co_u32_e64 v4, s[28:29], -1, v2
; %bb.1800:                             ;   in Loop: Header=BB2_1779 Depth=4
	s_or_b64 exec, exec, s[38:39]
	v_add_u32_e32 v1, 0xffffff81, v1
	v_mov_b32_e32 v2, 0xffffff82
	v_cndmask_b32_e32 v1, v1, v2, vcc
	v_lshrrev_b32_e32 v2, 23, v14
	v_add3_u32 v5, v18, v1, v2
	v_add_u32_e32 v1, 14, v5
	v_and_b32_e32 v2, 0x1fffff, v4
	v_add_u32_e32 v2, v2, v14
	v_cmp_ne_u32_e32 vcc, 0, v1
                                        ; implicit-def: $vgpr14_vgpr15
                                        ; implicit-def: $vgpr4
	s_and_saveexec_b64 s[28:29], vcc
	s_xor_b64 s[28:29], exec, s[28:29]
; %bb.1801:                             ;   in Loop: Header=BB2_1779 Depth=4
	v_cmp_lt_u64_e32 vcc, s[88:89], v[2:3]
	v_add_u32_e32 v4, 15, v5
	v_cndmask_b32_e32 v4, v1, v4, vcc
	v_cndmask_b32_e64 v1, 0, 1, vcc
	v_lshrrev_b64 v[14:15], v1, v[2:3]
; %bb.1802:                             ;   in Loop: Header=BB2_1779 Depth=4
	s_andn2_saveexec_b64 s[28:29], s[28:29]
; %bb.1803:                             ;   in Loop: Header=BB2_1779 Depth=4
	v_mov_b32_e32 v15, v3
	v_bfe_u32 v4, v2, 23, 1
	v_mov_b32_e32 v14, v2
; %bb.1804:                             ;   in Loop: Header=BB2_1779 Depth=4
	s_or_b64 exec, exec, s[28:29]
	v_lshrrev_b64 v[1:2], 21, v[14:15]
	v_cmp_gt_i32_e32 vcc, 32, v4
	v_cndmask_b32_e32 v15, 0, v2, vcc
	v_cndmask_b32_e32 v14, 3, v1, vcc
	v_cmp_ne_u64_e32 vcc, 0, v[14:15]
	v_cmp_ne_u32_e64 s[28:29], 0, v4
	s_or_b64 s[28:29], s[28:29], vcc
                                        ; implicit-def: $vgpr1
	s_and_saveexec_b64 vcc, s[28:29]
	s_xor_b64 s[28:29], exec, vcc
; %bb.1805:                             ;   in Loop: Header=BB2_1779 Depth=4
	v_min_i32_e32 v1, 31, v4
	v_lshl_or_b32 v1, v1, 2, v17
	v_and_or_b32 v1, v14, 3, v1
                                        ; implicit-def: $vgpr17
; %bb.1806:                             ;   in Loop: Header=BB2_1779 Depth=4
	s_andn2_saveexec_b64 s[28:29], s[28:29]
; %bb.1807:                             ;   in Loop: Header=BB2_1779 Depth=4
	v_mov_b32_e32 v1, v17
; %bb.1808:                             ;   in Loop: Header=BB2_1779 Depth=4
	s_or_b64 exec, exec, s[28:29]
.LBB2_1809:                             ;   in Loop: Header=BB2_1779 Depth=4
	s_or_b64 exec, exec, s[36:37]
                                        ; implicit-def: $vgpr17
.LBB2_1810:                             ;   in Loop: Header=BB2_1779 Depth=4
	s_andn2_saveexec_b64 s[28:29], s[34:35]
; %bb.1811:                             ;   in Loop: Header=BB2_1779 Depth=4
	v_or_b32_e32 v1, 0x7b, v17
; %bb.1812:                             ;   in Loop: Header=BB2_1779 Depth=4
	s_or_b64 exec, exec, s[28:29]
                                        ; implicit-def: $vgpr4
.LBB2_1813:                             ;   in Loop: Header=BB2_1779 Depth=4
	s_andn2_saveexec_b64 s[28:29], s[30:31]
	s_cbranch_execz .LBB2_1778
; %bb.1814:                             ;   in Loop: Header=BB2_1779 Depth=4
	v_cmp_ne_u64_e32 vcc, 0, v[2:3]
                                        ; implicit-def: $vgpr1
	s_and_saveexec_b64 s[30:31], vcc
	s_xor_b64 vcc, exec, s[30:31]
; %bb.1815:                             ;   in Loop: Header=BB2_1779 Depth=4
	v_or_b32_sdwa v1, v4, s81 dst_sel:DWORD dst_unused:UNUSED_PAD src0_sel:BYTE_3 src1_sel:DWORD
                                        ; implicit-def: $vgpr4
; %bb.1816:                             ;   in Loop: Header=BB2_1779 Depth=4
	s_andn2_saveexec_b64 s[30:31], vcc
	s_cbranch_execz .LBB2_1777
; %bb.1817:                             ;   in Loop: Header=BB2_1779 Depth=4
	v_cmp_lt_i32_e32 vcc, -1, v4
	v_cndmask_b32_e32 v1, -4, v49, vcc
	s_branch .LBB2_1777
.LBB2_1818:                             ;   in Loop: Header=BB2_274 Depth=3
	s_or_b64 exec, exec, s[40:41]
	v_cmp_lt_i32_e64 s[28:29], 0, v60
	s_and_saveexec_b64 s[40:41], s[10:11]
	s_cbranch_execz .LBB2_1837
.LBB2_1819:                             ;   in Loop: Header=BB2_274 Depth=3
	s_and_saveexec_b64 s[42:43], s[58:59]
	s_xor_b64 s[42:43], exec, s[42:43]
	s_cbranch_execz .LBB2_1834
; %bb.1820:                             ;   in Loop: Header=BB2_274 Depth=3
	s_and_saveexec_b64 s[30:31], s[16:17]
	s_cbranch_execz .LBB2_1833
; %bb.1821:                             ;   in Loop: Header=BB2_274 Depth=3
	s_mov_b64 s[36:37], exec
	s_waitcnt vmcnt(0)
	v_mbcnt_lo_u32_b32 v1, s36, 0
	v_mbcnt_hi_u32_b32 v1, s37, v1
	v_cmp_eq_u32_e32 vcc, 0, v1
	s_waitcnt lgkmcnt(0)
	buffer_wbinvl1_vol
	s_and_saveexec_b64 s[34:35], vcc
	s_cbranch_execz .LBB2_1823
; %bb.1822:                             ;   in Loop: Header=BB2_274 Depth=3
	s_bcnt1_i32_b64 vcc_lo, s[36:37]
	v_mov_b32_e32 v2, vcc_lo
	ds_add_u64 v0, v[2:3]
	s_trap 2
.LBB2_1823:                             ;   in Loop: Header=BB2_274 Depth=3
	s_or_b64 exec, exec, s[34:35]
	s_trap 2
	ds_read_b64 v[1:2], v0
	s_waitcnt lgkmcnt(0)
	v_add_co_u32_e32 v28, vcc, v28, v35
	v_addc_co_u32_e32 v29, vcc, 0, v29, vcc
	v_cmp_lt_u64_e32 vcc, v[1:2], v[28:29]
	s_and_saveexec_b64 s[34:35], vcc
	s_cbranch_execz .LBB2_1832
; %bb.1824:                             ;   in Loop: Header=BB2_274 Depth=3
	s_mov_b32 s54, 0
	s_mov_b64 s[36:37], 0
                                        ; implicit-def: $sgpr38_sgpr39
                                        ; implicit-def: $sgpr48_sgpr49
	s_branch .LBB2_1826
.LBB2_1825:                             ;   in Loop: Header=BB2_1826 Depth=4
	s_or_b64 exec, exec, s[52:53]
	s_and_b64 vcc, exec, vcc
	s_or_b64 s[36:37], vcc, s[36:37]
	s_andn2_b64 vcc, s[38:39], exec
	s_and_b64 s[38:39], s[48:49], exec
	s_or_b64 s[38:39], vcc, s[38:39]
	s_andn2_b64 exec, exec, s[36:37]
	s_cbranch_execz .LBB2_1830
.LBB2_1826:                             ;   Parent Loop BB2_47 Depth=1
                                        ;     Parent Loop BB2_271 Depth=2
                                        ;       Parent Loop BB2_274 Depth=3
                                        ; =>      This Inner Loop Header: Depth=4
	s_add_i32 s54, s54, 1
	s_cmpk_lg_i32 s54, 0x2710
	s_cselect_b64 s[50:51], -1, 0
	s_and_b64 vcc, exec, s[50:51]
	s_cbranch_vccz .LBB2_1828
; %bb.1827:                             ;   in Loop: Header=BB2_1826 Depth=4
	s_mov_b64 vcc, -1
	s_or_b64 s[48:49], s[48:49], exec
	s_and_saveexec_b64 s[52:53], s[50:51]
	s_cbranch_execz .LBB2_1825
	s_branch .LBB2_1829
.LBB2_1828:                             ;   in Loop: Header=BB2_1826 Depth=4
	s_trap 2
	ds_read_b64 v[1:2], v0
	s_andn2_b64 s[50:51], s[50:51], exec
	s_mov_b32 s54, 0
	s_waitcnt lgkmcnt(0)
	flat_load_dword v1, v[1:2] glc
	s_waitcnt vmcnt(0) lgkmcnt(0)
	buffer_wbinvl1_vol
	v_cmp_eq_u32_e32 vcc, 0, v1
	s_and_b64 vcc, vcc, exec
	s_or_b64 s[50:51], s[50:51], vcc
	s_mov_b64 vcc, -1
	s_or_b64 s[48:49], s[48:49], exec
	s_and_saveexec_b64 s[52:53], s[50:51]
	s_cbranch_execz .LBB2_1825
.LBB2_1829:                             ;   in Loop: Header=BB2_1826 Depth=4
	s_sleep 1
	s_trap 2
	ds_read_b64 v[1:2], v0
	s_waitcnt lgkmcnt(0)
	s_andn2_b64 s[48:49], s[48:49], exec
	v_cmp_ge_u64_e32 vcc, v[1:2], v[28:29]
	s_orn2_b64 vcc, vcc, exec
	s_branch .LBB2_1825
.LBB2_1830:                             ;   in Loop: Header=BB2_274 Depth=3
	s_or_b64 exec, exec, s[36:37]
	s_and_saveexec_b64 vcc, s[38:39]
	s_xor_b64 vcc, exec, vcc
	s_cbranch_execz .LBB2_1832
; %bb.1831:                             ;   in Loop: Header=BB2_274 Depth=3
	v_mov_b32_e32 v1, 1
	ds_write_b32 v0, v1
	s_trap 2
.LBB2_1832:                             ;   in Loop: Header=BB2_274 Depth=3
	s_or_b64 exec, exec, s[34:35]
	;;#ASMSTART
	s_wakeup
	;;#ASMEND
.LBB2_1833:                             ;   in Loop: Header=BB2_274 Depth=3
	s_or_b64 exec, exec, s[30:31]
.LBB2_1834:                             ;   in Loop: Header=BB2_274 Depth=3
	s_andn2_saveexec_b64 s[42:43], s[42:43]
	s_cbranch_execz .LBB2_1836
; %bb.1835:                             ;   in Loop: Header=BB2_274 Depth=3
	s_waitcnt vmcnt(0) lgkmcnt(0)
	buffer_wbinvl1_vol
	s_barrier
.LBB2_1836:                             ;   in Loop: Header=BB2_274 Depth=3
	s_or_b64 exec, exec, s[42:43]
.LBB2_1837:                             ;   in Loop: Header=BB2_274 Depth=3
	s_or_b64 exec, exec, s[40:41]
	v_and_b32_e32 v4, 16, v38
	s_and_saveexec_b64 s[40:41], s[24:25]
	s_xor_b64 s[40:41], exec, s[40:41]
	s_cbranch_execz .LBB2_1841
; %bb.1838:                             ;   in Loop: Header=BB2_274 Depth=3
	s_waitcnt vmcnt(0)
	v_and_b32_e32 v1, 16, v38
	v_cmp_ne_u32_e32 vcc, 0, v1
	v_and_b32_e32 v4, 16, v38
	s_and_b64 s[42:43], vcc, s[28:29]
	s_and_saveexec_b64 s[28:29], s[42:43]
	s_cbranch_execz .LBB2_1840
; %bb.1839:                             ;   in Loop: Header=BB2_274 Depth=3
	v_mov_b32_e32 v4, 1
	s_waitcnt lgkmcnt(0)
	buffer_wbinvl1_vol
.LBB2_1840:                             ;   in Loop: Header=BB2_274 Depth=3
	s_or_b64 exec, exec, s[28:29]
.LBB2_1841:                             ;   in Loop: Header=BB2_274 Depth=3
	s_andn2_saveexec_b64 s[28:29], s[40:41]
	s_cbranch_execz .LBB2_1860
; %bb.1842:                             ;   in Loop: Header=BB2_274 Depth=3
	s_and_saveexec_b64 s[40:41], s[58:59]
	s_xor_b64 s[40:41], exec, s[40:41]
	s_cbranch_execz .LBB2_1857
; %bb.1843:                             ;   in Loop: Header=BB2_274 Depth=3
	s_and_saveexec_b64 s[42:43], s[16:17]
	s_cbranch_execz .LBB2_1856
; %bb.1844:                             ;   in Loop: Header=BB2_274 Depth=3
	s_mov_b64 s[34:35], exec
	s_waitcnt vmcnt(0)
	v_mbcnt_lo_u32_b32 v1, s34, 0
	v_mbcnt_hi_u32_b32 v1, s35, v1
	v_cmp_eq_u32_e32 vcc, 0, v1
	;;#ASMSTART
	s_waitcnt lgkmcnt(0) vmcnt(0)
	;;#ASMEND
	s_and_saveexec_b64 s[30:31], vcc
	s_cbranch_execz .LBB2_1846
; %bb.1845:                             ;   in Loop: Header=BB2_274 Depth=3
	s_bcnt1_i32_b64 vcc_lo, s[34:35]
	v_mov_b32_e32 v2, vcc_lo
	s_waitcnt lgkmcnt(0)
	ds_add_u64 v0, v[2:3]
	s_trap 2
.LBB2_1846:                             ;   in Loop: Header=BB2_274 Depth=3
	s_or_b64 exec, exec, s[30:31]
	s_trap 2
	ds_read_b64 v[1:2], v0
	s_waitcnt lgkmcnt(0)
	v_add_co_u32_e32 v28, vcc, v28, v35
	v_addc_co_u32_e32 v29, vcc, 0, v29, vcc
	v_cmp_lt_u64_e32 vcc, v[1:2], v[28:29]
	s_and_saveexec_b64 s[30:31], vcc
	s_cbranch_execz .LBB2_1855
; %bb.1847:                             ;   in Loop: Header=BB2_274 Depth=3
	s_mov_b32 s52, 0
	s_mov_b64 s[34:35], 0
                                        ; implicit-def: $sgpr36_sgpr37
                                        ; implicit-def: $sgpr38_sgpr39
	s_branch .LBB2_1849
.LBB2_1848:                             ;   in Loop: Header=BB2_1849 Depth=4
	s_or_b64 exec, exec, s[50:51]
	s_and_b64 vcc, exec, vcc
	s_or_b64 s[34:35], vcc, s[34:35]
	s_andn2_b64 vcc, s[36:37], exec
	s_and_b64 s[36:37], s[38:39], exec
	s_or_b64 s[36:37], vcc, s[36:37]
	s_andn2_b64 exec, exec, s[34:35]
	s_cbranch_execz .LBB2_1853
.LBB2_1849:                             ;   Parent Loop BB2_47 Depth=1
                                        ;     Parent Loop BB2_271 Depth=2
                                        ;       Parent Loop BB2_274 Depth=3
                                        ; =>      This Inner Loop Header: Depth=4
	s_add_i32 s52, s52, 1
	s_cmpk_lg_i32 s52, 0x2710
	s_cselect_b64 s[48:49], -1, 0
	s_and_b64 vcc, exec, s[48:49]
	s_cbranch_vccz .LBB2_1851
; %bb.1850:                             ;   in Loop: Header=BB2_1849 Depth=4
	s_mov_b64 vcc, -1
	s_or_b64 s[38:39], s[38:39], exec
	s_and_saveexec_b64 s[50:51], s[48:49]
	s_cbranch_execz .LBB2_1848
	s_branch .LBB2_1852
.LBB2_1851:                             ;   in Loop: Header=BB2_1849 Depth=4
	s_trap 2
	ds_read_b64 v[1:2], v0
	s_andn2_b64 s[48:49], s[48:49], exec
	s_mov_b32 s52, 0
	s_waitcnt lgkmcnt(0)
	flat_load_dword v1, v[1:2] glc
	s_waitcnt vmcnt(0) lgkmcnt(0)
	buffer_wbinvl1_vol
	v_cmp_eq_u32_e32 vcc, 0, v1
	s_and_b64 vcc, vcc, exec
	s_or_b64 s[48:49], s[48:49], vcc
	s_mov_b64 vcc, -1
	s_or_b64 s[38:39], s[38:39], exec
	s_and_saveexec_b64 s[50:51], s[48:49]
	s_cbranch_execz .LBB2_1848
.LBB2_1852:                             ;   in Loop: Header=BB2_1849 Depth=4
	s_sleep 1
	s_trap 2
	ds_read_b64 v[1:2], v0
	s_waitcnt lgkmcnt(0)
	s_andn2_b64 s[38:39], s[38:39], exec
	v_cmp_ge_u64_e32 vcc, v[1:2], v[28:29]
	s_orn2_b64 vcc, vcc, exec
	s_branch .LBB2_1848
.LBB2_1853:                             ;   in Loop: Header=BB2_274 Depth=3
	s_or_b64 exec, exec, s[34:35]
	s_and_saveexec_b64 vcc, s[36:37]
	s_xor_b64 vcc, exec, vcc
	s_cbranch_execz .LBB2_1855
; %bb.1854:                             ;   in Loop: Header=BB2_274 Depth=3
	v_mov_b32_e32 v1, 1
	ds_write_b32 v0, v1
	s_trap 2
.LBB2_1855:                             ;   in Loop: Header=BB2_274 Depth=3
	s_or_b64 exec, exec, s[30:31]
	;;#ASMSTART
	s_wakeup
	;;#ASMEND
.LBB2_1856:                             ;   in Loop: Header=BB2_274 Depth=3
	s_or_b64 exec, exec, s[42:43]
.LBB2_1857:                             ;   in Loop: Header=BB2_274 Depth=3
	s_andn2_saveexec_b64 s[40:41], s[40:41]
	s_cbranch_execz .LBB2_1859
; %bb.1858:                             ;   in Loop: Header=BB2_274 Depth=3
	;;#ASMSTART
	s_waitcnt lgkmcnt(0) vmcnt(0)
	;;#ASMEND
	s_waitcnt vmcnt(0) lgkmcnt(0)
	s_barrier
.LBB2_1859:                             ;   in Loop: Header=BB2_274 Depth=3
	s_or_b64 exec, exec, s[40:41]
.LBB2_1860:                             ;   in Loop: Header=BB2_274 Depth=3
	s_or_b64 exec, exec, s[28:29]
	v_cmp_ne_u32_e32 vcc, 0, v4
	s_xor_b64 s[28:29], s[12:13], -1
	s_and_b64 s[40:41], vcc, s[28:29]
	s_and_saveexec_b64 s[28:29], s[40:41]
	s_cbranch_execz .LBB2_1862
; %bb.1861:                             ;   in Loop: Header=BB2_274 Depth=3
	buffer_load_dword v1, off, s[0:3], s33 offset:92 ; 4-byte Folded Reload
	buffer_load_dword v2, off, s[0:3], s33 offset:96 ; 4-byte Folded Reload
	v_mov_b32_e32 v4, 1
	s_waitcnt vmcnt(0)
	flat_store_dword v[1:2], v4
.LBB2_1862:                             ;   in Loop: Header=BB2_274 Depth=3
	s_or_b64 exec, exec, s[28:29]
	s_waitcnt vmcnt(0)
	v_and_b32_e32 v1, 48, v38
	v_cmp_ne_u32_e32 vcc, 0, v1
	s_and_saveexec_b64 s[28:29], vcc
	s_cbranch_execz .LBB2_273
; %bb.1863:                             ;   in Loop: Header=BB2_274 Depth=3
	v_add_co_u32_e32 v50, vcc, 2, v50
	v_addc_co_u32_e32 v51, vcc, 0, v51, vcc
	flat_store_dwordx2 v[22:23], v[50:51]
	s_branch .LBB2_273
.LBB2_1864:                             ;   in Loop: Header=BB2_271 Depth=2
	s_or_b64 exec, exec, s[92:93]
.LBB2_1865:                             ;   in Loop: Header=BB2_271 Depth=2
	s_or_b64 exec, exec, s[90:91]
	v_cmp_gt_i32_e32 vcc, 2, v1
	s_and_saveexec_b64 s[40:41], vcc
	s_cbranch_execz .LBB2_270
; %bb.1866:                             ;   in Loop: Header=BB2_271 Depth=2
	v_cmp_eq_u32_e64 s[90:91], 0, v1
	s_mov_b64 s[42:43], 0
	s_branch .LBB2_1868
.LBB2_1867:                             ;   in Loop: Header=BB2_1868 Depth=3
	s_or_b64 exec, exec, s[28:29]
	v_add_u32_e32 v37, v54, v37
	s_mov_b64 s[90:91], 0
	s_andn2_b64 exec, exec, s[42:43]
	s_cbranch_execz .LBB2_269
.LBB2_1868:                             ;   Parent Loop BB2_47 Depth=1
                                        ;     Parent Loop BB2_271 Depth=2
                                        ; =>    This Loop Header: Depth=3
                                        ;         Child Loop BB2_1874 Depth 4
                                        ;         Child Loop BB2_1902 Depth 4
	;; [unrolled: 1-line block ×3, first 2 shown]
	v_sub_u32_e32 v1, v36, v37
	v_min_i32_e32 v54, v54, v1
	v_and_b32_e32 v1, 12, v38
	v_cmp_ne_u32_e32 vcc, 0, v1
	s_and_saveexec_b64 s[92:93], vcc
	s_cbranch_execz .LBB2_1894
; %bb.1869:                             ;   in Loop: Header=BB2_1868 Depth=3
	v_and_b32_e32 v2, 8, v38
	s_waitcnt lgkmcnt(0)
	v_add_co_u32_e32 v4, vcc, v32, v2
	v_addc_co_u32_e32 v5, vcc, 0, v33, vcc
	v_add_co_u32_e32 v8, vcc, 2, v50
	v_addc_co_u32_e32 v9, vcc, 0, v51, vcc
	v_cmp_lt_u64_e32 vcc, v[4:5], v[8:9]
	s_and_saveexec_b64 s[94:95], vcc
	s_cbranch_execz .LBB2_1881
; %bb.1870:                             ;   in Loop: Header=BB2_1868 Depth=3
	v_and_b32_e32 v1, 64, v38
	s_mov_b32 s8, 0
	v_cmp_eq_u32_e32 vcc, 0, v1
	s_mov_b64 s[30:31], 0
                                        ; implicit-def: $sgpr34_sgpr35
                                        ; implicit-def: $sgpr36_sgpr37
                                        ; implicit-def: $sgpr38_sgpr39
	s_branch .LBB2_1874
.LBB2_1871:                             ;   in Loop: Header=BB2_1874 Depth=4
	s_waitcnt vmcnt(0) lgkmcnt(0)
	v_add_co_u32_e64 v4, s[28:29], v32, v2
	v_addc_co_u32_e64 v5, s[28:29], 0, v33, s[28:29]
	v_cmp_ge_u64_e64 s[28:29], v[4:5], v[8:9]
	s_or_b64 s[52:53], s[52:53], exec
	s_orn2_b64 s[50:51], s[28:29], exec
.LBB2_1872:                             ;   in Loop: Header=BB2_1874 Depth=4
	s_or_b64 exec, exec, s[64:65]
	s_andn2_b64 s[28:29], s[38:39], exec
	s_and_b64 s[38:39], s[52:53], exec
	s_or_b64 s[38:39], s[28:29], s[38:39]
	s_andn2_b64 s[28:29], s[36:37], exec
	s_and_b64 s[36:37], s[50:51], exec
	s_or_b64 s[36:37], s[28:29], s[36:37]
.LBB2_1873:                             ;   in Loop: Header=BB2_1874 Depth=4
	s_or_b64 exec, exec, s[48:49]
	s_and_b64 s[28:29], exec, s[36:37]
	s_or_b64 s[30:31], s[28:29], s[30:31]
	s_andn2_b64 s[28:29], s[34:35], exec
	s_and_b64 s[34:35], s[38:39], exec
	s_or_b64 s[34:35], s[28:29], s[34:35]
	s_andn2_b64 exec, exec, s[30:31]
	s_cbranch_execz .LBB2_1878
.LBB2_1874:                             ;   Parent Loop BB2_47 Depth=1
                                        ;     Parent Loop BB2_271 Depth=2
                                        ;       Parent Loop BB2_1868 Depth=3
                                        ; =>      This Inner Loop Header: Depth=4
	s_sleep 1
	s_waitcnt vmcnt(0) lgkmcnt(0)
	flat_load_dwordx2 v[32:33], v[22:23] glc
	s_or_b64 s[38:39], s[38:39], exec
	s_or_b64 s[36:37], s[36:37], exec
                                        ; implicit-def: $vgpr1
	s_and_saveexec_b64 s[48:49], vcc
	s_cbranch_execz .LBB2_1873
; %bb.1875:                             ;   in Loop: Header=BB2_1874 Depth=4
	s_cmpk_lt_i32 s8, 0x270f
	s_cselect_b64 s[54:55], -1, 0
	s_cmpk_gt_i32 s8, 0x270e
	s_mov_b64 s[50:51], -1
	s_cbranch_scc0 .LBB2_1877
; %bb.1876:                             ;   in Loop: Header=BB2_1874 Depth=4
	s_trap 2
	ds_read_b64 v[4:5], v0
	s_andn2_b64 s[54:55], s[54:55], exec
	s_mov_b32 s8, 0
	s_mov_b64 s[52:53], 0
	s_waitcnt vmcnt(0) lgkmcnt(0)
	flat_load_dword v1, v[4:5] glc
	s_waitcnt vmcnt(0) lgkmcnt(0)
	buffer_wbinvl1_vol
	v_cmp_eq_u32_e64 s[28:29], 0, v1
	s_and_b64 s[28:29], s[28:29], exec
	s_or_b64 s[54:55], s[54:55], s[28:29]
	s_and_saveexec_b64 s[64:65], s[54:55]
	s_cbranch_execz .LBB2_1872
	s_branch .LBB2_1871
.LBB2_1877:                             ;   in Loop: Header=BB2_1874 Depth=4
	s_add_i32 s8, s8, 1
	s_mov_b64 s[52:53], -1
                                        ; implicit-def: $vgpr1
	s_and_saveexec_b64 s[64:65], s[54:55]
	s_cbranch_execz .LBB2_1872
	s_branch .LBB2_1871
.LBB2_1878:                             ;   in Loop: Header=BB2_1868 Depth=3
	s_or_b64 exec, exec, s[30:31]
	s_xor_b64 s[28:29], s[34:35], -1
	s_and_saveexec_b64 vcc, s[28:29]
	s_xor_b64 s[28:29], exec, vcc
	s_cbranch_execz .LBB2_1880
; %bb.1879:                             ;   in Loop: Header=BB2_1868 Depth=3
	v_or_b32_e32 v38, 64, v38
	s_waitcnt lgkmcnt(0)
	ds_write_b32 v0, v1
	s_trap 2
.LBB2_1880:                             ;   in Loop: Header=BB2_1868 Depth=3
	s_or_b64 exec, exec, s[28:29]
.LBB2_1881:                             ;   in Loop: Header=BB2_1868 Depth=3
	s_or_b64 exec, exec, s[94:95]
	v_and_b32_e32 v1, 0x108, v38
	v_cmp_ne_u32_e32 vcc, s69, v1
	;;#ASMSTART
	s_wakeup
	;;#ASMEND
	s_and_saveexec_b64 s[28:29], vcc
	s_xor_b64 s[28:29], exec, s[28:29]
                                        ; implicit-def: $vgpr1
; %bb.1882:                             ;   in Loop: Header=BB2_1868 Depth=3
	v_and_b32_e32 v1, 7, v50
                                        ; implicit-def: $vgpr50_vgpr51
; %bb.1883:                             ;   in Loop: Header=BB2_1868 Depth=3
	s_andn2_saveexec_b64 s[28:29], s[28:29]
	s_cbranch_execz .LBB2_1885
; %bb.1884:                             ;   in Loop: Header=BB2_1868 Depth=3
	buffer_load_dword v10, off, s[0:3], s33 offset:76 ; 4-byte Folded Reload
	buffer_load_dword v11, off, s[0:3], s33 offset:80 ; 4-byte Folded Reload
	;; [unrolled: 1-line block ×4, first 2 shown]
	v_and_b32_e32 v1, 7, v50
	v_ashrrev_i32_e32 v55, 31, v54
	s_waitcnt vmcnt(0)
	v_mad_u64_u32 v[4:5], s[94:95], v1, 24, v[10:11]
	flat_store_dwordx2 v[4:5], v[54:55] offset:8
.LBB2_1885:                             ;   in Loop: Header=BB2_1868 Depth=3
	s_or_b64 exec, exec, s[28:29]
	v_and_b32_e32 v4, 0x100, v38
	v_cmp_ne_u32_e32 vcc, 0, v4
	s_mov_b64 s[28:29], -1
                                        ; implicit-def: $vgpr10_vgpr11
	s_and_saveexec_b64 s[94:95], vcc
	s_cbranch_execz .LBB2_1889
; %bb.1886:                             ;   in Loop: Header=BB2_1868 Depth=3
	buffer_load_dword v10, off, s[0:3], s33 offset:76 ; 4-byte Folded Reload
	buffer_load_dword v11, off, s[0:3], s33 offset:80 ; 4-byte Folded Reload
	;; [unrolled: 1-line block ×4, first 2 shown]
	s_waitcnt vmcnt(0)
	v_mad_u64_u32 v[4:5], s[28:29], v1, 24, v[10:11]
	v_mad_u64_u32 v[10:11], s[28:29], v3, 24, v[5:6]
	v_mov_b32_e32 v5, v10
	flat_load_dword v10, v[4:5]
	s_waitcnt vmcnt(0) lgkmcnt(0)
	v_cmp_ne_u32_e32 vcc, 1, v10
	v_cmp_eq_u32_e64 s[28:29], 1, v10
                                        ; implicit-def: $vgpr10_vgpr11
	s_and_saveexec_b64 s[30:31], s[28:29]
	s_cbranch_execz .LBB2_1888
; %bb.1887:                             ;   in Loop: Header=BB2_1868 Depth=3
	flat_load_dword v10, v[4:5] offset:4 glc
	s_waitcnt vmcnt(0) lgkmcnt(0)
	v_ashrrev_i32_e32 v11, 31, v10
.LBB2_1888:                             ;   in Loop: Header=BB2_1868 Depth=3
	s_or_b64 exec, exec, s[30:31]
	s_orn2_b64 s[28:29], vcc, exec
.LBB2_1889:                             ;   in Loop: Header=BB2_1868 Depth=3
	s_or_b64 exec, exec, s[94:95]
	s_and_saveexec_b64 s[94:95], s[28:29]
	s_cbranch_execz .LBB2_1891
; %bb.1890:                             ;   in Loop: Header=BB2_1868 Depth=3
	v_mul_lo_u32 v4, v3, v56
	v_mul_lo_u32 v5, v1, v43
	v_mad_u64_u32 v[10:11], s[28:29], v1, v56, 0
	v_add3_u32 v11, v11, v5, v4
.LBB2_1891:                             ;   in Loop: Header=BB2_1868 Depth=3
	s_or_b64 exec, exec, s[94:95]
	v_cmp_eq_u32_e32 vcc, 0, v2
	v_mov_b32_e32 v1, 0xc8
	v_mov_b32_e32 v2, 0x90
	v_cndmask_b32_e32 v4, v1, v2, vcc
	buffer_load_dword v1, off, s[0:3], s33 offset:68 ; 4-byte Folded Reload
	buffer_load_dword v2, off, s[0:3], s33 offset:72 ; 4-byte Folded Reload
	v_add_u32_e32 v4, v0, v4
	s_waitcnt vmcnt(0)
	v_add_co_u32_e32 v1, vcc, v1, v10
	v_addc_co_u32_e32 v2, vcc, v2, v11, vcc
	ds_write_b64 v4, v[1:2] offset:584
	v_and_b32_e32 v1, 0x2000, v38
	v_cmp_ne_u32_e32 vcc, 0, v1
	s_and_saveexec_b64 s[28:29], vcc
	s_cbranch_execz .LBB2_1893
; %bb.1892:                             ;   in Loop: Header=BB2_1868 Depth=3
	ds_read_b64 v[1:2], v0 offset:872
	s_waitcnt lgkmcnt(0)
	v_add_co_u32_e32 v1, vcc, 1, v1
	v_addc_co_u32_e32 v2, vcc, 0, v2, vcc
	ds_write_b64 v0, v[1:2] offset:872
.LBB2_1893:                             ;   in Loop: Header=BB2_1868 Depth=3
	s_or_b64 exec, exec, s[28:29]
	v_mov_b32_e32 v51, v9
	v_mov_b32_e32 v50, v8
.LBB2_1894:                             ;   in Loop: Header=BB2_1868 Depth=3
	s_or_b64 exec, exec, s[92:93]
	s_xor_b64 s[28:29], s[90:91], -1
	s_and_b64 s[28:29], exec, s[28:29]
	s_or_b64 s[42:43], s[28:29], s[42:43]
	s_and_saveexec_b64 s[28:29], s[10:11]
	s_cbranch_execz .LBB2_1913
; %bb.1895:                             ;   in Loop: Header=BB2_1868 Depth=3
	s_and_saveexec_b64 s[90:91], s[58:59]
	s_xor_b64 s[90:91], exec, s[90:91]
	s_cbranch_execz .LBB2_1910
; %bb.1896:                             ;   in Loop: Header=BB2_1868 Depth=3
	s_and_saveexec_b64 s[92:93], s[16:17]
	s_cbranch_execz .LBB2_1909
; %bb.1897:                             ;   in Loop: Header=BB2_1868 Depth=3
	s_mov_b64 s[30:31], exec
	v_mbcnt_lo_u32_b32 v1, s30, 0
	v_mbcnt_hi_u32_b32 v1, s31, v1
	v_cmp_eq_u32_e32 vcc, 0, v1
	s_waitcnt vmcnt(0) lgkmcnt(0)
	buffer_wbinvl1_vol
	s_and_saveexec_b64 s[94:95], vcc
	s_cbranch_execz .LBB2_1899
; %bb.1898:                             ;   in Loop: Header=BB2_1868 Depth=3
	s_bcnt1_i32_b64 s8, s[30:31]
	v_mov_b32_e32 v2, s8
	ds_add_u64 v0, v[2:3]
	s_trap 2
.LBB2_1899:                             ;   in Loop: Header=BB2_1868 Depth=3
	s_or_b64 exec, exec, s[94:95]
	s_trap 2
	ds_read_b64 v[1:2], v0
	s_waitcnt lgkmcnt(0)
	v_add_co_u32_e32 v28, vcc, v28, v35
	v_addc_co_u32_e32 v29, vcc, 0, v29, vcc
	v_cmp_lt_u64_e32 vcc, v[1:2], v[28:29]
	s_and_saveexec_b64 s[94:95], vcc
	s_cbranch_execz .LBB2_1908
; %bb.1900:                             ;   in Loop: Header=BB2_1868 Depth=3
	s_mov_b32 s8, 0
	s_mov_b64 s[30:31], 0
                                        ; implicit-def: $sgpr34_sgpr35
                                        ; implicit-def: $sgpr36_sgpr37
	s_branch .LBB2_1902
.LBB2_1901:                             ;   in Loop: Header=BB2_1902 Depth=4
	s_or_b64 exec, exec, s[48:49]
	s_and_b64 vcc, exec, vcc
	s_or_b64 s[30:31], vcc, s[30:31]
	s_andn2_b64 vcc, s[34:35], exec
	s_and_b64 s[34:35], s[36:37], exec
	s_or_b64 s[34:35], vcc, s[34:35]
	s_andn2_b64 exec, exec, s[30:31]
	s_cbranch_execz .LBB2_1906
.LBB2_1902:                             ;   Parent Loop BB2_47 Depth=1
                                        ;     Parent Loop BB2_271 Depth=2
                                        ;       Parent Loop BB2_1868 Depth=3
                                        ; =>      This Inner Loop Header: Depth=4
	s_add_i32 s8, s8, 1
	s_cmpk_lg_i32 s8, 0x2710
	s_cselect_b64 s[38:39], -1, 0
	s_and_b64 vcc, exec, s[38:39]
	s_cbranch_vccz .LBB2_1904
; %bb.1903:                             ;   in Loop: Header=BB2_1902 Depth=4
	s_mov_b64 vcc, -1
	s_or_b64 s[36:37], s[36:37], exec
	s_and_saveexec_b64 s[48:49], s[38:39]
	s_cbranch_execz .LBB2_1901
	s_branch .LBB2_1905
.LBB2_1904:                             ;   in Loop: Header=BB2_1902 Depth=4
	s_trap 2
	ds_read_b64 v[1:2], v0
	s_andn2_b64 s[38:39], s[38:39], exec
	s_mov_b32 s8, 0
	s_waitcnt lgkmcnt(0)
	flat_load_dword v1, v[1:2] glc
	s_waitcnt vmcnt(0) lgkmcnt(0)
	buffer_wbinvl1_vol
	v_cmp_eq_u32_e32 vcc, 0, v1
	s_and_b64 vcc, vcc, exec
	s_or_b64 s[38:39], s[38:39], vcc
	s_mov_b64 vcc, -1
	s_or_b64 s[36:37], s[36:37], exec
	s_and_saveexec_b64 s[48:49], s[38:39]
	s_cbranch_execz .LBB2_1901
.LBB2_1905:                             ;   in Loop: Header=BB2_1902 Depth=4
	s_sleep 1
	s_trap 2
	ds_read_b64 v[1:2], v0
	s_waitcnt lgkmcnt(0)
	s_andn2_b64 s[36:37], s[36:37], exec
	v_cmp_ge_u64_e32 vcc, v[1:2], v[28:29]
	s_orn2_b64 vcc, vcc, exec
	s_branch .LBB2_1901
.LBB2_1906:                             ;   in Loop: Header=BB2_1868 Depth=3
	s_or_b64 exec, exec, s[30:31]
	s_and_saveexec_b64 vcc, s[34:35]
	s_xor_b64 vcc, exec, vcc
	s_cbranch_execz .LBB2_1908
; %bb.1907:                             ;   in Loop: Header=BB2_1868 Depth=3
	v_mov_b32_e32 v1, 1
	ds_write_b32 v0, v1
	s_trap 2
.LBB2_1908:                             ;   in Loop: Header=BB2_1868 Depth=3
	s_or_b64 exec, exec, s[94:95]
	;;#ASMSTART
	s_wakeup
	;;#ASMEND
.LBB2_1909:                             ;   in Loop: Header=BB2_1868 Depth=3
	s_or_b64 exec, exec, s[92:93]
.LBB2_1910:                             ;   in Loop: Header=BB2_1868 Depth=3
	s_andn2_saveexec_b64 s[90:91], s[90:91]
	s_cbranch_execz .LBB2_1912
; %bb.1911:                             ;   in Loop: Header=BB2_1868 Depth=3
	s_waitcnt vmcnt(0) lgkmcnt(0)
	buffer_wbinvl1_vol
	s_barrier
.LBB2_1912:                             ;   in Loop: Header=BB2_1868 Depth=3
	s_or_b64 exec, exec, s[90:91]
.LBB2_1913:                             ;   in Loop: Header=BB2_1868 Depth=3
	s_or_b64 exec, exec, s[28:29]
                                        ; implicit-def: $vgpr1
	s_and_saveexec_b64 s[28:29], s[74:75]
	s_xor_b64 s[28:29], exec, s[28:29]
	s_cbranch_execz .LBB2_1925
; %bb.1914:                             ;   in Loop: Header=BB2_1868 Depth=3
	s_and_saveexec_b64 s[90:91], s[58:59]
	s_xor_b64 s[90:91], exec, s[90:91]
	s_cbranch_execz .LBB2_1930
; %bb.1915:                             ;   in Loop: Header=BB2_1868 Depth=3
	s_and_saveexec_b64 s[92:93], s[16:17]
	s_cbranch_execz .LBB2_1929
; %bb.1916:                             ;   in Loop: Header=BB2_1868 Depth=3
	s_mov_b64 s[30:31], exec
	v_mbcnt_lo_u32_b32 v1, s30, 0
	v_mbcnt_hi_u32_b32 v1, s31, v1
	v_cmp_eq_u32_e32 vcc, 0, v1
	;;#ASMSTART
	s_waitcnt lgkmcnt(0) vmcnt(0)
	;;#ASMEND
	s_and_saveexec_b64 s[94:95], vcc
	s_cbranch_execz .LBB2_1918
; %bb.1917:                             ;   in Loop: Header=BB2_1868 Depth=3
	s_bcnt1_i32_b64 s8, s[30:31]
	v_mov_b32_e32 v2, s8
	s_waitcnt lgkmcnt(0)
	ds_add_u64 v0, v[2:3]
	s_trap 2
.LBB2_1918:                             ;   in Loop: Header=BB2_1868 Depth=3
	s_or_b64 exec, exec, s[94:95]
	s_trap 2
	ds_read_b64 v[1:2], v0
	s_waitcnt lgkmcnt(0)
	v_add_co_u32_e32 v28, vcc, v28, v35
	v_addc_co_u32_e32 v29, vcc, 0, v29, vcc
	v_cmp_lt_u64_e32 vcc, v[1:2], v[28:29]
	s_and_saveexec_b64 s[94:95], vcc
	s_cbranch_execz .LBB2_1928
; %bb.1919:                             ;   in Loop: Header=BB2_1868 Depth=3
	s_mov_b32 s8, 0
	s_mov_b64 s[30:31], 0
                                        ; implicit-def: $sgpr34_sgpr35
                                        ; implicit-def: $sgpr36_sgpr37
	s_branch .LBB2_1921
.LBB2_1920:                             ;   in Loop: Header=BB2_1921 Depth=4
	s_or_b64 exec, exec, s[48:49]
	s_and_b64 vcc, exec, vcc
	s_or_b64 s[30:31], vcc, s[30:31]
	s_andn2_b64 vcc, s[34:35], exec
	s_and_b64 s[34:35], s[36:37], exec
	s_or_b64 s[34:35], vcc, s[34:35]
	s_andn2_b64 exec, exec, s[30:31]
	s_cbranch_execz .LBB2_1926
.LBB2_1921:                             ;   Parent Loop BB2_47 Depth=1
                                        ;     Parent Loop BB2_271 Depth=2
                                        ;       Parent Loop BB2_1868 Depth=3
                                        ; =>      This Inner Loop Header: Depth=4
	s_add_i32 s8, s8, 1
	s_cmpk_lg_i32 s8, 0x2710
	s_cselect_b64 s[38:39], -1, 0
	s_and_b64 vcc, exec, s[38:39]
	s_cbranch_vccz .LBB2_1923
; %bb.1922:                             ;   in Loop: Header=BB2_1921 Depth=4
	s_mov_b64 vcc, -1
	s_or_b64 s[36:37], s[36:37], exec
	s_and_saveexec_b64 s[48:49], s[38:39]
	s_cbranch_execz .LBB2_1920
	s_branch .LBB2_1924
.LBB2_1923:                             ;   in Loop: Header=BB2_1921 Depth=4
	s_trap 2
	ds_read_b64 v[1:2], v0
	s_andn2_b64 s[38:39], s[38:39], exec
	s_mov_b32 s8, 0
	s_waitcnt vmcnt(0) lgkmcnt(0)
	flat_load_dword v1, v[1:2] glc
	s_waitcnt vmcnt(0) lgkmcnt(0)
	buffer_wbinvl1_vol
	v_cmp_eq_u32_e32 vcc, 0, v1
	s_and_b64 vcc, vcc, exec
	s_or_b64 s[38:39], s[38:39], vcc
	s_mov_b64 vcc, -1
	s_or_b64 s[36:37], s[36:37], exec
	s_and_saveexec_b64 s[48:49], s[38:39]
	s_cbranch_execz .LBB2_1920
.LBB2_1924:                             ;   in Loop: Header=BB2_1921 Depth=4
	s_sleep 1
	s_trap 2
	ds_read_b64 v[1:2], v0
	s_waitcnt lgkmcnt(0)
	s_andn2_b64 s[36:37], s[36:37], exec
	v_cmp_ge_u64_e32 vcc, v[1:2], v[28:29]
	s_orn2_b64 vcc, vcc, exec
	s_branch .LBB2_1920
.LBB2_1925:                             ;   in Loop: Header=BB2_1868 Depth=3
	s_andn2_saveexec_b64 s[28:29], s[28:29]
	s_cbranch_execnz .LBB2_1933
	s_branch .LBB2_1936
.LBB2_1926:                             ;   in Loop: Header=BB2_1868 Depth=3
	s_or_b64 exec, exec, s[30:31]
	s_and_saveexec_b64 vcc, s[34:35]
	s_xor_b64 vcc, exec, vcc
	s_cbranch_execz .LBB2_1928
; %bb.1927:                             ;   in Loop: Header=BB2_1868 Depth=3
	v_mov_b32_e32 v1, 1
	ds_write_b32 v0, v1
	s_trap 2
.LBB2_1928:                             ;   in Loop: Header=BB2_1868 Depth=3
	s_or_b64 exec, exec, s[94:95]
	;;#ASMSTART
	s_wakeup
	;;#ASMEND
.LBB2_1929:                             ;   in Loop: Header=BB2_1868 Depth=3
	s_or_b64 exec, exec, s[92:93]
.LBB2_1930:                             ;   in Loop: Header=BB2_1868 Depth=3
	s_andn2_saveexec_b64 s[90:91], s[90:91]
	s_cbranch_execz .LBB2_1932
; %bb.1931:                             ;   in Loop: Header=BB2_1868 Depth=3
	;;#ASMSTART
	s_waitcnt lgkmcnt(0) vmcnt(0)
	;;#ASMEND
	s_waitcnt vmcnt(0) lgkmcnt(0)
	s_barrier
.LBB2_1932:                             ;   in Loop: Header=BB2_1868 Depth=3
	s_or_b64 exec, exec, s[90:91]
	v_and_b32_e32 v1, 16, v38
	s_andn2_saveexec_b64 s[28:29], s[28:29]
	s_cbranch_execz .LBB2_1936
.LBB2_1933:                             ;   in Loop: Header=BB2_1868 Depth=3
	s_trap 2
	ds_read_b32 v1, v0
	v_cmp_lt_i32_e32 vcc, 0, v54
	v_and_b32_e32 v2, 16, v38
	s_waitcnt lgkmcnt(0)
	v_readfirstlane_b32 s8, v1
	s_cmp_eq_u32 s8, 0
	s_cselect_b64 s[90:91], -1, 0
	s_and_b64 s[90:91], vcc, s[90:91]
	v_cmp_ne_u32_e32 vcc, 0, v2
	v_and_b32_e32 v1, 16, v38
	s_and_b64 s[92:93], vcc, s[90:91]
	s_and_saveexec_b64 s[90:91], s[92:93]
	s_cbranch_execz .LBB2_1935
; %bb.1934:                             ;   in Loop: Header=BB2_1868 Depth=3
	v_mov_b32_e32 v1, 1
	s_waitcnt vmcnt(0)
	buffer_wbinvl1_vol
.LBB2_1935:                             ;   in Loop: Header=BB2_1868 Depth=3
	s_or_b64 exec, exec, s[90:91]
.LBB2_1936:                             ;   in Loop: Header=BB2_1868 Depth=3
	s_or_b64 exec, exec, s[28:29]
	v_cmp_ne_u32_e32 vcc, 0, v1
	s_xor_b64 s[28:29], s[12:13], -1
	s_and_b64 s[90:91], vcc, s[28:29]
	s_and_saveexec_b64 s[28:29], s[90:91]
	s_cbranch_execz .LBB2_1938
; %bb.1937:                             ;   in Loop: Header=BB2_1868 Depth=3
	buffer_load_dword v1, off, s[0:3], s33 offset:92 ; 4-byte Folded Reload
	buffer_load_dword v2, off, s[0:3], s33 offset:96 ; 4-byte Folded Reload
	v_mov_b32_e32 v4, 1
	s_waitcnt vmcnt(0)
	flat_store_dword v[1:2], v4
.LBB2_1938:                             ;   in Loop: Header=BB2_1868 Depth=3
	s_or_b64 exec, exec, s[28:29]
	v_and_b32_e32 v1, 48, v38
	v_cmp_ne_u32_e32 vcc, 0, v1
	s_and_saveexec_b64 s[28:29], vcc
	s_cbranch_execz .LBB2_1867
; %bb.1939:                             ;   in Loop: Header=BB2_1868 Depth=3
	v_add_co_u32_e32 v50, vcc, 2, v50
	v_addc_co_u32_e32 v51, vcc, 0, v51, vcc
	flat_store_dwordx2 v[22:23], v[50:51]
	s_branch .LBB2_1867
.LBB2_1940:                             ;   in Loop: Header=BB2_47 Depth=1
	buffer_load_dword v4, off, s[0:3], s33 offset:208 ; 4-byte Folded Reload
	buffer_load_dword v5, off, s[0:3], s33 offset:212 ; 4-byte Folded Reload
	v_mov_b32_e32 v54, 0
	s_waitcnt vmcnt(0)
	v_mul_lo_u32 v2, v4, s67
	v_mul_lo_u32 v1, v5, s66
	v_mad_u64_u32 v[8:9], s[8:9], v4, s66, 0
	v_add3_u32 v9, v9, v2, v1
	buffer_load_dword v1, off, s[0:3], s33 offset:200 ; 4-byte Folded Reload
	buffer_load_dword v2, off, s[0:3], s33 offset:204 ; 4-byte Folded Reload
	s_waitcnt vmcnt(0)
	v_sub_co_u32_e32 v1, vcc, v1, v8
	v_subb_co_u32_e32 v2, vcc, v2, v9, vcc
	v_cmp_lt_i64_e32 vcc, v[4:5], v[1:2]
	v_cndmask_b32_e32 v2, v1, v4, vcc
	v_max_i32_e32 v45, 0, v2
	v_add_u32_e32 v4, 31, v45
	v_lshrrev_b32_e32 v4, 1, v4
	v_and_b32_e32 v4, 0x3ffffff0, v4
	v_cmp_lt_i32_e32 vcc, 0, v2
	v_mov_b32_e32 v1, 0
	v_max_i32_e32 v4, s96, v4
	s_and_b64 s[8:9], s[76:77], vcc
	buffer_store_dword v4, off, s[0:3], s33 offset:156 ; 4-byte Folded Spill
	s_nop 0
	buffer_store_dword v5, off, s[0:3], s33 offset:160 ; 4-byte Folded Spill
	s_and_saveexec_b64 s[90:91], s[8:9]
	s_cbranch_execz .LBB2_5019
; %bb.1941:                             ;   in Loop: Header=BB2_47 Depth=1
	buffer_load_dword v1, off, s[0:3], s33 offset:136 ; 4-byte Folded Reload
	s_mov_b32 s9, 1
	s_mov_b64 s[94:95], -1
	v_mov_b32_e32 v54, 0
	s_mov_b64 s[92:93], 0
	s_waitcnt vmcnt(0)
	v_add_co_u32_e32 v39, vcc, v8, v1
	buffer_load_dword v1, off, s[0:3], s33 offset:140 ; 4-byte Folded Reload
	s_waitcnt vmcnt(0)
	v_addc_co_u32_e32 v55, vcc, v9, v1, vcc
	buffer_store_dword v45, off, s[0:3], s33 offset:244 ; 4-byte Folded Spill
	buffer_store_dword v39, off, s[0:3], s33 offset:228 ; 4-byte Folded Spill
	;; [unrolled: 1-line block ×3, first 2 shown]
	s_branch .LBB2_1943
.LBB2_1942:                             ;   in Loop: Header=BB2_1943 Depth=2
	s_or_b64 exec, exec, s[28:29]
	buffer_load_dword v1, off, s[0:3], s33 offset:156 ; 4-byte Folded Reload
	buffer_load_dword v2, off, s[0:3], s33 offset:160 ; 4-byte Folded Reload
	s_xor_b64 s[28:29], s[94:95], -1
	s_mov_b64 s[94:95], 0
	s_waitcnt vmcnt(0)
	v_add_u32_e32 v54, v1, v54
	v_cmp_ge_i32_e32 vcc, v54, v45
	s_or_b64 s[28:29], s[28:29], vcc
	s_and_b64 s[28:29], exec, s[28:29]
	s_or_b64 s[92:93], s[28:29], s[92:93]
	v_mov_b32_e32 v1, s9
	s_mov_b32 s9, 2
	s_andn2_b64 exec, exec, s[92:93]
	s_cbranch_execz .LBB2_5018
.LBB2_1943:                             ;   Parent Loop BB2_47 Depth=1
                                        ; =>  This Loop Header: Depth=2
                                        ;       Child Loop BB2_1951 Depth 3
                                        ;       Child Loop BB2_1979 Depth 3
	;; [unrolled: 1-line block ×4, first 2 shown]
                                        ;         Child Loop BB2_2546 Depth 4
                                        ;       Child Loop BB2_2572 Depth 3
                                        ;         Child Loop BB2_3097 Depth 4
                                        ;       Child Loop BB2_3128 Depth 3
                                        ;       Child Loop BB2_3451 Depth 3
                                        ;         Child Loop BB2_3492 Depth 4
                                        ;       Child Loop BB2_3506 Depth 3
                                        ;       Child Loop BB2_4055 Depth 3
	;; [unrolled: 1-line block ×6, first 2 shown]
	s_and_saveexec_b64 s[28:29], s[4:5]
	s_cbranch_execz .LBB2_1945
; %bb.1944:                             ;   in Loop: Header=BB2_1943 Depth=2
	s_trap 2
	ds_read2_b64 v[8:11], v0 offset1:1
	v_ashrrev_i32_e32 v4, 31, v54
	s_waitcnt lgkmcnt(0)
	v_add_co_u32_e32 v1, vcc, v8, v39
	v_addc_co_u32_e32 v2, vcc, v9, v55, vcc
	v_add_co_u32_e32 v1, vcc, v1, v54
	v_addc_co_u32_e32 v2, vcc, v2, v4, vcc
	ds_write_b64 v0, v[1:2]
	v_add_co_u32_e32 v1, vcc, v10, v39
	v_addc_co_u32_e32 v2, vcc, v11, v55, vcc
	v_add_co_u32_e32 v1, vcc, v1, v54
	v_addc_co_u32_e32 v2, vcc, v2, v4, vcc
	ds_write_b64 v0, v[1:2]
	ds_read_b64 v[1:2], v0
	s_waitcnt lgkmcnt(0)
	v_add_co_u32_e32 v5, vcc, v1, v39
	v_addc_co_u32_e32 v8, vcc, v2, v55, vcc
	v_add_co_u32_e32 v5, vcc, v5, v54
	v_addc_co_u32_e32 v4, vcc, v8, v4, vcc
	v_cmp_ne_u64_e32 vcc, 0, v[1:2]
	v_cndmask_b32_e32 v2, 0, v4, vcc
	v_cndmask_b32_e32 v1, 0, v5, vcc
	ds_write_b64 v0, v[1:2]
.LBB2_1945:                             ;   in Loop: Header=BB2_1943 Depth=2
	s_or_b64 exec, exec, s[28:29]
	buffer_load_dword v4, off, s[0:3], s33 offset:156 ; 4-byte Folded Reload
	buffer_load_dword v5, off, s[0:3], s33 offset:160 ; 4-byte Folded Reload
	v_sub_u32_e32 v1, v45, v54
	s_waitcnt vmcnt(0)
	v_min_i32_e32 v4, v4, v1
	v_and_b32_e32 v1, 12, v38
	v_cmp_ne_u32_e32 vcc, 0, v1
	buffer_store_dword v4, off, s[0:3], s33 offset:156 ; 4-byte Folded Spill
	s_nop 0
	buffer_store_dword v5, off, s[0:3], s33 offset:160 ; 4-byte Folded Spill
	s_and_saveexec_b64 s[40:41], vcc
	s_cbranch_execz .LBB2_1971
; %bb.1946:                             ;   in Loop: Header=BB2_1943 Depth=2
	v_and_b32_e32 v2, 8, v38
	s_waitcnt lgkmcnt(0)
	v_add_co_u32_e32 v4, vcc, v32, v2
	v_addc_co_u32_e32 v5, vcc, 0, v33, vcc
	v_add_co_u32_e32 v8, vcc, 2, v50
	v_addc_co_u32_e32 v9, vcc, 0, v51, vcc
	v_cmp_lt_u64_e32 vcc, v[4:5], v[8:9]
	s_and_saveexec_b64 s[42:43], vcc
	s_cbranch_execz .LBB2_1958
; %bb.1947:                             ;   in Loop: Header=BB2_1943 Depth=2
	v_and_b32_e32 v1, 64, v38
	s_mov_b32 s8, 0
	v_cmp_eq_u32_e32 vcc, 0, v1
	s_mov_b64 s[30:31], 0
                                        ; implicit-def: $sgpr34_sgpr35
                                        ; implicit-def: $sgpr36_sgpr37
                                        ; implicit-def: $sgpr38_sgpr39
	s_branch .LBB2_1951
.LBB2_1948:                             ;   in Loop: Header=BB2_1951 Depth=3
	s_waitcnt vmcnt(0) lgkmcnt(0)
	v_add_co_u32_e64 v4, s[28:29], v32, v2
	v_addc_co_u32_e64 v5, s[28:29], 0, v33, s[28:29]
	v_cmp_ge_u64_e64 s[28:29], v[4:5], v[8:9]
	s_or_b64 s[52:53], s[52:53], exec
	s_orn2_b64 s[50:51], s[28:29], exec
.LBB2_1949:                             ;   in Loop: Header=BB2_1951 Depth=3
	s_or_b64 exec, exec, s[64:65]
	s_andn2_b64 s[28:29], s[38:39], exec
	s_and_b64 s[38:39], s[52:53], exec
	s_or_b64 s[38:39], s[28:29], s[38:39]
	s_andn2_b64 s[28:29], s[36:37], exec
	s_and_b64 s[36:37], s[50:51], exec
	s_or_b64 s[36:37], s[28:29], s[36:37]
.LBB2_1950:                             ;   in Loop: Header=BB2_1951 Depth=3
	s_or_b64 exec, exec, s[48:49]
	s_and_b64 s[28:29], exec, s[36:37]
	s_or_b64 s[30:31], s[28:29], s[30:31]
	s_andn2_b64 s[28:29], s[34:35], exec
	s_and_b64 s[34:35], s[38:39], exec
	s_or_b64 s[34:35], s[28:29], s[34:35]
	s_andn2_b64 exec, exec, s[30:31]
	s_cbranch_execz .LBB2_1955
.LBB2_1951:                             ;   Parent Loop BB2_47 Depth=1
                                        ;     Parent Loop BB2_1943 Depth=2
                                        ; =>    This Inner Loop Header: Depth=3
	s_sleep 1
	s_waitcnt vmcnt(0) lgkmcnt(0)
	flat_load_dwordx2 v[32:33], v[22:23] glc
	s_or_b64 s[38:39], s[38:39], exec
	s_or_b64 s[36:37], s[36:37], exec
                                        ; implicit-def: $vgpr1
	s_and_saveexec_b64 s[48:49], vcc
	s_cbranch_execz .LBB2_1950
; %bb.1952:                             ;   in Loop: Header=BB2_1951 Depth=3
	s_cmpk_lt_i32 s8, 0x270f
	s_cselect_b64 s[54:55], -1, 0
	s_cmpk_gt_i32 s8, 0x270e
	s_mov_b64 s[50:51], -1
	s_cbranch_scc0 .LBB2_1954
; %bb.1953:                             ;   in Loop: Header=BB2_1951 Depth=3
	s_trap 2
	ds_read_b64 v[4:5], v0
	s_andn2_b64 s[54:55], s[54:55], exec
	s_mov_b32 s8, 0
	s_mov_b64 s[52:53], 0
	s_waitcnt vmcnt(0) lgkmcnt(0)
	flat_load_dword v1, v[4:5] glc
	s_waitcnt vmcnt(0) lgkmcnt(0)
	buffer_wbinvl1_vol
	v_cmp_eq_u32_e64 s[28:29], 0, v1
	s_and_b64 s[28:29], s[28:29], exec
	s_or_b64 s[54:55], s[54:55], s[28:29]
	s_and_saveexec_b64 s[64:65], s[54:55]
	s_cbranch_execz .LBB2_1949
	s_branch .LBB2_1948
.LBB2_1954:                             ;   in Loop: Header=BB2_1951 Depth=3
	s_add_i32 s8, s8, 1
	s_mov_b64 s[52:53], -1
                                        ; implicit-def: $vgpr1
	s_and_saveexec_b64 s[64:65], s[54:55]
	s_cbranch_execz .LBB2_1949
	s_branch .LBB2_1948
.LBB2_1955:                             ;   in Loop: Header=BB2_1943 Depth=2
	s_or_b64 exec, exec, s[30:31]
	s_xor_b64 s[28:29], s[34:35], -1
	s_and_saveexec_b64 vcc, s[28:29]
	s_xor_b64 s[28:29], exec, vcc
	s_cbranch_execz .LBB2_1957
; %bb.1956:                             ;   in Loop: Header=BB2_1943 Depth=2
	v_or_b32_e32 v38, 64, v38
	s_waitcnt lgkmcnt(0)
	ds_write_b32 v0, v1
	s_trap 2
.LBB2_1957:                             ;   in Loop: Header=BB2_1943 Depth=2
	s_or_b64 exec, exec, s[28:29]
.LBB2_1958:                             ;   in Loop: Header=BB2_1943 Depth=2
	s_or_b64 exec, exec, s[42:43]
	v_and_b32_e32 v1, 0x108, v38
	v_cmp_ne_u32_e32 vcc, s69, v1
	;;#ASMSTART
	s_wakeup
	;;#ASMEND
	s_and_saveexec_b64 s[28:29], vcc
	s_xor_b64 s[28:29], exec, s[28:29]
                                        ; implicit-def: $vgpr1
; %bb.1959:                             ;   in Loop: Header=BB2_1943 Depth=2
	v_and_b32_e32 v1, 7, v50
                                        ; implicit-def: $vgpr50_vgpr51
; %bb.1960:                             ;   in Loop: Header=BB2_1943 Depth=2
	s_andn2_saveexec_b64 s[28:29], s[28:29]
	s_cbranch_execz .LBB2_1962
; %bb.1961:                             ;   in Loop: Header=BB2_1943 Depth=2
	buffer_load_dword v10, off, s[0:3], s33 offset:76 ; 4-byte Folded Reload
	buffer_load_dword v11, off, s[0:3], s33 offset:80 ; 4-byte Folded Reload
	;; [unrolled: 1-line block ×4, first 2 shown]
	v_and_b32_e32 v1, 7, v50
	s_waitcnt vmcnt(0)
	v_mad_u64_u32 v[4:5], s[42:43], v1, 24, v[10:11]
	buffer_load_dword v10, off, s[0:3], s33 offset:156 ; 4-byte Folded Reload
	buffer_load_dword v11, off, s[0:3], s33 offset:160 ; 4-byte Folded Reload
	s_waitcnt vmcnt(0)
	v_mov_b32_e32 v11, v10
	v_ashrrev_i32_e32 v12, 31, v11
	buffer_store_dword v10, off, s[0:3], s33 offset:156 ; 4-byte Folded Spill
	s_nop 0
	buffer_store_dword v11, off, s[0:3], s33 offset:160 ; 4-byte Folded Spill
	flat_store_dwordx2 v[4:5], v[11:12] offset:8
.LBB2_1962:                             ;   in Loop: Header=BB2_1943 Depth=2
	s_or_b64 exec, exec, s[28:29]
	v_and_b32_e32 v4, 0x100, v38
	v_cmp_ne_u32_e32 vcc, 0, v4
	s_mov_b64 s[28:29], -1
                                        ; implicit-def: $vgpr10_vgpr11
	s_and_saveexec_b64 s[42:43], vcc
	s_cbranch_execz .LBB2_1966
; %bb.1963:                             ;   in Loop: Header=BB2_1943 Depth=2
	buffer_load_dword v10, off, s[0:3], s33 offset:76 ; 4-byte Folded Reload
	buffer_load_dword v11, off, s[0:3], s33 offset:80 ; 4-byte Folded Reload
	;; [unrolled: 1-line block ×4, first 2 shown]
	s_waitcnt vmcnt(0)
	v_mad_u64_u32 v[4:5], s[28:29], v1, 24, v[10:11]
	v_mad_u64_u32 v[10:11], s[28:29], v3, 24, v[5:6]
	v_mov_b32_e32 v5, v10
	flat_load_dword v10, v[4:5]
	s_waitcnt vmcnt(0) lgkmcnt(0)
	v_cmp_ne_u32_e32 vcc, 1, v10
	v_cmp_eq_u32_e64 s[28:29], 1, v10
                                        ; implicit-def: $vgpr10_vgpr11
	s_and_saveexec_b64 s[30:31], s[28:29]
	s_cbranch_execz .LBB2_1965
; %bb.1964:                             ;   in Loop: Header=BB2_1943 Depth=2
	flat_load_dword v10, v[4:5] offset:4 glc
	s_waitcnt vmcnt(0) lgkmcnt(0)
	v_ashrrev_i32_e32 v11, 31, v10
.LBB2_1965:                             ;   in Loop: Header=BB2_1943 Depth=2
	s_or_b64 exec, exec, s[30:31]
	s_orn2_b64 s[28:29], vcc, exec
.LBB2_1966:                             ;   in Loop: Header=BB2_1943 Depth=2
	s_or_b64 exec, exec, s[42:43]
	s_and_saveexec_b64 s[42:43], s[28:29]
	s_cbranch_execz .LBB2_1968
; %bb.1967:                             ;   in Loop: Header=BB2_1943 Depth=2
	v_mul_lo_u32 v4, v3, v56
	v_mul_lo_u32 v5, v1, v43
	v_mad_u64_u32 v[10:11], s[28:29], v1, v56, 0
	v_add3_u32 v11, v11, v5, v4
.LBB2_1968:                             ;   in Loop: Header=BB2_1943 Depth=2
	s_or_b64 exec, exec, s[42:43]
	v_cmp_eq_u32_e32 vcc, 0, v2
	v_mov_b32_e32 v1, 0x90
	v_mov_b32_e32 v2, 0xd0
	v_cndmask_b32_e32 v4, v2, v1, vcc
	buffer_load_dword v1, off, s[0:3], s33 offset:68 ; 4-byte Folded Reload
	buffer_load_dword v2, off, s[0:3], s33 offset:72 ; 4-byte Folded Reload
	v_add_u32_e32 v4, v0, v4
	s_waitcnt vmcnt(0)
	v_add_co_u32_e32 v1, vcc, v1, v10
	v_addc_co_u32_e32 v2, vcc, v2, v11, vcc
	ds_write_b64 v4, v[1:2] offset:584
	v_and_b32_e32 v1, 0x2000, v38
	v_cmp_ne_u32_e32 vcc, 0, v1
	s_and_saveexec_b64 s[28:29], vcc
	s_cbranch_execz .LBB2_1970
; %bb.1969:                             ;   in Loop: Header=BB2_1943 Depth=2
	ds_read_b64 v[1:2], v0 offset:872
	s_waitcnt lgkmcnt(0)
	v_add_co_u32_e32 v1, vcc, 1, v1
	v_addc_co_u32_e32 v2, vcc, 0, v2, vcc
	ds_write_b64 v0, v[1:2] offset:872
.LBB2_1970:                             ;   in Loop: Header=BB2_1943 Depth=2
	s_or_b64 exec, exec, s[28:29]
	v_mov_b32_e32 v51, v9
	v_mov_b32_e32 v50, v8
.LBB2_1971:                             ;   in Loop: Header=BB2_1943 Depth=2
	s_or_b64 exec, exec, s[40:41]
	s_and_saveexec_b64 s[28:29], s[10:11]
	s_cbranch_execz .LBB2_1990
; %bb.1972:                             ;   in Loop: Header=BB2_1943 Depth=2
	s_and_saveexec_b64 s[40:41], s[58:59]
	s_xor_b64 s[40:41], exec, s[40:41]
	s_cbranch_execz .LBB2_1987
; %bb.1973:                             ;   in Loop: Header=BB2_1943 Depth=2
	s_and_saveexec_b64 s[42:43], s[16:17]
	s_cbranch_execz .LBB2_1986
; %bb.1974:                             ;   in Loop: Header=BB2_1943 Depth=2
	s_mov_b64 s[34:35], exec
	v_mbcnt_lo_u32_b32 v1, s34, 0
	v_mbcnt_hi_u32_b32 v1, s35, v1
	v_cmp_eq_u32_e32 vcc, 0, v1
	s_waitcnt vmcnt(0) lgkmcnt(0)
	buffer_wbinvl1_vol
	s_and_saveexec_b64 s[30:31], vcc
	s_cbranch_execz .LBB2_1976
; %bb.1975:                             ;   in Loop: Header=BB2_1943 Depth=2
	s_bcnt1_i32_b64 s8, s[34:35]
	v_mov_b32_e32 v2, s8
	ds_add_u64 v0, v[2:3]
	s_trap 2
.LBB2_1976:                             ;   in Loop: Header=BB2_1943 Depth=2
	s_or_b64 exec, exec, s[30:31]
	s_trap 2
	ds_read_b64 v[1:2], v0
	s_waitcnt lgkmcnt(0)
	v_add_co_u32_e32 v28, vcc, v28, v35
	v_addc_co_u32_e32 v29, vcc, 0, v29, vcc
	v_cmp_lt_u64_e32 vcc, v[1:2], v[28:29]
	s_and_saveexec_b64 s[30:31], vcc
	s_cbranch_execz .LBB2_1985
; %bb.1977:                             ;   in Loop: Header=BB2_1943 Depth=2
	s_mov_b32 s8, 0
	s_mov_b64 s[34:35], 0
                                        ; implicit-def: $sgpr36_sgpr37
                                        ; implicit-def: $sgpr38_sgpr39
	s_branch .LBB2_1979
.LBB2_1978:                             ;   in Loop: Header=BB2_1979 Depth=3
	s_or_b64 exec, exec, s[50:51]
	s_and_b64 vcc, exec, vcc
	s_or_b64 s[34:35], vcc, s[34:35]
	s_andn2_b64 vcc, s[36:37], exec
	s_and_b64 s[36:37], s[38:39], exec
	s_or_b64 s[36:37], vcc, s[36:37]
	s_andn2_b64 exec, exec, s[34:35]
	s_cbranch_execz .LBB2_1983
.LBB2_1979:                             ;   Parent Loop BB2_47 Depth=1
                                        ;     Parent Loop BB2_1943 Depth=2
                                        ; =>    This Inner Loop Header: Depth=3
	s_add_i32 s8, s8, 1
	s_cmpk_lg_i32 s8, 0x2710
	s_cselect_b64 s[48:49], -1, 0
	s_and_b64 vcc, exec, s[48:49]
	s_cbranch_vccz .LBB2_1981
; %bb.1980:                             ;   in Loop: Header=BB2_1979 Depth=3
	s_mov_b64 vcc, -1
	s_or_b64 s[38:39], s[38:39], exec
	s_and_saveexec_b64 s[50:51], s[48:49]
	s_cbranch_execz .LBB2_1978
	s_branch .LBB2_1982
.LBB2_1981:                             ;   in Loop: Header=BB2_1979 Depth=3
	s_trap 2
	ds_read_b64 v[1:2], v0
	s_andn2_b64 s[48:49], s[48:49], exec
	s_mov_b32 s8, 0
	s_waitcnt lgkmcnt(0)
	flat_load_dword v1, v[1:2] glc
	s_waitcnt vmcnt(0) lgkmcnt(0)
	buffer_wbinvl1_vol
	v_cmp_eq_u32_e32 vcc, 0, v1
	s_and_b64 vcc, vcc, exec
	s_or_b64 s[48:49], s[48:49], vcc
	s_mov_b64 vcc, -1
	s_or_b64 s[38:39], s[38:39], exec
	s_and_saveexec_b64 s[50:51], s[48:49]
	s_cbranch_execz .LBB2_1978
.LBB2_1982:                             ;   in Loop: Header=BB2_1979 Depth=3
	s_sleep 1
	s_trap 2
	ds_read_b64 v[1:2], v0
	s_waitcnt lgkmcnt(0)
	s_andn2_b64 s[38:39], s[38:39], exec
	v_cmp_ge_u64_e32 vcc, v[1:2], v[28:29]
	s_orn2_b64 vcc, vcc, exec
	s_branch .LBB2_1978
.LBB2_1983:                             ;   in Loop: Header=BB2_1943 Depth=2
	s_or_b64 exec, exec, s[34:35]
	s_and_saveexec_b64 vcc, s[36:37]
	s_xor_b64 vcc, exec, vcc
	s_cbranch_execz .LBB2_1985
; %bb.1984:                             ;   in Loop: Header=BB2_1943 Depth=2
	v_mov_b32_e32 v1, 1
	ds_write_b32 v0, v1
	s_trap 2
.LBB2_1985:                             ;   in Loop: Header=BB2_1943 Depth=2
	s_or_b64 exec, exec, s[30:31]
	;;#ASMSTART
	s_wakeup
	;;#ASMEND
.LBB2_1986:                             ;   in Loop: Header=BB2_1943 Depth=2
	s_or_b64 exec, exec, s[42:43]
.LBB2_1987:                             ;   in Loop: Header=BB2_1943 Depth=2
	s_andn2_saveexec_b64 s[40:41], s[40:41]
	s_cbranch_execz .LBB2_1989
; %bb.1988:                             ;   in Loop: Header=BB2_1943 Depth=2
	s_waitcnt vmcnt(0) lgkmcnt(0)
	buffer_wbinvl1_vol
	s_barrier
.LBB2_1989:                             ;   in Loop: Header=BB2_1943 Depth=2
	s_or_b64 exec, exec, s[40:41]
.LBB2_1990:                             ;   in Loop: Header=BB2_1943 Depth=2
	s_or_b64 exec, exec, s[28:29]
	s_trap 2
	ds_read_b32 v4, v0
	v_and_b32_e32 v1, 0x4000, v38
	v_cmp_ne_u32_e32 vcc, 0, v1
	s_xor_b64 s[28:29], s[6:7], -1
	s_and_b64 s[40:41], s[28:29], vcc
	s_and_saveexec_b64 s[28:29], s[40:41]
	s_cbranch_execz .LBB2_2009
; %bb.1991:                             ;   in Loop: Header=BB2_1943 Depth=2
	s_and_saveexec_b64 s[40:41], s[58:59]
	s_xor_b64 s[40:41], exec, s[40:41]
	s_cbranch_execz .LBB2_2006
; %bb.1992:                             ;   in Loop: Header=BB2_1943 Depth=2
	s_and_saveexec_b64 s[42:43], s[16:17]
	s_cbranch_execz .LBB2_2005
; %bb.1993:                             ;   in Loop: Header=BB2_1943 Depth=2
	s_mov_b64 s[34:35], exec
	v_mbcnt_lo_u32_b32 v1, s34, 0
	v_mbcnt_hi_u32_b32 v1, s35, v1
	v_cmp_eq_u32_e32 vcc, 0, v1
	s_waitcnt vmcnt(0) lgkmcnt(0)
	buffer_wbinvl1_vol
	s_and_saveexec_b64 s[30:31], vcc
	s_cbranch_execz .LBB2_1995
; %bb.1994:                             ;   in Loop: Header=BB2_1943 Depth=2
	s_bcnt1_i32_b64 s8, s[34:35]
	v_mov_b32_e32 v2, s8
	ds_add_u64 v0, v[2:3]
	s_trap 2
.LBB2_1995:                             ;   in Loop: Header=BB2_1943 Depth=2
	s_or_b64 exec, exec, s[30:31]
	s_trap 2
	ds_read_b64 v[1:2], v0
	s_waitcnt lgkmcnt(0)
	v_add_co_u32_e32 v28, vcc, v28, v35
	v_addc_co_u32_e32 v29, vcc, 0, v29, vcc
	v_cmp_lt_u64_e32 vcc, v[1:2], v[28:29]
	s_and_saveexec_b64 s[30:31], vcc
	s_cbranch_execz .LBB2_2004
; %bb.1996:                             ;   in Loop: Header=BB2_1943 Depth=2
	s_mov_b32 s8, 0
	s_mov_b64 s[34:35], 0
                                        ; implicit-def: $sgpr36_sgpr37
                                        ; implicit-def: $sgpr38_sgpr39
	s_branch .LBB2_1998
.LBB2_1997:                             ;   in Loop: Header=BB2_1998 Depth=3
	s_or_b64 exec, exec, s[50:51]
	s_and_b64 vcc, exec, vcc
	s_or_b64 s[34:35], vcc, s[34:35]
	s_andn2_b64 vcc, s[36:37], exec
	s_and_b64 s[36:37], s[38:39], exec
	s_or_b64 s[36:37], vcc, s[36:37]
	s_andn2_b64 exec, exec, s[34:35]
	s_cbranch_execz .LBB2_2002
.LBB2_1998:                             ;   Parent Loop BB2_47 Depth=1
                                        ;     Parent Loop BB2_1943 Depth=2
                                        ; =>    This Inner Loop Header: Depth=3
	s_add_i32 s8, s8, 1
	s_cmpk_lg_i32 s8, 0x2710
	s_cselect_b64 s[48:49], -1, 0
	s_and_b64 vcc, exec, s[48:49]
	s_cbranch_vccz .LBB2_2000
; %bb.1999:                             ;   in Loop: Header=BB2_1998 Depth=3
	s_mov_b64 vcc, -1
	s_or_b64 s[38:39], s[38:39], exec
	s_and_saveexec_b64 s[50:51], s[48:49]
	s_cbranch_execz .LBB2_1997
	s_branch .LBB2_2001
.LBB2_2000:                             ;   in Loop: Header=BB2_1998 Depth=3
	s_trap 2
	ds_read_b64 v[1:2], v0
	s_andn2_b64 s[48:49], s[48:49], exec
	s_mov_b32 s8, 0
	s_waitcnt lgkmcnt(0)
	flat_load_dword v1, v[1:2] glc
	s_waitcnt vmcnt(0) lgkmcnt(0)
	buffer_wbinvl1_vol
	v_cmp_eq_u32_e32 vcc, 0, v1
	s_and_b64 vcc, vcc, exec
	s_or_b64 s[48:49], s[48:49], vcc
	s_mov_b64 vcc, -1
	s_or_b64 s[38:39], s[38:39], exec
	s_and_saveexec_b64 s[50:51], s[48:49]
	s_cbranch_execz .LBB2_1997
.LBB2_2001:                             ;   in Loop: Header=BB2_1998 Depth=3
	s_sleep 1
	s_trap 2
	ds_read_b64 v[1:2], v0
	s_waitcnt lgkmcnt(0)
	s_andn2_b64 s[38:39], s[38:39], exec
	v_cmp_ge_u64_e32 vcc, v[1:2], v[28:29]
	s_orn2_b64 vcc, vcc, exec
	s_branch .LBB2_1997
.LBB2_2002:                             ;   in Loop: Header=BB2_1943 Depth=2
	s_or_b64 exec, exec, s[34:35]
	s_and_saveexec_b64 vcc, s[36:37]
	s_xor_b64 vcc, exec, vcc
	s_cbranch_execz .LBB2_2004
; %bb.2003:                             ;   in Loop: Header=BB2_1943 Depth=2
	v_mov_b32_e32 v1, 1
	ds_write_b32 v0, v1
	s_trap 2
.LBB2_2004:                             ;   in Loop: Header=BB2_1943 Depth=2
	s_or_b64 exec, exec, s[30:31]
	;;#ASMSTART
	s_wakeup
	;;#ASMEND
.LBB2_2005:                             ;   in Loop: Header=BB2_1943 Depth=2
	s_or_b64 exec, exec, s[42:43]
.LBB2_2006:                             ;   in Loop: Header=BB2_1943 Depth=2
	s_andn2_saveexec_b64 s[40:41], s[40:41]
	s_cbranch_execz .LBB2_2008
; %bb.2007:                             ;   in Loop: Header=BB2_1943 Depth=2
	s_waitcnt vmcnt(0) lgkmcnt(0)
	buffer_wbinvl1_vol
	s_barrier
.LBB2_2008:                             ;   in Loop: Header=BB2_1943 Depth=2
	s_or_b64 exec, exec, s[40:41]
.LBB2_2009:                             ;   in Loop: Header=BB2_1943 Depth=2
	s_or_b64 exec, exec, s[28:29]
	s_trap 2
	ds_read_b64 v[1:2], v0
	s_waitcnt lgkmcnt(0)
	buffer_store_dword v1, off, s[0:3], s33 offset:176 ; 4-byte Folded Spill
	s_nop 0
	buffer_store_dword v2, off, s[0:3], s33 offset:180 ; 4-byte Folded Spill
	v_cmp_eq_u64_e32 vcc, 0, v[1:2]
	s_cbranch_vccnz .LBB2_2018
; %bb.2010:                             ;   in Loop: Header=BB2_1943 Depth=2
	s_trap 2
	ds_read_b64 v[1:2], v0
	s_waitcnt lgkmcnt(0)
	buffer_store_dword v1, off, s[0:3], s33 offset:188 ; 4-byte Folded Spill
	s_nop 0
	buffer_store_dword v2, off, s[0:3], s33 offset:192 ; 4-byte Folded Spill
	v_cmp_eq_u64_e32 vcc, 0, v[1:2]
	s_cbranch_vccnz .LBB2_2018
; %bb.2011:                             ;   in Loop: Header=BB2_1943 Depth=2
	s_trap 2
	ds_read_b64 v[1:2], v0
	v_cmp_eq_u32_e64 s[28:29], 0, v4
	s_waitcnt lgkmcnt(0)
	buffer_store_dword v1, off, s[0:3], s33 offset:220 ; 4-byte Folded Spill
	s_nop 0
	buffer_store_dword v2, off, s[0:3], s33 offset:224 ; 4-byte Folded Spill
	v_cmp_ne_u64_e32 vcc, 0, v[1:2]
	buffer_load_dword v1, off, s[0:3], s33 offset:156 ; 4-byte Folded Reload
	buffer_load_dword v2, off, s[0:3], s33 offset:160 ; 4-byte Folded Reload
	s_and_b64 vcc, exec, vcc
	s_waitcnt vmcnt(1)
	v_cndmask_b32_e64 v44, 0, v1, s[28:29]
	s_mov_b64 s[28:29], -1
	buffer_store_dword v44, off, s[0:3], s33 offset:196 ; 4-byte Folded Spill
	s_cbranch_vccz .LBB2_3495
; %bb.2012:                             ;   in Loop: Header=BB2_1943 Depth=2
	s_and_saveexec_b64 s[40:41], s[22:23]
	s_cbranch_execz .LBB2_2014
; %bb.2013:                             ;   in Loop: Header=BB2_1943 Depth=2
	ds_read_b32 v1, v0 offset:720
	s_waitcnt lgkmcnt(0)
	v_and_b32_e32 v1, 15, v1
	v_cmp_eq_u32_e32 vcc, 0, v1
	s_orn2_b64 s[28:29], vcc, exec
.LBB2_2014:                             ;   in Loop: Header=BB2_1943 Depth=2
	s_or_b64 exec, exec, s[40:41]
	s_and_saveexec_b64 s[40:41], s[22:23]
	s_cbranch_execz .LBB2_2016
; %bb.2015:                             ;   in Loop: Header=BB2_1943 Depth=2
	ds_read_b32 v1, v0 offset:784
	s_waitcnt lgkmcnt(0)
	v_and_b32_e32 v1, 15, v1
	v_cmp_eq_u32_e32 vcc, 0, v1
	s_and_b64 s[42:43], s[28:29], vcc
	s_andn2_b64 s[28:29], s[28:29], exec
	s_and_b64 s[42:43], s[42:43], exec
	s_or_b64 s[28:29], s[28:29], s[42:43]
.LBB2_2016:                             ;   in Loop: Header=BB2_1943 Depth=2
	s_or_b64 exec, exec, s[40:41]
	s_xor_b64 s[28:29], s[28:29], -1
	v_cndmask_b32_e64 v1, 0, 1, s[28:29]
	v_cmp_ne_u32_e32 vcc, 0, v1
	buffer_load_dword v1, off, s[0:3], s33 offset:116 ; 4-byte Folded Reload
	s_mov_b64 s[40:41], -1
	v_mov_b32_e32 v24, 0
	v_mov_b32_e32 v25, v44
	;; [unrolled: 1-line block ×3, first 2 shown]
	s_cbranch_vccz .LBB2_2019
; %bb.2017:                             ;   in Loop: Header=BB2_1943 Depth=2
	s_and_saveexec_b64 s[42:43], s[40:41]
	s_cbranch_execz .LBB2_3494
	s_branch .LBB2_3124
.LBB2_2018:                             ;   in Loop: Header=BB2_1943 Depth=2
	s_mov_b64 s[28:29], 0
	s_and_saveexec_b64 s[40:41], s[10:11]
	s_cbranch_execnz .LBB2_4973
	s_branch .LBB2_4991
.LBB2_2019:                             ;   in Loop: Header=BB2_1943 Depth=2
	buffer_load_dword v1, off, s[0:3], s33 offset:144 ; 4-byte Folded Reload
	s_waitcnt vmcnt(0)
	v_sub_u32_e32 v4, v44, v1
	v_ashrrev_i32_e32 v1, 31, v44
	v_lshrrev_b32_e32 v1, 22, v1
	v_add_u32_e32 v1, v44, v1
	v_ashrrev_i32_e32 v2, 10, v1
	v_and_b32_e32 v5, 0xfffffc00, v1
	buffer_load_dword v1, off, s[0:3], s33 offset:164 ; 4-byte Folded Reload
	v_sub_u32_e32 v21, v44, v5
	v_cmp_lt_i32_e64 s[28:29], 15, v21
	s_waitcnt vmcnt(0)
	v_addc_co_u32_e64 v20, vcc, v2, v1, s[28:29]
	v_cmp_lt_i32_e32 vcc, 15, v4
	s_and_saveexec_b64 s[30:31], vcc
	s_cbranch_execz .LBB2_2569
; %bb.2020:                             ;   in Loop: Header=BB2_1943 Depth=2
	buffer_load_dword v1, off, s[0:3], s33 offset:188 ; 4-byte Folded Reload
	buffer_load_dword v2, off, s[0:3], s33 offset:192 ; 4-byte Folded Reload
	;; [unrolled: 1-line block ×4, first 2 shown]
	s_mov_b64 s[34:35], 0
	s_waitcnt vmcnt(1)
	v_add_co_u32_e32 v30, vcc, v1, v10
	s_waitcnt vmcnt(0)
	v_addc_co_u32_e32 v31, vcc, v2, v11, vcc
	buffer_load_dword v1, off, s[0:3], s33 offset:220 ; 4-byte Folded Reload
	buffer_load_dword v2, off, s[0:3], s33 offset:224 ; 4-byte Folded Reload
	s_trap 2
	s_waitcnt vmcnt(1)
	v_add_co_u32_e32 v36, vcc, v1, v10
	s_waitcnt vmcnt(0)
	v_addc_co_u32_e32 v37, vcc, v2, v11, vcc
	ds_read_b64 v[1:2], v0
	buffer_load_dword v8, off, s[0:3], s33 offset:176 ; 4-byte Folded Reload
	buffer_load_dword v9, off, s[0:3], s33 offset:180 ; 4-byte Folded Reload
	s_waitcnt vmcnt(1)
	v_add_co_u32_e32 v46, vcc, v8, v10
	s_waitcnt vmcnt(0)
	v_addc_co_u32_e32 v47, vcc, v9, v11, vcc
	s_waitcnt lgkmcnt(0)
	v_add_co_u32_e32 v55, vcc, v1, v10
	v_addc_co_u32_e32 v56, vcc, v2, v11, vcc
.LBB2_2021:                             ;   Parent Loop BB2_47 Depth=1
                                        ;     Parent Loop BB2_1943 Depth=2
                                        ; =>    This Loop Header: Depth=3
                                        ;         Child Loop BB2_2546 Depth 4
	global_load_dwordx4 v[12:15], v[46:47], off glc slc
	global_load_dwordx4 v[8:11], v[55:56], off glc slc
	v_mov_b32_e32 v1, 0
	s_waitcnt vmcnt(1)
	v_cmp_ne_u16_sdwa s[42:43], v12, v3 src0_sel:BYTE_0 src1_sel:DWORD
	s_and_saveexec_b64 s[40:41], s[42:43]
	s_cbranch_execz .LBB2_2029
; %bb.2022:                             ;   in Loop: Header=BB2_2021 Depth=3
	v_cmp_ne_u16_sdwa vcc, sext(v12), s70 src0_sel:BYTE_0 src1_sel:DWORD
	v_bfrev_b32_e32 v1, 1
	s_and_saveexec_b64 s[42:43], vcc
	s_cbranch_execz .LBB2_2028
; %bb.2023:                             ;   in Loop: Header=BB2_2021 Depth=3
	v_and_b32_e32 v1, 0x7c, v12
	v_and_b32_e32 v2, 3, v12
	v_cmp_ne_u32_e32 vcc, s71, v1
                                        ; implicit-def: $vgpr1
	s_and_saveexec_b64 s[36:37], vcc
	s_xor_b64 s[36:37], exec, s[36:37]
	s_cbranch_execz .LBB2_2025
; %bb.2024:                             ;   in Loop: Header=BB2_2021 Depth=3
	v_ffbh_u32_e32 v16, v2
	v_min_u32_e32 v18, 32, v16
	v_subrev_u32_e32 v16, 29, v18
	v_lshlrev_b64 v[16:17], v16, v[12:13]
	v_bfe_u32 v1, v12, 2, 5
	v_and_b32_e32 v16, 3, v16
	v_cmp_eq_u32_e32 vcc, 0, v1
	v_sub_u32_e32 v17, 30, v18
	v_cndmask_b32_e32 v2, v2, v16, vcc
	v_lshlrev_b32_e32 v16, 24, v12
	v_cndmask_b32_e32 v1, v1, v17, vcc
	v_and_b32_e32 v16, 0x80000000, v16
	v_lshl_add_u32 v1, v1, 23, v16
	v_lshl_or_b32 v1, v2, 21, v1
	v_add_u32_e32 v1, 0x38000000, v1
                                        ; implicit-def: $vgpr2
.LBB2_2025:                             ;   in Loop: Header=BB2_2021 Depth=3
	s_andn2_saveexec_b64 s[36:37], s[36:37]
; %bb.2026:                             ;   in Loop: Header=BB2_2021 Depth=3
	v_cmp_gt_i16_sdwa vcc, sext(v12), v26 src0_sel:BYTE_0 src1_sel:DWORD
	v_cndmask_b32_e32 v1, v27, v6, vcc
	v_cmp_eq_u32_e32 vcc, 0, v2
	v_cndmask_b32_e32 v1, v7, v1, vcc
; %bb.2027:                             ;   in Loop: Header=BB2_2021 Depth=3
	s_or_b64 exec, exec, s[36:37]
.LBB2_2028:                             ;   in Loop: Header=BB2_2021 Depth=3
	s_or_b64 exec, exec, s[42:43]
.LBB2_2029:                             ;   in Loop: Header=BB2_2021 Depth=3
	s_or_b64 exec, exec, s[40:41]
	s_waitcnt vmcnt(0)
	v_cmp_gt_i16_sdwa s[42:43], v8, s81 src0_sel:BYTE_0 src1_sel:DWORD
	s_mov_b64 s[40:41], 0
	s_and_saveexec_b64 vcc, s[42:43]
	s_xor_b64 s[42:43], exec, vcc
	s_cbranch_execz .LBB2_2548
; %bb.2030:                             ;   in Loop: Header=BB2_2021 Depth=3
	v_cmp_eq_u16_sdwa s[36:37], v8, s82 src0_sel:BYTE_0 src1_sel:DWORD
	s_mov_b64 s[40:41], -1
	s_and_saveexec_b64 vcc, s[36:37]
; %bb.2031:                             ;   in Loop: Header=BB2_2021 Depth=3
	s_xor_b64 s[40:41], exec, -1
; %bb.2032:                             ;   in Loop: Header=BB2_2021 Depth=3
	s_or_b64 exec, exec, vcc
	s_and_b64 s[40:41], s[40:41], exec
	s_or_saveexec_b64 s[42:43], s[42:43]
	v_bfrev_b32_e32 v2, 1
	s_xor_b64 exec, exec, s[42:43]
	s_cbranch_execnz .LBB2_2549
.LBB2_2033:                             ;   in Loop: Header=BB2_2021 Depth=3
	s_or_b64 exec, exec, s[42:43]
	s_and_saveexec_b64 s[36:37], s[40:41]
	s_cbranch_execz .LBB2_2035
.LBB2_2034:                             ;   in Loop: Header=BB2_2021 Depth=3
	v_and_b32_e32 v2, 3, v8
	v_and_b32_e32 v16, 0x7c, v8
	v_cmp_eq_u32_e32 vcc, s71, v16
	v_ffbh_u32_e32 v16, v2
	v_min_u32_e32 v19, 32, v16
	v_subrev_u32_e32 v16, 29, v19
	v_bfe_u32 v18, v8, 2, 5
	v_lshlrev_b64 v[16:17], v16, v[8:9]
	v_cmp_eq_u32_e64 s[40:41], 0, v18
	v_sub_u32_e32 v17, 30, v19
	v_cndmask_b32_e64 v17, v18, v17, s[40:41]
	v_lshlrev_b32_e32 v18, 24, v8
	v_and_b32_e32 v16, 3, v16
	v_and_b32_e32 v18, 0x80000000, v18
	v_cndmask_b32_e64 v16, v2, v16, s[40:41]
	v_lshl_add_u32 v17, v17, 23, v18
	v_cmp_gt_i16_sdwa s[42:43], sext(v8), v26 src0_sel:BYTE_0 src1_sel:DWORD
	v_lshl_or_b32 v16, v16, 21, v17
	v_cmp_eq_u32_e64 s[40:41], 0, v2
	v_cndmask_b32_e64 v2, v27, v6, s[42:43]
	v_add_u32_e32 v16, 0x38000000, v16
	v_cndmask_b32_e64 v2, v7, v2, s[40:41]
	v_cndmask_b32_e32 v2, v16, v2, vcc
.LBB2_2035:                             ;   in Loop: Header=BB2_2021 Depth=3
	s_or_b64 exec, exec, s[36:37]
	v_mul_f32_e32 v1, v1, v2
	v_and_b32_e32 v16, 0x7f800000, v1
	v_mov_b32_e32 v17, v3
	v_cmp_ne_u64_e32 vcc, s[62:63], v[16:17]
	v_and_b32_e32 v2, 0x7fffff, v1
                                        ; implicit-def: $vgpr57
	s_and_saveexec_b64 s[40:41], vcc
	s_xor_b64 s[42:43], exec, s[40:41]
	s_cbranch_execz .LBB2_2049
; %bb.2036:                             ;   in Loop: Header=BB2_2021 Depth=3
	v_and_b32_e32 v16, 0x7fffffff, v1
	v_mov_b32_e32 v17, v3
	v_cmp_gt_u64_e32 vcc, s[78:79], v[16:17]
	v_and_b32_sdwa v19, v1, s82 dst_sel:DWORD dst_unused:UNUSED_PAD src0_sel:BYTE_3 src1_sel:DWORD
                                        ; implicit-def: $vgpr57
	s_and_saveexec_b64 s[40:41], vcc
	s_xor_b64 s[36:37], exec, s[40:41]
	s_cbranch_execz .LBB2_2046
; %bb.2037:                             ;   in Loop: Header=BB2_2021 Depth=3
	v_mov_b32_e32 v57, 0
	v_cmp_ne_u32_e32 vcc, 0, v1
	s_and_saveexec_b64 s[38:39], vcc
	s_cbranch_execz .LBB2_2045
; %bb.2038:                             ;   in Loop: Header=BB2_2021 Depth=3
	v_bfe_u32 v1, v1, 23, 8
	v_cmp_gt_u32_e64 s[40:41], s44, v1
	v_sub_u32_e32 v16, 0x71, v1
	v_cmp_eq_u32_e32 vcc, 0, v1
	v_cndmask_b32_e64 v16, 0, v16, s[40:41]
	v_mov_b32_e32 v18, 0x70
	v_cndmask_b32_e32 v24, v16, v18, vcc
	v_or_b32_e32 v17, 0x800000, v2
	v_add_u32_e32 v16, 21, v24
	v_cndmask_b32_e32 v2, v17, v2, vcc
	v_lshlrev_b64 v[16:17], v16, -1
	v_add_u32_e32 v18, 20, v24
	v_lshlrev_b64 v[39:40], v18, 1
	v_bfi_b32 v17, v17, 0, 0
	v_bfi_b32 v16, v16, 0, v2
	v_cmp_eq_u64_e64 s[40:41], v[16:17], v[39:40]
	v_lshrrev_b64 v[16:17], v24, v[2:3]
	v_mov_b32_e32 v18, v17
	v_mov_b32_e32 v17, v16
	s_and_saveexec_b64 s[48:49], s[40:41]
; %bb.2039:                             ;   in Loop: Header=BB2_2021 Depth=3
	v_bfe_u32 v2, v16, 21, 1
	v_add_co_u32_e64 v2, s[40:41], v16, v2
	v_add_co_u32_e64 v17, s[40:41], -1, v2
; %bb.2040:                             ;   in Loop: Header=BB2_2021 Depth=3
	s_or_b64 exec, exec, s[48:49]
	v_add_u32_e32 v1, 0xffffff81, v1
	v_mov_b32_e32 v2, 0xffffff82
	v_cndmask_b32_e32 v1, v1, v2, vcc
	v_lshrrev_b32_e32 v2, 23, v16
	v_add3_u32 v24, v24, v1, v2
	v_add_u32_e32 v18, 14, v24
	v_and_b32_e32 v1, 0x1fffff, v17
	v_add_u32_e32 v2, v1, v16
	v_cmp_ne_u32_e32 vcc, 0, v18
                                        ; implicit-def: $vgpr16_vgpr17
                                        ; implicit-def: $vgpr1
	s_and_saveexec_b64 s[40:41], vcc
	s_xor_b64 s[40:41], exec, s[40:41]
; %bb.2041:                             ;   in Loop: Header=BB2_2021 Depth=3
	v_cmp_lt_u64_e32 vcc, s[88:89], v[2:3]
	v_add_u32_e32 v1, 15, v24
	v_cndmask_b32_e64 v16, 0, 1, vcc
	v_cndmask_b32_e32 v1, v18, v1, vcc
	v_lshrrev_b64 v[16:17], v16, v[2:3]
; %bb.2042:                             ;   in Loop: Header=BB2_2021 Depth=3
	s_andn2_saveexec_b64 s[40:41], s[40:41]
; %bb.2043:                             ;   in Loop: Header=BB2_2021 Depth=3
	v_mov_b32_e32 v17, v3
	v_bfe_u32 v1, v2, 23, 1
	v_mov_b32_e32 v16, v2
; %bb.2044:                             ;   in Loop: Header=BB2_2021 Depth=3
	s_or_b64 exec, exec, s[40:41]
	v_lshrrev_b64 v[16:17], 21, v[16:17]
	v_cmp_gt_i32_e32 vcc, 32, v1
	v_cndmask_b32_e32 v17, 0, v17, vcc
	v_cndmask_b32_e32 v16, 3, v16, vcc
	v_cmp_eq_u32_e32 vcc, 0, v1
	v_min_i32_e32 v1, 31, v1
	v_cmp_eq_u64_e64 s[40:41], 0, v[16:17]
	v_lshlrev_b32_e32 v1, 2, v1
	v_and_b32_e32 v1, 0xfc, v1
	v_and_or_b32 v1, v16, 3, v1
	s_and_b64 s[40:41], vcc, s[40:41]
	v_cndmask_b32_e64 v1, v1, 0, s[40:41]
	v_or_b32_e32 v57, v1, v19
.LBB2_2045:                             ;   in Loop: Header=BB2_2021 Depth=3
	s_or_b64 exec, exec, s[38:39]
                                        ; implicit-def: $vgpr19
.LBB2_2046:                             ;   in Loop: Header=BB2_2021 Depth=3
	s_andn2_saveexec_b64 s[40:41], s[36:37]
; %bb.2047:                             ;   in Loop: Header=BB2_2021 Depth=3
	v_or_b32_e32 v57, 0x7b, v19
; %bb.2048:                             ;   in Loop: Header=BB2_2021 Depth=3
	s_or_b64 exec, exec, s[40:41]
                                        ; implicit-def: $vgpr1
.LBB2_2049:                             ;   in Loop: Header=BB2_2021 Depth=3
	s_andn2_saveexec_b64 s[40:41], s[42:43]
	s_cbranch_execz .LBB2_2055
; %bb.2050:                             ;   in Loop: Header=BB2_2021 Depth=3
	v_cmp_ne_u64_e32 vcc, 0, v[2:3]
                                        ; implicit-def: $vgpr57
	s_and_saveexec_b64 s[42:43], vcc
	s_xor_b64 s[42:43], exec, s[42:43]
; %bb.2051:                             ;   in Loop: Header=BB2_2021 Depth=3
	v_or_b32_sdwa v57, v1, s81 dst_sel:DWORD dst_unused:UNUSED_PAD src0_sel:BYTE_3 src1_sel:DWORD
                                        ; implicit-def: $vgpr1
; %bb.2052:                             ;   in Loop: Header=BB2_2021 Depth=3
	s_andn2_saveexec_b64 s[42:43], s[42:43]
; %bb.2053:                             ;   in Loop: Header=BB2_2021 Depth=3
	v_cmp_lt_i32_e32 vcc, -1, v1
	v_cndmask_b32_e32 v57, v0, v49, vcc
; %bb.2054:                             ;   in Loop: Header=BB2_2021 Depth=3
	s_or_b64 exec, exec, s[42:43]
.LBB2_2055:                             ;   in Loop: Header=BB2_2021 Depth=3
	s_or_b64 exec, exec, s[40:41]
	v_lshrrev_b16_e32 v2, 8, v12
	v_cmp_ne_u16_e32 vcc, 0, v2
	v_mov_b32_e32 v1, 0
	s_and_saveexec_b64 s[40:41], vcc
	s_cbranch_execz .LBB2_2063
; %bb.2056:                             ;   in Loop: Header=BB2_2021 Depth=3
	v_cmp_ne_u16_e32 vcc, s82, v2
	v_bfrev_b32_e32 v1, 1
	s_and_saveexec_b64 s[42:43], vcc
	s_cbranch_execz .LBB2_2062
; %bb.2057:                             ;   in Loop: Header=BB2_2021 Depth=3
	v_and_b32_e32 v1, 0x7c, v2
	v_and_b32_e32 v16, 3, v2
	v_cmp_ne_u32_e32 vcc, s71, v1
                                        ; implicit-def: $vgpr1
	s_and_saveexec_b64 s[36:37], vcc
	s_xor_b64 s[36:37], exec, s[36:37]
	s_cbranch_execz .LBB2_2059
; %bb.2058:                             ;   in Loop: Header=BB2_2021 Depth=3
	v_ffbh_u32_e32 v1, v16
	v_min_u32_e32 v18, 32, v1
	v_subrev_u32_e32 v1, 29, v18
	v_bfe_u32 v17, v2, 2, 5
	v_lshlrev_b64 v[1:2], v1, v[2:3]
	v_cmp_eq_u32_e32 vcc, 0, v17
	v_and_b32_e32 v1, 3, v1
	v_sub_u32_e32 v2, 30, v18
	v_cndmask_b32_e32 v1, v16, v1, vcc
	v_lshlrev_b32_e32 v16, 16, v12
	v_cndmask_b32_e32 v2, v17, v2, vcc
	v_and_b32_e32 v16, 0x80000000, v16
	v_lshl_add_u32 v2, v2, 23, v16
	v_lshl_or_b32 v1, v1, 21, v2
	v_add_u32_e32 v1, 0x38000000, v1
                                        ; implicit-def: $vgpr16
.LBB2_2059:                             ;   in Loop: Header=BB2_2021 Depth=3
	s_andn2_saveexec_b64 s[36:37], s[36:37]
; %bb.2060:                             ;   in Loop: Header=BB2_2021 Depth=3
	v_cmp_lt_i16_e32 vcc, -1, v12
	v_cndmask_b32_e32 v1, v27, v6, vcc
	v_cmp_eq_u32_e32 vcc, 0, v16
	v_cndmask_b32_e32 v1, v7, v1, vcc
; %bb.2061:                             ;   in Loop: Header=BB2_2021 Depth=3
	s_or_b64 exec, exec, s[36:37]
.LBB2_2062:                             ;   in Loop: Header=BB2_2021 Depth=3
	s_or_b64 exec, exec, s[42:43]
.LBB2_2063:                             ;   in Loop: Header=BB2_2021 Depth=3
	s_or_b64 exec, exec, s[40:41]
	v_lshrrev_b16_e32 v2, 8, v8
	v_cmp_lt_i16_e32 vcc, s81, v2
	s_mov_b64 s[40:41], 0
	s_and_saveexec_b64 s[42:43], vcc
	s_xor_b64 s[42:43], exec, s[42:43]
	s_cbranch_execz .LBB2_2550
; %bb.2064:                             ;   in Loop: Header=BB2_2021 Depth=3
	v_cmp_eq_u16_e32 vcc, s82, v2
	s_mov_b64 s[40:41], -1
	s_and_saveexec_b64 s[36:37], vcc
; %bb.2065:                             ;   in Loop: Header=BB2_2021 Depth=3
	s_xor_b64 s[40:41], exec, -1
; %bb.2066:                             ;   in Loop: Header=BB2_2021 Depth=3
	s_or_b64 exec, exec, s[36:37]
	s_and_b64 s[40:41], s[40:41], exec
	s_or_saveexec_b64 s[42:43], s[42:43]
	v_bfrev_b32_e32 v16, 1
	s_xor_b64 exec, exec, s[42:43]
	s_cbranch_execnz .LBB2_2551
.LBB2_2067:                             ;   in Loop: Header=BB2_2021 Depth=3
	s_or_b64 exec, exec, s[42:43]
	s_and_saveexec_b64 s[36:37], s[40:41]
	s_cbranch_execz .LBB2_2069
.LBB2_2068:                             ;   in Loop: Header=BB2_2021 Depth=3
	v_and_b32_e32 v18, 3, v2
	v_and_b32_e32 v16, 0x7c, v2
	v_cmp_eq_u32_e32 vcc, s71, v16
	v_ffbh_u32_e32 v16, v18
	v_min_u32_e32 v24, 32, v16
	v_subrev_u32_e32 v16, 29, v24
	v_bfe_u32 v19, v2, 2, 5
	v_lshlrev_b64 v[16:17], v16, v[2:3]
	v_cmp_eq_u32_e64 s[40:41], 0, v19
	v_sub_u32_e32 v17, 30, v24
	v_lshlrev_b32_e32 v2, 24, v2
	v_and_b32_e32 v16, 3, v16
	v_cndmask_b32_e64 v17, v19, v17, s[40:41]
	v_and_b32_e32 v2, 0x80000000, v2
	v_cndmask_b32_e64 v16, v18, v16, s[40:41]
	v_lshl_add_u32 v2, v17, 23, v2
	v_cmp_lt_i16_e64 s[42:43], -1, v8
	v_lshl_or_b32 v2, v16, 21, v2
	v_cmp_eq_u32_e64 s[40:41], 0, v18
	v_cndmask_b32_e64 v16, v27, v6, s[42:43]
	v_add_u32_e32 v2, 0x38000000, v2
	v_cndmask_b32_e64 v16, v7, v16, s[40:41]
	v_cndmask_b32_e32 v16, v2, v16, vcc
.LBB2_2069:                             ;   in Loop: Header=BB2_2021 Depth=3
	s_or_b64 exec, exec, s[36:37]
	v_mul_f32_e32 v1, v1, v16
	v_and_b32_e32 v16, 0x7f800000, v1
	v_mov_b32_e32 v17, v3
	v_cmp_ne_u64_e32 vcc, s[62:63], v[16:17]
	v_and_b32_e32 v2, 0x7fffff, v1
                                        ; implicit-def: $vgpr58
	s_and_saveexec_b64 s[40:41], vcc
	s_xor_b64 s[42:43], exec, s[40:41]
	s_cbranch_execz .LBB2_2083
; %bb.2070:                             ;   in Loop: Header=BB2_2021 Depth=3
	v_and_b32_e32 v16, 0x7fffffff, v1
	v_mov_b32_e32 v17, v3
	v_cmp_gt_u64_e32 vcc, s[78:79], v[16:17]
	v_and_b32_sdwa v19, v1, s82 dst_sel:DWORD dst_unused:UNUSED_PAD src0_sel:BYTE_3 src1_sel:DWORD
                                        ; implicit-def: $vgpr58
	s_and_saveexec_b64 s[40:41], vcc
	s_xor_b64 s[36:37], exec, s[40:41]
	s_cbranch_execz .LBB2_2080
; %bb.2071:                             ;   in Loop: Header=BB2_2021 Depth=3
	v_mov_b32_e32 v58, 0
	v_cmp_ne_u32_e32 vcc, 0, v1
	s_and_saveexec_b64 s[38:39], vcc
	s_cbranch_execz .LBB2_2079
; %bb.2072:                             ;   in Loop: Header=BB2_2021 Depth=3
	v_bfe_u32 v1, v1, 23, 8
	v_cmp_gt_u32_e64 s[40:41], s44, v1
	v_sub_u32_e32 v16, 0x71, v1
	v_cmp_eq_u32_e32 vcc, 0, v1
	v_cndmask_b32_e64 v16, 0, v16, s[40:41]
	v_mov_b32_e32 v18, 0x70
	v_cndmask_b32_e32 v24, v16, v18, vcc
	v_or_b32_e32 v17, 0x800000, v2
	v_add_u32_e32 v16, 21, v24
	v_cndmask_b32_e32 v2, v17, v2, vcc
	v_lshlrev_b64 v[16:17], v16, -1
	v_add_u32_e32 v18, 20, v24
	v_lshlrev_b64 v[39:40], v18, 1
	v_bfi_b32 v17, v17, 0, 0
	v_bfi_b32 v16, v16, 0, v2
	v_cmp_eq_u64_e64 s[40:41], v[16:17], v[39:40]
	v_lshrrev_b64 v[16:17], v24, v[2:3]
	v_mov_b32_e32 v18, v17
	v_mov_b32_e32 v17, v16
	s_and_saveexec_b64 s[48:49], s[40:41]
; %bb.2073:                             ;   in Loop: Header=BB2_2021 Depth=3
	v_bfe_u32 v2, v16, 21, 1
	v_add_co_u32_e64 v2, s[40:41], v16, v2
	v_add_co_u32_e64 v17, s[40:41], -1, v2
; %bb.2074:                             ;   in Loop: Header=BB2_2021 Depth=3
	s_or_b64 exec, exec, s[48:49]
	v_add_u32_e32 v1, 0xffffff81, v1
	v_mov_b32_e32 v2, 0xffffff82
	v_cndmask_b32_e32 v1, v1, v2, vcc
	v_lshrrev_b32_e32 v2, 23, v16
	v_add3_u32 v24, v24, v1, v2
	v_add_u32_e32 v18, 14, v24
	v_and_b32_e32 v1, 0x1fffff, v17
	v_add_u32_e32 v2, v1, v16
	v_cmp_ne_u32_e32 vcc, 0, v18
                                        ; implicit-def: $vgpr16_vgpr17
                                        ; implicit-def: $vgpr1
	s_and_saveexec_b64 s[40:41], vcc
	s_xor_b64 s[40:41], exec, s[40:41]
; %bb.2075:                             ;   in Loop: Header=BB2_2021 Depth=3
	v_cmp_lt_u64_e32 vcc, s[88:89], v[2:3]
	v_add_u32_e32 v1, 15, v24
	v_cndmask_b32_e64 v16, 0, 1, vcc
	v_cndmask_b32_e32 v1, v18, v1, vcc
	v_lshrrev_b64 v[16:17], v16, v[2:3]
; %bb.2076:                             ;   in Loop: Header=BB2_2021 Depth=3
	s_andn2_saveexec_b64 s[40:41], s[40:41]
; %bb.2077:                             ;   in Loop: Header=BB2_2021 Depth=3
	v_mov_b32_e32 v17, v3
	v_bfe_u32 v1, v2, 23, 1
	v_mov_b32_e32 v16, v2
; %bb.2078:                             ;   in Loop: Header=BB2_2021 Depth=3
	s_or_b64 exec, exec, s[40:41]
	v_lshrrev_b64 v[16:17], 21, v[16:17]
	v_cmp_gt_i32_e32 vcc, 32, v1
	v_cndmask_b32_e32 v17, 0, v17, vcc
	v_cndmask_b32_e32 v16, 3, v16, vcc
	v_cmp_eq_u32_e32 vcc, 0, v1
	v_min_i32_e32 v1, 31, v1
	v_cmp_eq_u64_e64 s[40:41], 0, v[16:17]
	v_lshlrev_b32_e32 v1, 2, v1
	v_and_b32_e32 v1, 0xfc, v1
	v_and_or_b32 v1, v16, 3, v1
	s_and_b64 s[40:41], vcc, s[40:41]
	v_cndmask_b32_e64 v1, v1, 0, s[40:41]
	v_or_b32_e32 v58, v1, v19
.LBB2_2079:                             ;   in Loop: Header=BB2_2021 Depth=3
	s_or_b64 exec, exec, s[38:39]
                                        ; implicit-def: $vgpr19
.LBB2_2080:                             ;   in Loop: Header=BB2_2021 Depth=3
	s_andn2_saveexec_b64 s[40:41], s[36:37]
; %bb.2081:                             ;   in Loop: Header=BB2_2021 Depth=3
	v_or_b32_e32 v58, 0x7b, v19
; %bb.2082:                             ;   in Loop: Header=BB2_2021 Depth=3
	s_or_b64 exec, exec, s[40:41]
                                        ; implicit-def: $vgpr1
.LBB2_2083:                             ;   in Loop: Header=BB2_2021 Depth=3
	s_andn2_saveexec_b64 s[40:41], s[42:43]
	s_cbranch_execz .LBB2_2089
; %bb.2084:                             ;   in Loop: Header=BB2_2021 Depth=3
	v_cmp_ne_u64_e32 vcc, 0, v[2:3]
                                        ; implicit-def: $vgpr58
	s_and_saveexec_b64 s[42:43], vcc
	s_xor_b64 s[42:43], exec, s[42:43]
; %bb.2085:                             ;   in Loop: Header=BB2_2021 Depth=3
	v_or_b32_sdwa v58, v1, s81 dst_sel:DWORD dst_unused:UNUSED_PAD src0_sel:BYTE_3 src1_sel:DWORD
                                        ; implicit-def: $vgpr1
; %bb.2086:                             ;   in Loop: Header=BB2_2021 Depth=3
	s_andn2_saveexec_b64 s[42:43], s[42:43]
; %bb.2087:                             ;   in Loop: Header=BB2_2021 Depth=3
	v_cmp_lt_i32_e32 vcc, -1, v1
	v_cndmask_b32_e32 v58, v0, v49, vcc
; %bb.2088:                             ;   in Loop: Header=BB2_2021 Depth=3
	s_or_b64 exec, exec, s[42:43]
.LBB2_2089:                             ;   in Loop: Header=BB2_2021 Depth=3
	s_or_b64 exec, exec, s[40:41]
	v_lshrrev_b32_e32 v2, 16, v12
	v_cmp_ne_u16_sdwa s[42:43], v2, v3 src0_sel:BYTE_0 src1_sel:DWORD
	v_mov_b32_e32 v1, 0
	s_and_saveexec_b64 s[40:41], s[42:43]
	s_cbranch_execz .LBB2_2097
; %bb.2090:                             ;   in Loop: Header=BB2_2021 Depth=3
	v_cmp_ne_u16_sdwa vcc, v2, s82 src0_sel:BYTE_0 src1_sel:DWORD
	v_bfrev_b32_e32 v1, 1
	s_and_saveexec_b64 s[42:43], vcc
	s_cbranch_execz .LBB2_2096
; %bb.2091:                             ;   in Loop: Header=BB2_2021 Depth=3
	v_and_b32_e32 v1, 0x7c0000, v12
	v_bfe_u32 v16, v12, 16, 2
	v_cmp_ne_u32_e32 vcc, s45, v1
                                        ; implicit-def: $vgpr1
	s_and_saveexec_b64 s[36:37], vcc
	s_xor_b64 s[36:37], exec, s[36:37]
	s_cbranch_execz .LBB2_2093
; %bb.2092:                             ;   in Loop: Header=BB2_2021 Depth=3
	v_ffbh_u32_e32 v1, v16
	v_min_u32_e32 v18, 32, v1
	v_subrev_u32_e32 v1, 29, v18
	v_lshlrev_b64 v[1:2], v1, v[2:3]
	v_bfe_u32 v17, v12, 18, 5
	v_and_b32_e32 v1, 3, v1
	v_cmp_eq_u32_e32 vcc, 0, v17
	v_sub_u32_e32 v2, 30, v18
	v_cndmask_b32_e32 v1, v16, v1, vcc
	v_lshlrev_b32_e32 v16, 8, v12
	v_cndmask_b32_e32 v2, v17, v2, vcc
	v_and_b32_e32 v16, 0x80000000, v16
	v_lshl_add_u32 v2, v2, 23, v16
	v_lshl_or_b32 v1, v1, 21, v2
	v_add_u32_e32 v1, 0x38000000, v1
                                        ; implicit-def: $vgpr16
                                        ; implicit-def: $vgpr2
.LBB2_2093:                             ;   in Loop: Header=BB2_2021 Depth=3
	s_andn2_saveexec_b64 s[36:37], s[36:37]
; %bb.2094:                             ;   in Loop: Header=BB2_2021 Depth=3
	v_cmp_gt_i16_sdwa vcc, sext(v2), v26 src0_sel:BYTE_0 src1_sel:DWORD
	v_cndmask_b32_e32 v1, v27, v6, vcc
	v_cmp_eq_u32_e32 vcc, 0, v16
	v_cndmask_b32_e32 v1, v7, v1, vcc
; %bb.2095:                             ;   in Loop: Header=BB2_2021 Depth=3
	s_or_b64 exec, exec, s[36:37]
.LBB2_2096:                             ;   in Loop: Header=BB2_2021 Depth=3
	s_or_b64 exec, exec, s[42:43]
.LBB2_2097:                             ;   in Loop: Header=BB2_2021 Depth=3
	s_or_b64 exec, exec, s[40:41]
	v_lshrrev_b32_e32 v2, 16, v8
	v_cmp_gt_i16_sdwa s[42:43], v2, s81 src0_sel:BYTE_0 src1_sel:DWORD
	s_mov_b64 s[40:41], 0
	s_and_saveexec_b64 vcc, s[42:43]
	s_xor_b64 s[42:43], exec, vcc
	s_cbranch_execz .LBB2_2552
; %bb.2098:                             ;   in Loop: Header=BB2_2021 Depth=3
	v_cmp_eq_u16_sdwa s[36:37], v2, s82 src0_sel:BYTE_0 src1_sel:DWORD
	s_mov_b64 s[40:41], -1
	s_and_saveexec_b64 vcc, s[36:37]
; %bb.2099:                             ;   in Loop: Header=BB2_2021 Depth=3
	s_xor_b64 s[40:41], exec, -1
; %bb.2100:                             ;   in Loop: Header=BB2_2021 Depth=3
	s_or_b64 exec, exec, vcc
	s_and_b64 s[40:41], s[40:41], exec
	s_or_saveexec_b64 s[42:43], s[42:43]
	v_bfrev_b32_e32 v16, 1
	s_xor_b64 exec, exec, s[42:43]
	s_cbranch_execnz .LBB2_2553
.LBB2_2101:                             ;   in Loop: Header=BB2_2021 Depth=3
	s_or_b64 exec, exec, s[42:43]
	s_and_saveexec_b64 s[36:37], s[40:41]
	s_cbranch_execz .LBB2_2103
.LBB2_2102:                             ;   in Loop: Header=BB2_2021 Depth=3
	v_and_b32_e32 v18, 3, v2
	v_and_b32_e32 v16, 0x7c0000, v8
	v_cmp_eq_u32_e32 vcc, s45, v16
	v_ffbh_u32_e32 v16, v18
	v_min_u32_e32 v24, 32, v16
	v_subrev_u32_e32 v16, 29, v24
	v_bfe_u32 v19, v8, 18, 5
	v_lshlrev_b64 v[16:17], v16, v[2:3]
	v_cmp_eq_u32_e64 s[40:41], 0, v19
	v_sub_u32_e32 v17, 30, v24
	v_cndmask_b32_e64 v17, v19, v17, s[40:41]
	v_lshlrev_b32_e32 v19, 24, v2
	v_and_b32_e32 v16, 3, v16
	v_and_b32_e32 v19, 0x80000000, v19
	v_cndmask_b32_e64 v16, v18, v16, s[40:41]
	v_lshl_add_u32 v17, v17, 23, v19
	v_cmp_gt_i16_sdwa s[42:43], sext(v2), v26 src0_sel:BYTE_0 src1_sel:DWORD
	v_lshl_or_b32 v16, v16, 21, v17
	v_cmp_eq_u32_e64 s[40:41], 0, v18
	v_cndmask_b32_e64 v2, v27, v6, s[42:43]
	v_add_u32_e32 v16, 0x38000000, v16
	v_cndmask_b32_e64 v2, v7, v2, s[40:41]
	v_cndmask_b32_e32 v16, v16, v2, vcc
.LBB2_2103:                             ;   in Loop: Header=BB2_2021 Depth=3
	s_or_b64 exec, exec, s[36:37]
	v_mul_f32_e32 v1, v1, v16
	v_and_b32_e32 v16, 0x7f800000, v1
	v_mov_b32_e32 v17, v3
	v_cmp_ne_u64_e32 vcc, s[62:63], v[16:17]
	v_and_b32_e32 v2, 0x7fffff, v1
                                        ; implicit-def: $vgpr59
	s_and_saveexec_b64 s[40:41], vcc
	s_xor_b64 s[42:43], exec, s[40:41]
	s_cbranch_execz .LBB2_2117
; %bb.2104:                             ;   in Loop: Header=BB2_2021 Depth=3
	v_and_b32_e32 v16, 0x7fffffff, v1
	v_mov_b32_e32 v17, v3
	v_cmp_gt_u64_e32 vcc, s[78:79], v[16:17]
	v_and_b32_sdwa v19, v1, s82 dst_sel:DWORD dst_unused:UNUSED_PAD src0_sel:BYTE_3 src1_sel:DWORD
                                        ; implicit-def: $vgpr59
	s_and_saveexec_b64 s[40:41], vcc
	s_xor_b64 s[36:37], exec, s[40:41]
	s_cbranch_execz .LBB2_2114
; %bb.2105:                             ;   in Loop: Header=BB2_2021 Depth=3
	v_mov_b32_e32 v59, 0
	v_cmp_ne_u32_e32 vcc, 0, v1
	s_and_saveexec_b64 s[38:39], vcc
	s_cbranch_execz .LBB2_2113
; %bb.2106:                             ;   in Loop: Header=BB2_2021 Depth=3
	v_bfe_u32 v1, v1, 23, 8
	v_cmp_gt_u32_e64 s[40:41], s44, v1
	v_sub_u32_e32 v16, 0x71, v1
	v_cmp_eq_u32_e32 vcc, 0, v1
	v_cndmask_b32_e64 v16, 0, v16, s[40:41]
	v_mov_b32_e32 v18, 0x70
	v_cndmask_b32_e32 v24, v16, v18, vcc
	v_or_b32_e32 v17, 0x800000, v2
	v_add_u32_e32 v16, 21, v24
	v_cndmask_b32_e32 v2, v17, v2, vcc
	v_lshlrev_b64 v[16:17], v16, -1
	v_add_u32_e32 v18, 20, v24
	v_lshlrev_b64 v[39:40], v18, 1
	v_bfi_b32 v17, v17, 0, 0
	v_bfi_b32 v16, v16, 0, v2
	v_cmp_eq_u64_e64 s[40:41], v[16:17], v[39:40]
	v_lshrrev_b64 v[16:17], v24, v[2:3]
	v_mov_b32_e32 v18, v17
	v_mov_b32_e32 v17, v16
	s_and_saveexec_b64 s[48:49], s[40:41]
; %bb.2107:                             ;   in Loop: Header=BB2_2021 Depth=3
	v_bfe_u32 v2, v16, 21, 1
	v_add_co_u32_e64 v2, s[40:41], v16, v2
	v_add_co_u32_e64 v17, s[40:41], -1, v2
; %bb.2108:                             ;   in Loop: Header=BB2_2021 Depth=3
	s_or_b64 exec, exec, s[48:49]
	v_add_u32_e32 v1, 0xffffff81, v1
	v_mov_b32_e32 v2, 0xffffff82
	v_cndmask_b32_e32 v1, v1, v2, vcc
	v_lshrrev_b32_e32 v2, 23, v16
	v_add3_u32 v24, v24, v1, v2
	v_add_u32_e32 v18, 14, v24
	v_and_b32_e32 v1, 0x1fffff, v17
	v_add_u32_e32 v2, v1, v16
	v_cmp_ne_u32_e32 vcc, 0, v18
                                        ; implicit-def: $vgpr16_vgpr17
                                        ; implicit-def: $vgpr1
	s_and_saveexec_b64 s[40:41], vcc
	s_xor_b64 s[40:41], exec, s[40:41]
; %bb.2109:                             ;   in Loop: Header=BB2_2021 Depth=3
	v_cmp_lt_u64_e32 vcc, s[88:89], v[2:3]
	v_add_u32_e32 v1, 15, v24
	v_cndmask_b32_e64 v16, 0, 1, vcc
	v_cndmask_b32_e32 v1, v18, v1, vcc
	v_lshrrev_b64 v[16:17], v16, v[2:3]
; %bb.2110:                             ;   in Loop: Header=BB2_2021 Depth=3
	s_andn2_saveexec_b64 s[40:41], s[40:41]
; %bb.2111:                             ;   in Loop: Header=BB2_2021 Depth=3
	v_mov_b32_e32 v17, v3
	v_bfe_u32 v1, v2, 23, 1
	v_mov_b32_e32 v16, v2
; %bb.2112:                             ;   in Loop: Header=BB2_2021 Depth=3
	s_or_b64 exec, exec, s[40:41]
	v_lshrrev_b64 v[16:17], 21, v[16:17]
	v_cmp_gt_i32_e32 vcc, 32, v1
	v_cndmask_b32_e32 v17, 0, v17, vcc
	v_cndmask_b32_e32 v16, 3, v16, vcc
	v_cmp_eq_u32_e32 vcc, 0, v1
	v_min_i32_e32 v1, 31, v1
	v_cmp_eq_u64_e64 s[40:41], 0, v[16:17]
	v_lshlrev_b32_e32 v1, 2, v1
	v_and_b32_e32 v1, 0xfc, v1
	v_and_or_b32 v1, v16, 3, v1
	s_and_b64 s[40:41], vcc, s[40:41]
	v_cndmask_b32_e64 v1, v1, 0, s[40:41]
	v_or_b32_e32 v59, v1, v19
.LBB2_2113:                             ;   in Loop: Header=BB2_2021 Depth=3
	s_or_b64 exec, exec, s[38:39]
                                        ; implicit-def: $vgpr19
.LBB2_2114:                             ;   in Loop: Header=BB2_2021 Depth=3
	s_andn2_saveexec_b64 s[40:41], s[36:37]
; %bb.2115:                             ;   in Loop: Header=BB2_2021 Depth=3
	v_or_b32_e32 v59, 0x7b, v19
; %bb.2116:                             ;   in Loop: Header=BB2_2021 Depth=3
	s_or_b64 exec, exec, s[40:41]
                                        ; implicit-def: $vgpr1
.LBB2_2117:                             ;   in Loop: Header=BB2_2021 Depth=3
	s_andn2_saveexec_b64 s[40:41], s[42:43]
	s_cbranch_execz .LBB2_2123
; %bb.2118:                             ;   in Loop: Header=BB2_2021 Depth=3
	v_cmp_ne_u64_e32 vcc, 0, v[2:3]
                                        ; implicit-def: $vgpr59
	s_and_saveexec_b64 s[42:43], vcc
	s_xor_b64 s[42:43], exec, s[42:43]
; %bb.2119:                             ;   in Loop: Header=BB2_2021 Depth=3
	v_or_b32_sdwa v59, v1, s81 dst_sel:DWORD dst_unused:UNUSED_PAD src0_sel:BYTE_3 src1_sel:DWORD
                                        ; implicit-def: $vgpr1
; %bb.2120:                             ;   in Loop: Header=BB2_2021 Depth=3
	s_andn2_saveexec_b64 s[42:43], s[42:43]
; %bb.2121:                             ;   in Loop: Header=BB2_2021 Depth=3
	v_cmp_lt_i32_e32 vcc, -1, v1
	v_cndmask_b32_e32 v59, v0, v49, vcc
; %bb.2122:                             ;   in Loop: Header=BB2_2021 Depth=3
	s_or_b64 exec, exec, s[42:43]
.LBB2_2123:                             ;   in Loop: Header=BB2_2021 Depth=3
	s_or_b64 exec, exec, s[40:41]
	v_cmp_lt_u32_e32 vcc, s57, v12
	v_mov_b32_e32 v1, 0
	s_and_saveexec_b64 s[40:41], vcc
	s_cbranch_execz .LBB2_2131
; %bb.2124:                             ;   in Loop: Header=BB2_2021 Depth=3
	v_lshrrev_b32_e32 v2, 24, v12
	v_cmp_ne_u32_e32 vcc, s82, v2
	v_bfrev_b32_e32 v1, 1
	s_and_saveexec_b64 s[42:43], vcc
	s_cbranch_execz .LBB2_2130
; %bb.2125:                             ;   in Loop: Header=BB2_2021 Depth=3
	v_and_b32_e32 v1, 0x7c000000, v12
	v_bfe_u32 v16, v12, 24, 2
	v_cmp_ne_u32_e32 vcc, s83, v1
                                        ; implicit-def: $vgpr1
	s_and_saveexec_b64 s[36:37], vcc
	s_xor_b64 s[36:37], exec, s[36:37]
	s_cbranch_execz .LBB2_2127
; %bb.2126:                             ;   in Loop: Header=BB2_2021 Depth=3
	v_ffbh_u32_e32 v1, v16
	v_min_u32_e32 v18, 32, v1
	v_subrev_u32_e32 v1, 29, v18
	v_lshlrev_b64 v[1:2], v1, v[2:3]
	v_bfe_u32 v17, v12, 26, 5
	v_sub_u32_e32 v2, 30, v18
	v_and_b32_e32 v1, 3, v1
	v_cmp_eq_u32_e32 vcc, 0, v17
	v_cndmask_b32_e32 v2, v17, v2, vcc
	v_cndmask_b32_e32 v1, v16, v1, vcc
	v_and_b32_e32 v16, 0x80000000, v12
	v_lshl_add_u32 v2, v2, 23, v16
	v_lshl_or_b32 v1, v1, 21, v2
	v_add_u32_e32 v1, 0x38000000, v1
                                        ; implicit-def: $vgpr16
.LBB2_2127:                             ;   in Loop: Header=BB2_2021 Depth=3
	s_andn2_saveexec_b64 s[36:37], s[36:37]
; %bb.2128:                             ;   in Loop: Header=BB2_2021 Depth=3
	v_cmp_lt_i32_e32 vcc, -1, v12
	v_cndmask_b32_e32 v1, v27, v6, vcc
	v_cmp_eq_u32_e32 vcc, 0, v16
	v_cndmask_b32_e32 v1, v7, v1, vcc
; %bb.2129:                             ;   in Loop: Header=BB2_2021 Depth=3
	s_or_b64 exec, exec, s[36:37]
.LBB2_2130:                             ;   in Loop: Header=BB2_2021 Depth=3
	s_or_b64 exec, exec, s[42:43]
.LBB2_2131:                             ;   in Loop: Header=BB2_2021 Depth=3
	s_or_b64 exec, exec, s[40:41]
	v_bfe_u32 v18, v8, 24, 2
	v_and_b32_e32 v16, 0x7c000000, v8
	v_cmp_eq_u32_e32 vcc, s83, v16
	v_ffbh_u32_e32 v16, v18
	v_min_u32_e32 v24, 32, v16
	v_lshrrev_b32_e32 v2, 24, v8
	v_subrev_u32_e32 v16, 29, v24
	v_bfe_u32 v19, v8, 26, 5
	v_lshlrev_b64 v[16:17], v16, v[2:3]
	v_cmp_eq_u32_e64 s[40:41], 0, v19
	v_sub_u32_e32 v17, 30, v24
	v_and_b32_e32 v16, 3, v16
	v_cndmask_b32_e64 v17, v19, v17, s[40:41]
	v_and_b32_e32 v19, 0x80000000, v8
	v_cndmask_b32_e64 v16, v18, v16, s[40:41]
	v_lshl_add_u32 v17, v17, 23, v19
	v_cmp_lt_i32_e64 s[42:43], -1, v8
	v_lshl_or_b32 v16, v16, 21, v17
	v_cmp_eq_u32_e64 s[40:41], 0, v18
	v_cndmask_b32_e64 v17, v27, v6, s[42:43]
	v_add_u32_e32 v16, 0x38000000, v16
	v_cndmask_b32_e64 v17, v7, v17, s[40:41]
	v_cndmask_b32_e32 v16, v16, v17, vcc
	v_cmp_ne_u32_e32 vcc, s82, v2
	v_cndmask_b32_e32 v2, v53, v16, vcc
	v_cmp_lt_u32_e32 vcc, s57, v8
	v_cndmask_b32_e32 v2, 0, v2, vcc
	v_mul_f32_e32 v1, v2, v1
	v_and_b32_e32 v16, 0x7f800000, v1
	v_mov_b32_e32 v17, v3
	v_cmp_ne_u64_e32 vcc, s[62:63], v[16:17]
	v_and_b32_e32 v2, 0x7fffff, v1
                                        ; implicit-def: $vgpr60
	s_and_saveexec_b64 s[40:41], vcc
	s_xor_b64 s[42:43], exec, s[40:41]
	s_cbranch_execz .LBB2_2145
; %bb.2132:                             ;   in Loop: Header=BB2_2021 Depth=3
	v_and_b32_e32 v16, 0x7fffffff, v1
	v_mov_b32_e32 v17, v3
	v_cmp_gt_u64_e32 vcc, s[78:79], v[16:17]
	v_and_b32_sdwa v19, v1, s82 dst_sel:DWORD dst_unused:UNUSED_PAD src0_sel:BYTE_3 src1_sel:DWORD
                                        ; implicit-def: $vgpr60
	s_and_saveexec_b64 s[40:41], vcc
	s_xor_b64 s[36:37], exec, s[40:41]
	s_cbranch_execz .LBB2_2142
; %bb.2133:                             ;   in Loop: Header=BB2_2021 Depth=3
	v_mov_b32_e32 v60, 0
	v_cmp_ne_u32_e32 vcc, 0, v1
	s_and_saveexec_b64 s[38:39], vcc
	s_cbranch_execz .LBB2_2141
; %bb.2134:                             ;   in Loop: Header=BB2_2021 Depth=3
	v_bfe_u32 v1, v1, 23, 8
	v_cmp_gt_u32_e64 s[40:41], s44, v1
	v_sub_u32_e32 v16, 0x71, v1
	v_cmp_eq_u32_e32 vcc, 0, v1
	v_cndmask_b32_e64 v16, 0, v16, s[40:41]
	v_mov_b32_e32 v18, 0x70
	v_cndmask_b32_e32 v24, v16, v18, vcc
	v_or_b32_e32 v17, 0x800000, v2
	v_add_u32_e32 v16, 21, v24
	v_cndmask_b32_e32 v2, v17, v2, vcc
	v_lshlrev_b64 v[16:17], v16, -1
	v_add_u32_e32 v18, 20, v24
	v_lshlrev_b64 v[39:40], v18, 1
	v_bfi_b32 v17, v17, 0, 0
	v_bfi_b32 v16, v16, 0, v2
	v_cmp_eq_u64_e64 s[40:41], v[16:17], v[39:40]
	v_lshrrev_b64 v[16:17], v24, v[2:3]
	v_mov_b32_e32 v18, v17
	v_mov_b32_e32 v17, v16
	s_and_saveexec_b64 s[48:49], s[40:41]
; %bb.2135:                             ;   in Loop: Header=BB2_2021 Depth=3
	v_bfe_u32 v2, v16, 21, 1
	v_add_co_u32_e64 v2, s[40:41], v16, v2
	v_add_co_u32_e64 v17, s[40:41], -1, v2
; %bb.2136:                             ;   in Loop: Header=BB2_2021 Depth=3
	s_or_b64 exec, exec, s[48:49]
	v_add_u32_e32 v1, 0xffffff81, v1
	v_mov_b32_e32 v2, 0xffffff82
	v_cndmask_b32_e32 v1, v1, v2, vcc
	v_lshrrev_b32_e32 v2, 23, v16
	v_add3_u32 v24, v24, v1, v2
	v_add_u32_e32 v18, 14, v24
	v_and_b32_e32 v1, 0x1fffff, v17
	v_add_u32_e32 v2, v1, v16
	v_cmp_ne_u32_e32 vcc, 0, v18
                                        ; implicit-def: $vgpr16_vgpr17
                                        ; implicit-def: $vgpr1
	s_and_saveexec_b64 s[40:41], vcc
	s_xor_b64 s[40:41], exec, s[40:41]
; %bb.2137:                             ;   in Loop: Header=BB2_2021 Depth=3
	v_cmp_lt_u64_e32 vcc, s[88:89], v[2:3]
	v_add_u32_e32 v1, 15, v24
	v_cndmask_b32_e64 v16, 0, 1, vcc
	v_cndmask_b32_e32 v1, v18, v1, vcc
	v_lshrrev_b64 v[16:17], v16, v[2:3]
; %bb.2138:                             ;   in Loop: Header=BB2_2021 Depth=3
	s_andn2_saveexec_b64 s[40:41], s[40:41]
; %bb.2139:                             ;   in Loop: Header=BB2_2021 Depth=3
	v_mov_b32_e32 v17, v3
	v_bfe_u32 v1, v2, 23, 1
	v_mov_b32_e32 v16, v2
; %bb.2140:                             ;   in Loop: Header=BB2_2021 Depth=3
	s_or_b64 exec, exec, s[40:41]
	v_lshrrev_b64 v[16:17], 21, v[16:17]
	v_cmp_gt_i32_e32 vcc, 32, v1
	v_cndmask_b32_e32 v17, 0, v17, vcc
	v_cndmask_b32_e32 v16, 3, v16, vcc
	v_cmp_eq_u32_e32 vcc, 0, v1
	v_min_i32_e32 v1, 31, v1
	v_cmp_eq_u64_e64 s[40:41], 0, v[16:17]
	v_lshlrev_b32_e32 v1, 2, v1
	v_and_b32_e32 v1, 0xfc, v1
	v_and_or_b32 v1, v16, 3, v1
	s_and_b64 s[40:41], vcc, s[40:41]
	v_cndmask_b32_e64 v1, v1, 0, s[40:41]
	v_or_b32_e32 v60, v1, v19
.LBB2_2141:                             ;   in Loop: Header=BB2_2021 Depth=3
	s_or_b64 exec, exec, s[38:39]
                                        ; implicit-def: $vgpr19
.LBB2_2142:                             ;   in Loop: Header=BB2_2021 Depth=3
	s_andn2_saveexec_b64 s[40:41], s[36:37]
; %bb.2143:                             ;   in Loop: Header=BB2_2021 Depth=3
	v_or_b32_e32 v60, 0x7b, v19
; %bb.2144:                             ;   in Loop: Header=BB2_2021 Depth=3
	s_or_b64 exec, exec, s[40:41]
                                        ; implicit-def: $vgpr1
.LBB2_2145:                             ;   in Loop: Header=BB2_2021 Depth=3
	s_andn2_saveexec_b64 s[40:41], s[42:43]
	s_cbranch_execz .LBB2_2151
; %bb.2146:                             ;   in Loop: Header=BB2_2021 Depth=3
	v_cmp_ne_u64_e32 vcc, 0, v[2:3]
                                        ; implicit-def: $vgpr60
	s_and_saveexec_b64 s[42:43], vcc
	s_xor_b64 s[42:43], exec, s[42:43]
; %bb.2147:                             ;   in Loop: Header=BB2_2021 Depth=3
	v_or_b32_sdwa v60, v1, s81 dst_sel:DWORD dst_unused:UNUSED_PAD src0_sel:BYTE_3 src1_sel:DWORD
                                        ; implicit-def: $vgpr1
; %bb.2148:                             ;   in Loop: Header=BB2_2021 Depth=3
	s_andn2_saveexec_b64 s[42:43], s[42:43]
; %bb.2149:                             ;   in Loop: Header=BB2_2021 Depth=3
	v_cmp_lt_i32_e32 vcc, -1, v1
	v_cndmask_b32_e32 v60, v0, v49, vcc
; %bb.2150:                             ;   in Loop: Header=BB2_2021 Depth=3
	s_or_b64 exec, exec, s[42:43]
.LBB2_2151:                             ;   in Loop: Header=BB2_2021 Depth=3
	s_or_b64 exec, exec, s[40:41]
	v_mov_b32_e32 v2, v13
	v_cmp_ne_u16_sdwa s[42:43], v13, v3 src0_sel:BYTE_0 src1_sel:DWORD
	v_mov_b32_e32 v1, 0
	s_and_saveexec_b64 s[40:41], s[42:43]
	s_cbranch_execz .LBB2_2159
; %bb.2152:                             ;   in Loop: Header=BB2_2021 Depth=3
	v_cmp_ne_u16_sdwa vcc, v13, s82 src0_sel:BYTE_0 src1_sel:DWORD
	v_bfrev_b32_e32 v1, 1
	s_and_saveexec_b64 s[42:43], vcc
	s_cbranch_execz .LBB2_2158
; %bb.2153:                             ;   in Loop: Header=BB2_2021 Depth=3
	v_and_b32_e32 v1, 0x7c, v13
	v_and_b32_e32 v16, 3, v13
	v_cmp_ne_u32_e32 vcc, s71, v1
                                        ; implicit-def: $vgpr1
	s_and_saveexec_b64 s[36:37], vcc
	s_xor_b64 s[36:37], exec, s[36:37]
	s_cbranch_execz .LBB2_2155
; %bb.2154:                             ;   in Loop: Header=BB2_2021 Depth=3
	v_ffbh_u32_e32 v17, v16
	v_min_u32_e32 v19, 32, v17
	v_subrev_u32_e32 v17, 29, v19
	v_lshlrev_b64 v[17:18], v17, v[2:3]
	v_bfe_u32 v1, v13, 2, 5
	v_and_b32_e32 v17, 3, v17
	v_cmp_eq_u32_e32 vcc, 0, v1
	v_sub_u32_e32 v18, 30, v19
	v_cndmask_b32_e32 v16, v16, v17, vcc
	v_lshlrev_b32_e32 v17, 24, v13
	v_cndmask_b32_e32 v1, v1, v18, vcc
	v_and_b32_e32 v17, 0x80000000, v17
	v_lshl_add_u32 v1, v1, 23, v17
	v_lshl_or_b32 v1, v16, 21, v1
	v_add_u32_e32 v1, 0x38000000, v1
                                        ; implicit-def: $vgpr16
.LBB2_2155:                             ;   in Loop: Header=BB2_2021 Depth=3
	s_andn2_saveexec_b64 s[36:37], s[36:37]
; %bb.2156:                             ;   in Loop: Header=BB2_2021 Depth=3
	v_cmp_gt_i16_sdwa vcc, sext(v13), v26 src0_sel:BYTE_0 src1_sel:DWORD
	v_cndmask_b32_e32 v1, v27, v6, vcc
	v_cmp_eq_u32_e32 vcc, 0, v16
	v_cndmask_b32_e32 v1, v7, v1, vcc
; %bb.2157:                             ;   in Loop: Header=BB2_2021 Depth=3
	s_or_b64 exec, exec, s[36:37]
.LBB2_2158:                             ;   in Loop: Header=BB2_2021 Depth=3
	s_or_b64 exec, exec, s[42:43]
.LBB2_2159:                             ;   in Loop: Header=BB2_2021 Depth=3
	s_or_b64 exec, exec, s[40:41]
	v_cmp_gt_i16_sdwa s[42:43], v9, s81 src0_sel:BYTE_0 src1_sel:DWORD
	s_mov_b64 s[40:41], 0
	s_and_saveexec_b64 vcc, s[42:43]
	s_xor_b64 s[42:43], exec, vcc
	s_cbranch_execz .LBB2_2163
; %bb.2160:                             ;   in Loop: Header=BB2_2021 Depth=3
	v_cmp_eq_u16_sdwa s[36:37], v9, s82 src0_sel:BYTE_0 src1_sel:DWORD
	s_mov_b64 s[40:41], -1
	s_and_saveexec_b64 vcc, s[36:37]
; %bb.2161:                             ;   in Loop: Header=BB2_2021 Depth=3
	s_xor_b64 s[40:41], exec, -1
; %bb.2162:                             ;   in Loop: Header=BB2_2021 Depth=3
	s_or_b64 exec, exec, vcc
	s_and_b64 s[40:41], s[40:41], exec
.LBB2_2163:                             ;   in Loop: Header=BB2_2021 Depth=3
	s_or_saveexec_b64 s[42:43], s[42:43]
	v_bfrev_b32_e32 v18, 1
	s_xor_b64 exec, exec, s[42:43]
; %bb.2164:                             ;   in Loop: Header=BB2_2021 Depth=3
	v_cmp_ne_u16_sdwa vcc, v9, v3 src0_sel:BYTE_0 src1_sel:DWORD
	s_andn2_b64 s[40:41], s[40:41], exec
	s_and_b64 vcc, vcc, exec
	v_mov_b32_e32 v18, 0
	s_or_b64 s[40:41], s[40:41], vcc
; %bb.2165:                             ;   in Loop: Header=BB2_2021 Depth=3
	s_or_b64 exec, exec, s[42:43]
	v_mov_b32_e32 v16, v9
	v_mov_b32_e32 v17, v3
	s_and_saveexec_b64 s[36:37], s[40:41]
	s_cbranch_execz .LBB2_2167
; %bb.2166:                             ;   in Loop: Header=BB2_2021 Depth=3
	v_and_b32_e32 v19, 3, v9
	v_and_b32_e32 v18, 0x7c, v9
	v_cmp_eq_u32_e32 vcc, s71, v18
	v_ffbh_u32_e32 v18, v19
	v_min_u32_e32 v25, 32, v18
	v_subrev_u32_e32 v18, 29, v25
	v_bfe_u32 v24, v9, 2, 5
	v_lshlrev_b64 v[17:18], v18, v[16:17]
	v_cmp_eq_u32_e64 s[40:41], 0, v24
	v_sub_u32_e32 v18, 30, v25
	v_cndmask_b32_e64 v18, v24, v18, s[40:41]
	v_lshlrev_b32_e32 v24, 24, v9
	v_and_b32_e32 v17, 3, v17
	v_and_b32_e32 v24, 0x80000000, v24
	v_cndmask_b32_e64 v17, v19, v17, s[40:41]
	v_lshl_add_u32 v18, v18, 23, v24
	v_cmp_gt_i16_sdwa s[42:43], sext(v9), v26 src0_sel:BYTE_0 src1_sel:DWORD
	v_lshl_or_b32 v17, v17, 21, v18
	v_cmp_eq_u32_e64 s[40:41], 0, v19
	v_cndmask_b32_e64 v18, v27, v6, s[42:43]
	v_add_u32_e32 v17, 0x38000000, v17
	v_cndmask_b32_e64 v18, v7, v18, s[40:41]
	v_cndmask_b32_e32 v18, v17, v18, vcc
.LBB2_2167:                             ;   in Loop: Header=BB2_2021 Depth=3
	s_or_b64 exec, exec, s[36:37]
	v_mul_f32_e32 v1, v1, v18
	v_and_b32_e32 v18, 0x7f800000, v1
	v_mov_b32_e32 v19, v3
	v_cmp_ne_u64_e32 vcc, s[62:63], v[18:19]
	v_and_b32_e32 v17, 0x7fffff, v1
	v_mov_b32_e32 v18, v3
                                        ; implicit-def: $vgpr19
	s_and_saveexec_b64 s[40:41], vcc
	s_xor_b64 s[42:43], exec, s[40:41]
	s_cbranch_execz .LBB2_2181
; %bb.2168:                             ;   in Loop: Header=BB2_2021 Depth=3
	v_and_b32_e32 v24, 0x7fffffff, v1
	v_mov_b32_e32 v25, v3
	v_cmp_gt_u64_e32 vcc, s[78:79], v[24:25]
	v_and_b32_sdwa v24, v1, s82 dst_sel:DWORD dst_unused:UNUSED_PAD src0_sel:BYTE_3 src1_sel:DWORD
                                        ; implicit-def: $vgpr19
	s_and_saveexec_b64 s[40:41], vcc
	s_xor_b64 s[36:37], exec, s[40:41]
	s_cbranch_execz .LBB2_2178
; %bb.2169:                             ;   in Loop: Header=BB2_2021 Depth=3
	v_mov_b32_e32 v19, 0
	v_cmp_ne_u32_e32 vcc, 0, v1
	s_and_saveexec_b64 s[38:39], vcc
	s_cbranch_execz .LBB2_2177
; %bb.2170:                             ;   in Loop: Header=BB2_2021 Depth=3
	v_bfe_u32 v1, v1, 23, 8
	v_cmp_gt_u32_e64 s[40:41], s44, v1
	v_sub_u32_e32 v19, 0x71, v1
	v_cmp_eq_u32_e32 vcc, 0, v1
	v_cndmask_b32_e64 v19, 0, v19, s[40:41]
	v_mov_b32_e32 v25, 0x70
	v_cndmask_b32_e32 v25, v19, v25, vcc
	v_or_b32_e32 v39, 0x800000, v17
	v_add_u32_e32 v19, 21, v25
	v_cndmask_b32_e32 v17, v39, v17, vcc
	v_lshlrev_b64 v[39:40], v19, -1
	v_add_u32_e32 v19, 20, v25
	v_bfi_b32 v39, v39, 0, v17
	v_lshlrev_b64 v[41:42], v19, 1
	v_lshrrev_b64 v[17:18], v25, v[17:18]
	v_bfi_b32 v40, v40, 0, 0
	v_cmp_eq_u64_e64 s[40:41], v[39:40], v[41:42]
	v_mov_b32_e32 v19, v18
	v_mov_b32_e32 v18, v17
	s_and_saveexec_b64 s[48:49], s[40:41]
; %bb.2171:                             ;   in Loop: Header=BB2_2021 Depth=3
	v_bfe_u32 v18, v17, 21, 1
	v_add_co_u32_e64 v18, s[40:41], v17, v18
	v_add_co_u32_e64 v18, s[40:41], -1, v18
; %bb.2172:                             ;   in Loop: Header=BB2_2021 Depth=3
	s_or_b64 exec, exec, s[48:49]
	v_add_u32_e32 v1, 0xffffff81, v1
	v_mov_b32_e32 v19, 0xffffff82
	v_cndmask_b32_e32 v1, v1, v19, vcc
	v_lshrrev_b32_e32 v19, 23, v17
	v_add3_u32 v25, v25, v1, v19
	v_add_u32_e32 v19, 14, v25
	v_and_b32_e32 v1, 0x1fffff, v18
	v_add_u32_e32 v17, v1, v17
	v_mov_b32_e32 v18, v3
	v_cmp_ne_u32_e32 vcc, 0, v19
                                        ; implicit-def: $vgpr1
	s_and_saveexec_b64 s[40:41], vcc
	s_xor_b64 s[40:41], exec, s[40:41]
; %bb.2173:                             ;   in Loop: Header=BB2_2021 Depth=3
	v_cmp_lt_u64_e32 vcc, s[88:89], v[17:18]
	v_add_u32_e32 v1, 15, v25
	v_cndmask_b32_e32 v1, v19, v1, vcc
	v_cndmask_b32_e64 v19, 0, 1, vcc
	v_lshrrev_b64 v[17:18], v19, v[17:18]
; %bb.2174:                             ;   in Loop: Header=BB2_2021 Depth=3
	s_andn2_saveexec_b64 s[40:41], s[40:41]
; %bb.2175:                             ;   in Loop: Header=BB2_2021 Depth=3
	v_bfe_u32 v1, v17, 23, 1
; %bb.2176:                             ;   in Loop: Header=BB2_2021 Depth=3
	s_or_b64 exec, exec, s[40:41]
	v_lshrrev_b64 v[17:18], 21, v[17:18]
	v_cmp_gt_i32_e32 vcc, 32, v1
	v_cndmask_b32_e32 v18, 0, v18, vcc
	v_cndmask_b32_e32 v17, 3, v17, vcc
	v_cmp_eq_u32_e32 vcc, 0, v1
	v_min_i32_e32 v1, 31, v1
	v_cmp_eq_u64_e64 s[40:41], 0, v[17:18]
	v_lshlrev_b32_e32 v1, 2, v1
	v_and_b32_e32 v1, 0xfc, v1
	v_and_or_b32 v1, v17, 3, v1
	s_and_b64 s[40:41], vcc, s[40:41]
	v_cndmask_b32_e64 v1, v1, 0, s[40:41]
	v_or_b32_e32 v19, v1, v24
.LBB2_2177:                             ;   in Loop: Header=BB2_2021 Depth=3
	s_or_b64 exec, exec, s[38:39]
                                        ; implicit-def: $vgpr24
.LBB2_2178:                             ;   in Loop: Header=BB2_2021 Depth=3
	s_andn2_saveexec_b64 s[40:41], s[36:37]
; %bb.2179:                             ;   in Loop: Header=BB2_2021 Depth=3
	v_or_b32_e32 v19, 0x7b, v24
; %bb.2180:                             ;   in Loop: Header=BB2_2021 Depth=3
	s_or_b64 exec, exec, s[40:41]
                                        ; implicit-def: $vgpr1
                                        ; implicit-def: $vgpr17_vgpr18
.LBB2_2181:                             ;   in Loop: Header=BB2_2021 Depth=3
	s_andn2_saveexec_b64 s[40:41], s[42:43]
	s_cbranch_execz .LBB2_2187
; %bb.2182:                             ;   in Loop: Header=BB2_2021 Depth=3
	v_cmp_ne_u64_e32 vcc, 0, v[17:18]
                                        ; implicit-def: $vgpr19
	s_and_saveexec_b64 s[42:43], vcc
	s_xor_b64 s[42:43], exec, s[42:43]
; %bb.2183:                             ;   in Loop: Header=BB2_2021 Depth=3
	v_or_b32_sdwa v19, v1, s81 dst_sel:DWORD dst_unused:UNUSED_PAD src0_sel:BYTE_3 src1_sel:DWORD
                                        ; implicit-def: $vgpr1
; %bb.2184:                             ;   in Loop: Header=BB2_2021 Depth=3
	s_andn2_saveexec_b64 s[42:43], s[42:43]
; %bb.2185:                             ;   in Loop: Header=BB2_2021 Depth=3
	v_cmp_lt_i32_e32 vcc, -1, v1
	v_cndmask_b32_e32 v19, v0, v49, vcc
; %bb.2186:                             ;   in Loop: Header=BB2_2021 Depth=3
	s_or_b64 exec, exec, s[42:43]
.LBB2_2187:                             ;   in Loop: Header=BB2_2021 Depth=3
	s_or_b64 exec, exec, s[40:41]
	v_lshrrev_b16_e32 v17, 8, v2
	v_cmp_ne_u16_e32 vcc, 0, v17
	v_mov_b32_e32 v1, 0
	s_and_saveexec_b64 s[40:41], vcc
	s_cbranch_execz .LBB2_2195
; %bb.2188:                             ;   in Loop: Header=BB2_2021 Depth=3
	v_cmp_ne_u16_e32 vcc, s82, v17
	v_bfrev_b32_e32 v1, 1
	s_and_saveexec_b64 s[42:43], vcc
	s_cbranch_execz .LBB2_2194
; %bb.2189:                             ;   in Loop: Header=BB2_2021 Depth=3
	v_and_b32_e32 v1, 0x7c, v17
	v_and_b32_e32 v24, 3, v17
	v_cmp_ne_u32_e32 vcc, s71, v1
                                        ; implicit-def: $vgpr1
	s_and_saveexec_b64 s[36:37], vcc
	s_xor_b64 s[36:37], exec, s[36:37]
	s_cbranch_execz .LBB2_2191
; %bb.2190:                             ;   in Loop: Header=BB2_2021 Depth=3
	v_ffbh_u32_e32 v25, v24
	v_min_u32_e32 v25, 32, v25
	v_mov_b32_e32 v18, v3
	v_subrev_u32_e32 v39, 29, v25
	v_bfe_u32 v1, v17, 2, 5
	v_lshlrev_b64 v[17:18], v39, v[17:18]
	v_sub_u32_e32 v18, 30, v25
	v_cmp_eq_u32_e32 vcc, 0, v1
	v_lshlrev_b32_e32 v2, 16, v2
	v_and_b32_e32 v17, 3, v17
	v_cndmask_b32_e32 v1, v1, v18, vcc
	v_and_b32_e32 v2, 0x80000000, v2
	v_cndmask_b32_e32 v17, v24, v17, vcc
	v_lshl_add_u32 v1, v1, 23, v2
	v_lshl_or_b32 v1, v17, 21, v1
	v_add_u32_e32 v1, 0x38000000, v1
                                        ; implicit-def: $vgpr24
.LBB2_2191:                             ;   in Loop: Header=BB2_2021 Depth=3
	s_andn2_saveexec_b64 s[36:37], s[36:37]
; %bb.2192:                             ;   in Loop: Header=BB2_2021 Depth=3
	v_cmp_lt_i16_e32 vcc, -1, v2
	v_cndmask_b32_e32 v1, v27, v6, vcc
	v_cmp_eq_u32_e32 vcc, 0, v24
	v_cndmask_b32_e32 v1, v7, v1, vcc
; %bb.2193:                             ;   in Loop: Header=BB2_2021 Depth=3
	s_or_b64 exec, exec, s[36:37]
.LBB2_2194:                             ;   in Loop: Header=BB2_2021 Depth=3
	s_or_b64 exec, exec, s[42:43]
.LBB2_2195:                             ;   in Loop: Header=BB2_2021 Depth=3
	s_or_b64 exec, exec, s[40:41]
	v_lshrrev_b16_e32 v2, 8, v16
	v_cmp_lt_i16_e32 vcc, s81, v2
	s_mov_b64 s[40:41], 0
	s_and_saveexec_b64 s[42:43], vcc
	s_xor_b64 s[42:43], exec, s[42:43]
	s_cbranch_execz .LBB2_2554
; %bb.2196:                             ;   in Loop: Header=BB2_2021 Depth=3
	v_cmp_eq_u16_e32 vcc, s82, v2
	s_mov_b64 s[40:41], -1
	s_and_saveexec_b64 s[36:37], vcc
; %bb.2197:                             ;   in Loop: Header=BB2_2021 Depth=3
	s_xor_b64 s[40:41], exec, -1
; %bb.2198:                             ;   in Loop: Header=BB2_2021 Depth=3
	s_or_b64 exec, exec, s[36:37]
	s_and_b64 s[40:41], s[40:41], exec
	s_or_saveexec_b64 s[42:43], s[42:43]
	v_bfrev_b32_e32 v17, 1
	s_xor_b64 exec, exec, s[42:43]
	s_cbranch_execnz .LBB2_2555
.LBB2_2199:                             ;   in Loop: Header=BB2_2021 Depth=3
	s_or_b64 exec, exec, s[42:43]
	s_and_saveexec_b64 s[36:37], s[40:41]
	s_cbranch_execz .LBB2_2201
.LBB2_2200:                             ;   in Loop: Header=BB2_2021 Depth=3
	v_and_b32_e32 v24, 3, v2
	v_and_b32_e32 v17, 0x7c, v2
	v_cmp_eq_u32_e32 vcc, s71, v17
	v_ffbh_u32_e32 v17, v24
	v_min_u32_e32 v39, 32, v17
	v_subrev_u32_e32 v17, 29, v39
	v_bfe_u32 v25, v2, 2, 5
	v_lshlrev_b64 v[17:18], v17, v[2:3]
	v_cmp_eq_u32_e64 s[40:41], 0, v25
	v_sub_u32_e32 v18, 30, v39
	v_lshlrev_b32_e32 v2, 24, v2
	v_and_b32_e32 v17, 3, v17
	v_cndmask_b32_e64 v18, v25, v18, s[40:41]
	v_and_b32_e32 v2, 0x80000000, v2
	v_cndmask_b32_e64 v17, v24, v17, s[40:41]
	v_lshl_add_u32 v2, v18, 23, v2
	v_cmp_lt_i16_e64 s[42:43], -1, v16
	v_lshl_or_b32 v2, v17, 21, v2
	v_cmp_eq_u32_e64 s[40:41], 0, v24
	v_cndmask_b32_e64 v16, v27, v6, s[42:43]
	v_add_u32_e32 v2, 0x38000000, v2
	v_cndmask_b32_e64 v16, v7, v16, s[40:41]
	v_cndmask_b32_e32 v17, v2, v16, vcc
.LBB2_2201:                             ;   in Loop: Header=BB2_2021 Depth=3
	s_or_b64 exec, exec, s[36:37]
	v_mul_f32_e32 v1, v1, v17
	v_and_b32_e32 v16, 0x7f800000, v1
	v_mov_b32_e32 v17, v3
	v_cmp_ne_u64_e32 vcc, s[62:63], v[16:17]
	v_and_b32_e32 v2, 0x7fffff, v1
                                        ; implicit-def: $vgpr24
	s_and_saveexec_b64 s[40:41], vcc
	s_xor_b64 s[42:43], exec, s[40:41]
	s_cbranch_execz .LBB2_2215
; %bb.2202:                             ;   in Loop: Header=BB2_2021 Depth=3
	v_and_b32_e32 v16, 0x7fffffff, v1
	v_mov_b32_e32 v17, v3
	v_cmp_gt_u64_e32 vcc, s[78:79], v[16:17]
	v_and_b32_sdwa v25, v1, s82 dst_sel:DWORD dst_unused:UNUSED_PAD src0_sel:BYTE_3 src1_sel:DWORD
                                        ; implicit-def: $vgpr24
	s_and_saveexec_b64 s[40:41], vcc
	s_xor_b64 s[36:37], exec, s[40:41]
	s_cbranch_execz .LBB2_2212
; %bb.2203:                             ;   in Loop: Header=BB2_2021 Depth=3
	v_mov_b32_e32 v24, 0
	v_cmp_ne_u32_e32 vcc, 0, v1
	s_and_saveexec_b64 s[38:39], vcc
	s_cbranch_execz .LBB2_2211
; %bb.2204:                             ;   in Loop: Header=BB2_2021 Depth=3
	v_bfe_u32 v1, v1, 23, 8
	v_cmp_gt_u32_e64 s[40:41], s44, v1
	v_sub_u32_e32 v16, 0x71, v1
	v_cmp_eq_u32_e32 vcc, 0, v1
	v_cndmask_b32_e64 v16, 0, v16, s[40:41]
	v_mov_b32_e32 v18, 0x70
	v_cndmask_b32_e32 v24, v16, v18, vcc
	v_or_b32_e32 v17, 0x800000, v2
	v_add_u32_e32 v16, 21, v24
	v_cndmask_b32_e32 v2, v17, v2, vcc
	v_lshlrev_b64 v[16:17], v16, -1
	v_add_u32_e32 v18, 20, v24
	v_lshlrev_b64 v[39:40], v18, 1
	v_bfi_b32 v17, v17, 0, 0
	v_bfi_b32 v16, v16, 0, v2
	v_cmp_eq_u64_e64 s[40:41], v[16:17], v[39:40]
	v_lshrrev_b64 v[16:17], v24, v[2:3]
	v_mov_b32_e32 v18, v17
	v_mov_b32_e32 v17, v16
	s_and_saveexec_b64 s[48:49], s[40:41]
; %bb.2205:                             ;   in Loop: Header=BB2_2021 Depth=3
	v_bfe_u32 v2, v16, 21, 1
	v_add_co_u32_e64 v2, s[40:41], v16, v2
	v_add_co_u32_e64 v17, s[40:41], -1, v2
; %bb.2206:                             ;   in Loop: Header=BB2_2021 Depth=3
	s_or_b64 exec, exec, s[48:49]
	v_add_u32_e32 v1, 0xffffff81, v1
	v_mov_b32_e32 v2, 0xffffff82
	v_cndmask_b32_e32 v1, v1, v2, vcc
	v_lshrrev_b32_e32 v2, 23, v16
	v_add3_u32 v24, v24, v1, v2
	v_add_u32_e32 v18, 14, v24
	v_and_b32_e32 v1, 0x1fffff, v17
	v_add_u32_e32 v2, v1, v16
	v_cmp_ne_u32_e32 vcc, 0, v18
                                        ; implicit-def: $vgpr16_vgpr17
                                        ; implicit-def: $vgpr1
	s_and_saveexec_b64 s[40:41], vcc
	s_xor_b64 s[40:41], exec, s[40:41]
; %bb.2207:                             ;   in Loop: Header=BB2_2021 Depth=3
	v_cmp_lt_u64_e32 vcc, s[88:89], v[2:3]
	v_add_u32_e32 v1, 15, v24
	v_cndmask_b32_e64 v16, 0, 1, vcc
	v_cndmask_b32_e32 v1, v18, v1, vcc
	v_lshrrev_b64 v[16:17], v16, v[2:3]
; %bb.2208:                             ;   in Loop: Header=BB2_2021 Depth=3
	s_andn2_saveexec_b64 s[40:41], s[40:41]
; %bb.2209:                             ;   in Loop: Header=BB2_2021 Depth=3
	v_mov_b32_e32 v17, v3
	v_bfe_u32 v1, v2, 23, 1
	v_mov_b32_e32 v16, v2
; %bb.2210:                             ;   in Loop: Header=BB2_2021 Depth=3
	s_or_b64 exec, exec, s[40:41]
	v_lshrrev_b64 v[16:17], 21, v[16:17]
	v_cmp_gt_i32_e32 vcc, 32, v1
	v_cndmask_b32_e32 v17, 0, v17, vcc
	v_cndmask_b32_e32 v16, 3, v16, vcc
	v_cmp_eq_u32_e32 vcc, 0, v1
	v_min_i32_e32 v1, 31, v1
	v_cmp_eq_u64_e64 s[40:41], 0, v[16:17]
	v_lshlrev_b32_e32 v1, 2, v1
	v_and_b32_e32 v1, 0xfc, v1
	v_and_or_b32 v1, v16, 3, v1
	s_and_b64 s[40:41], vcc, s[40:41]
	v_cndmask_b32_e64 v1, v1, 0, s[40:41]
	v_or_b32_e32 v24, v1, v25
.LBB2_2211:                             ;   in Loop: Header=BB2_2021 Depth=3
	s_or_b64 exec, exec, s[38:39]
                                        ; implicit-def: $vgpr25
.LBB2_2212:                             ;   in Loop: Header=BB2_2021 Depth=3
	s_andn2_saveexec_b64 s[40:41], s[36:37]
; %bb.2213:                             ;   in Loop: Header=BB2_2021 Depth=3
	v_or_b32_e32 v24, 0x7b, v25
; %bb.2214:                             ;   in Loop: Header=BB2_2021 Depth=3
	s_or_b64 exec, exec, s[40:41]
                                        ; implicit-def: $vgpr1
.LBB2_2215:                             ;   in Loop: Header=BB2_2021 Depth=3
	s_andn2_saveexec_b64 s[40:41], s[42:43]
	s_cbranch_execz .LBB2_2221
; %bb.2216:                             ;   in Loop: Header=BB2_2021 Depth=3
	v_cmp_ne_u64_e32 vcc, 0, v[2:3]
                                        ; implicit-def: $vgpr24
	s_and_saveexec_b64 s[42:43], vcc
	s_xor_b64 s[42:43], exec, s[42:43]
; %bb.2217:                             ;   in Loop: Header=BB2_2021 Depth=3
	v_or_b32_sdwa v24, v1, s81 dst_sel:DWORD dst_unused:UNUSED_PAD src0_sel:BYTE_3 src1_sel:DWORD
                                        ; implicit-def: $vgpr1
; %bb.2218:                             ;   in Loop: Header=BB2_2021 Depth=3
	s_andn2_saveexec_b64 s[42:43], s[42:43]
; %bb.2219:                             ;   in Loop: Header=BB2_2021 Depth=3
	v_cmp_lt_i32_e32 vcc, -1, v1
	v_cndmask_b32_e32 v24, v0, v49, vcc
; %bb.2220:                             ;   in Loop: Header=BB2_2021 Depth=3
	s_or_b64 exec, exec, s[42:43]
.LBB2_2221:                             ;   in Loop: Header=BB2_2021 Depth=3
	s_or_b64 exec, exec, s[40:41]
	v_lshrrev_b32_e32 v2, 16, v13
	v_cmp_ne_u16_sdwa s[42:43], v2, v3 src0_sel:BYTE_0 src1_sel:DWORD
	v_mov_b32_e32 v1, 0
	s_and_saveexec_b64 s[40:41], s[42:43]
	s_cbranch_execz .LBB2_2229
; %bb.2222:                             ;   in Loop: Header=BB2_2021 Depth=3
	v_cmp_ne_u16_sdwa vcc, v2, s82 src0_sel:BYTE_0 src1_sel:DWORD
	v_bfrev_b32_e32 v1, 1
	s_and_saveexec_b64 s[42:43], vcc
	s_cbranch_execz .LBB2_2228
; %bb.2223:                             ;   in Loop: Header=BB2_2021 Depth=3
	v_and_b32_e32 v1, 0x7c0000, v13
	v_bfe_u32 v16, v13, 16, 2
	v_cmp_ne_u32_e32 vcc, s45, v1
                                        ; implicit-def: $vgpr1
	s_and_saveexec_b64 s[36:37], vcc
	s_xor_b64 s[36:37], exec, s[36:37]
	s_cbranch_execz .LBB2_2225
; %bb.2224:                             ;   in Loop: Header=BB2_2021 Depth=3
	v_ffbh_u32_e32 v1, v16
	v_min_u32_e32 v18, 32, v1
	v_subrev_u32_e32 v1, 29, v18
	v_lshlrev_b64 v[1:2], v1, v[2:3]
	v_bfe_u32 v17, v13, 18, 5
	v_and_b32_e32 v1, 3, v1
	v_cmp_eq_u32_e32 vcc, 0, v17
	v_sub_u32_e32 v2, 30, v18
	v_cndmask_b32_e32 v1, v16, v1, vcc
	v_lshlrev_b32_e32 v16, 8, v13
	v_cndmask_b32_e32 v2, v17, v2, vcc
	v_and_b32_e32 v16, 0x80000000, v16
	v_lshl_add_u32 v2, v2, 23, v16
	v_lshl_or_b32 v1, v1, 21, v2
	v_add_u32_e32 v1, 0x38000000, v1
                                        ; implicit-def: $vgpr16
                                        ; implicit-def: $vgpr2
.LBB2_2225:                             ;   in Loop: Header=BB2_2021 Depth=3
	s_andn2_saveexec_b64 s[36:37], s[36:37]
; %bb.2226:                             ;   in Loop: Header=BB2_2021 Depth=3
	v_cmp_gt_i16_sdwa vcc, sext(v2), v26 src0_sel:BYTE_0 src1_sel:DWORD
	v_cndmask_b32_e32 v1, v27, v6, vcc
	v_cmp_eq_u32_e32 vcc, 0, v16
	v_cndmask_b32_e32 v1, v7, v1, vcc
; %bb.2227:                             ;   in Loop: Header=BB2_2021 Depth=3
	s_or_b64 exec, exec, s[36:37]
.LBB2_2228:                             ;   in Loop: Header=BB2_2021 Depth=3
	s_or_b64 exec, exec, s[42:43]
.LBB2_2229:                             ;   in Loop: Header=BB2_2021 Depth=3
	s_or_b64 exec, exec, s[40:41]
	v_lshrrev_b32_e32 v2, 16, v9
	v_cmp_gt_i16_sdwa s[42:43], v2, s81 src0_sel:BYTE_0 src1_sel:DWORD
	s_mov_b64 s[40:41], 0
	s_and_saveexec_b64 vcc, s[42:43]
	s_xor_b64 s[42:43], exec, vcc
	s_cbranch_execz .LBB2_2556
; %bb.2230:                             ;   in Loop: Header=BB2_2021 Depth=3
	v_cmp_eq_u16_sdwa s[36:37], v2, s82 src0_sel:BYTE_0 src1_sel:DWORD
	s_mov_b64 s[40:41], -1
	s_and_saveexec_b64 vcc, s[36:37]
; %bb.2231:                             ;   in Loop: Header=BB2_2021 Depth=3
	s_xor_b64 s[40:41], exec, -1
; %bb.2232:                             ;   in Loop: Header=BB2_2021 Depth=3
	s_or_b64 exec, exec, vcc
	s_and_b64 s[40:41], s[40:41], exec
	s_or_saveexec_b64 s[42:43], s[42:43]
	v_bfrev_b32_e32 v16, 1
	s_xor_b64 exec, exec, s[42:43]
	s_cbranch_execnz .LBB2_2557
.LBB2_2233:                             ;   in Loop: Header=BB2_2021 Depth=3
	s_or_b64 exec, exec, s[42:43]
	s_and_saveexec_b64 s[36:37], s[40:41]
	s_cbranch_execz .LBB2_2235
.LBB2_2234:                             ;   in Loop: Header=BB2_2021 Depth=3
	v_and_b32_e32 v18, 3, v2
	v_and_b32_e32 v16, 0x7c0000, v9
	v_cmp_eq_u32_e32 vcc, s45, v16
	v_ffbh_u32_e32 v16, v18
	v_min_u32_e32 v39, 32, v16
	v_subrev_u32_e32 v16, 29, v39
	v_bfe_u32 v25, v9, 18, 5
	v_lshlrev_b64 v[16:17], v16, v[2:3]
	v_cmp_eq_u32_e64 s[40:41], 0, v25
	v_sub_u32_e32 v17, 30, v39
	v_cndmask_b32_e64 v17, v25, v17, s[40:41]
	v_lshlrev_b32_e32 v25, 24, v2
	v_and_b32_e32 v16, 3, v16
	v_and_b32_e32 v25, 0x80000000, v25
	v_cndmask_b32_e64 v16, v18, v16, s[40:41]
	v_lshl_add_u32 v17, v17, 23, v25
	v_cmp_gt_i16_sdwa s[42:43], sext(v2), v26 src0_sel:BYTE_0 src1_sel:DWORD
	v_lshl_or_b32 v16, v16, 21, v17
	v_cmp_eq_u32_e64 s[40:41], 0, v18
	v_cndmask_b32_e64 v2, v27, v6, s[42:43]
	v_add_u32_e32 v16, 0x38000000, v16
	v_cndmask_b32_e64 v2, v7, v2, s[40:41]
	v_cndmask_b32_e32 v16, v16, v2, vcc
.LBB2_2235:                             ;   in Loop: Header=BB2_2021 Depth=3
	s_or_b64 exec, exec, s[36:37]
	v_mul_f32_e32 v1, v1, v16
	v_and_b32_e32 v16, 0x7f800000, v1
	v_mov_b32_e32 v17, v3
	v_cmp_ne_u64_e32 vcc, s[62:63], v[16:17]
	v_and_b32_e32 v2, 0x7fffff, v1
                                        ; implicit-def: $vgpr18
	s_and_saveexec_b64 s[40:41], vcc
	s_xor_b64 s[42:43], exec, s[40:41]
	s_cbranch_execz .LBB2_2249
; %bb.2236:                             ;   in Loop: Header=BB2_2021 Depth=3
	v_and_b32_e32 v16, 0x7fffffff, v1
	v_mov_b32_e32 v17, v3
	v_cmp_gt_u64_e32 vcc, s[78:79], v[16:17]
	v_and_b32_sdwa v25, v1, s82 dst_sel:DWORD dst_unused:UNUSED_PAD src0_sel:BYTE_3 src1_sel:DWORD
                                        ; implicit-def: $vgpr18
	s_and_saveexec_b64 s[40:41], vcc
	s_xor_b64 s[36:37], exec, s[40:41]
	s_cbranch_execz .LBB2_2246
; %bb.2237:                             ;   in Loop: Header=BB2_2021 Depth=3
	v_mov_b32_e32 v18, 0
	v_cmp_ne_u32_e32 vcc, 0, v1
	s_and_saveexec_b64 s[38:39], vcc
	s_cbranch_execz .LBB2_2245
; %bb.2238:                             ;   in Loop: Header=BB2_2021 Depth=3
	v_bfe_u32 v1, v1, 23, 8
	v_cmp_gt_u32_e64 s[40:41], s44, v1
	v_sub_u32_e32 v16, 0x71, v1
	v_cmp_eq_u32_e32 vcc, 0, v1
	v_cndmask_b32_e64 v16, 0, v16, s[40:41]
	v_mov_b32_e32 v18, 0x70
	v_cndmask_b32_e32 v39, v16, v18, vcc
	v_or_b32_e32 v17, 0x800000, v2
	v_add_u32_e32 v16, 21, v39
	v_cndmask_b32_e32 v2, v17, v2, vcc
	v_lshlrev_b64 v[16:17], v16, -1
	v_add_u32_e32 v18, 20, v39
	v_lshlrev_b64 v[40:41], v18, 1
	v_bfi_b32 v17, v17, 0, 0
	v_bfi_b32 v16, v16, 0, v2
	v_cmp_eq_u64_e64 s[40:41], v[16:17], v[40:41]
	v_lshrrev_b64 v[16:17], v39, v[2:3]
	v_mov_b32_e32 v18, v17
	v_mov_b32_e32 v17, v16
	s_and_saveexec_b64 s[48:49], s[40:41]
; %bb.2239:                             ;   in Loop: Header=BB2_2021 Depth=3
	v_bfe_u32 v2, v16, 21, 1
	v_add_co_u32_e64 v2, s[40:41], v16, v2
	v_add_co_u32_e64 v17, s[40:41], -1, v2
; %bb.2240:                             ;   in Loop: Header=BB2_2021 Depth=3
	s_or_b64 exec, exec, s[48:49]
	v_add_u32_e32 v1, 0xffffff81, v1
	v_mov_b32_e32 v2, 0xffffff82
	v_cndmask_b32_e32 v1, v1, v2, vcc
	v_lshrrev_b32_e32 v2, 23, v16
	v_add3_u32 v39, v39, v1, v2
	v_add_u32_e32 v18, 14, v39
	v_and_b32_e32 v1, 0x1fffff, v17
	v_add_u32_e32 v2, v1, v16
	v_cmp_ne_u32_e32 vcc, 0, v18
                                        ; implicit-def: $vgpr16_vgpr17
                                        ; implicit-def: $vgpr1
	s_and_saveexec_b64 s[40:41], vcc
	s_xor_b64 s[40:41], exec, s[40:41]
; %bb.2241:                             ;   in Loop: Header=BB2_2021 Depth=3
	v_cmp_lt_u64_e32 vcc, s[88:89], v[2:3]
	v_add_u32_e32 v1, 15, v39
	v_cndmask_b32_e64 v16, 0, 1, vcc
	v_cndmask_b32_e32 v1, v18, v1, vcc
	v_lshrrev_b64 v[16:17], v16, v[2:3]
; %bb.2242:                             ;   in Loop: Header=BB2_2021 Depth=3
	s_andn2_saveexec_b64 s[40:41], s[40:41]
; %bb.2243:                             ;   in Loop: Header=BB2_2021 Depth=3
	v_mov_b32_e32 v17, v3
	v_bfe_u32 v1, v2, 23, 1
	v_mov_b32_e32 v16, v2
; %bb.2244:                             ;   in Loop: Header=BB2_2021 Depth=3
	s_or_b64 exec, exec, s[40:41]
	v_lshrrev_b64 v[16:17], 21, v[16:17]
	v_cmp_gt_i32_e32 vcc, 32, v1
	v_cndmask_b32_e32 v17, 0, v17, vcc
	v_cndmask_b32_e32 v16, 3, v16, vcc
	v_cmp_eq_u32_e32 vcc, 0, v1
	v_min_i32_e32 v1, 31, v1
	v_cmp_eq_u64_e64 s[40:41], 0, v[16:17]
	v_lshlrev_b32_e32 v1, 2, v1
	v_and_b32_e32 v1, 0xfc, v1
	v_and_or_b32 v1, v16, 3, v1
	s_and_b64 s[40:41], vcc, s[40:41]
	v_cndmask_b32_e64 v1, v1, 0, s[40:41]
	v_or_b32_e32 v18, v1, v25
.LBB2_2245:                             ;   in Loop: Header=BB2_2021 Depth=3
	s_or_b64 exec, exec, s[38:39]
                                        ; implicit-def: $vgpr25
.LBB2_2246:                             ;   in Loop: Header=BB2_2021 Depth=3
	s_andn2_saveexec_b64 s[40:41], s[36:37]
; %bb.2247:                             ;   in Loop: Header=BB2_2021 Depth=3
	v_or_b32_e32 v18, 0x7b, v25
; %bb.2248:                             ;   in Loop: Header=BB2_2021 Depth=3
	s_or_b64 exec, exec, s[40:41]
                                        ; implicit-def: $vgpr1
.LBB2_2249:                             ;   in Loop: Header=BB2_2021 Depth=3
	s_andn2_saveexec_b64 s[40:41], s[42:43]
	s_cbranch_execz .LBB2_2255
; %bb.2250:                             ;   in Loop: Header=BB2_2021 Depth=3
	v_cmp_ne_u64_e32 vcc, 0, v[2:3]
                                        ; implicit-def: $vgpr18
	s_and_saveexec_b64 s[42:43], vcc
	s_xor_b64 s[42:43], exec, s[42:43]
; %bb.2251:                             ;   in Loop: Header=BB2_2021 Depth=3
	v_or_b32_sdwa v18, v1, s81 dst_sel:DWORD dst_unused:UNUSED_PAD src0_sel:BYTE_3 src1_sel:DWORD
                                        ; implicit-def: $vgpr1
; %bb.2252:                             ;   in Loop: Header=BB2_2021 Depth=3
	s_andn2_saveexec_b64 s[42:43], s[42:43]
; %bb.2253:                             ;   in Loop: Header=BB2_2021 Depth=3
	v_cmp_lt_i32_e32 vcc, -1, v1
	v_cndmask_b32_e32 v18, v0, v49, vcc
; %bb.2254:                             ;   in Loop: Header=BB2_2021 Depth=3
	s_or_b64 exec, exec, s[42:43]
.LBB2_2255:                             ;   in Loop: Header=BB2_2021 Depth=3
	s_or_b64 exec, exec, s[40:41]
	v_cmp_lt_u64_e32 vcc, s[56:57], v[12:13]
	v_mov_b32_e32 v1, 0
	s_and_saveexec_b64 s[40:41], vcc
	s_cbranch_execz .LBB2_2263
; %bb.2256:                             ;   in Loop: Header=BB2_2021 Depth=3
	v_lshrrev_b32_e32 v2, 24, v13
	v_cmp_ne_u32_e32 vcc, s82, v2
	v_bfrev_b32_e32 v1, 1
	s_and_saveexec_b64 s[42:43], vcc
	s_cbranch_execz .LBB2_2262
; %bb.2257:                             ;   in Loop: Header=BB2_2021 Depth=3
	v_and_b32_e32 v1, 0x7c000000, v13
	v_bfe_u32 v16, v13, 24, 2
	v_cmp_ne_u32_e32 vcc, s83, v1
                                        ; implicit-def: $vgpr1
	s_and_saveexec_b64 s[36:37], vcc
	s_xor_b64 s[36:37], exec, s[36:37]
	s_cbranch_execz .LBB2_2259
; %bb.2258:                             ;   in Loop: Header=BB2_2021 Depth=3
	v_ffbh_u32_e32 v1, v16
	v_min_u32_e32 v25, 32, v1
	v_subrev_u32_e32 v1, 29, v25
	v_lshlrev_b64 v[1:2], v1, v[2:3]
	v_bfe_u32 v17, v13, 26, 5
	v_sub_u32_e32 v2, 30, v25
	v_and_b32_e32 v1, 3, v1
	v_cmp_eq_u32_e32 vcc, 0, v17
	v_cndmask_b32_e32 v2, v17, v2, vcc
	v_cndmask_b32_e32 v1, v16, v1, vcc
	v_and_b32_e32 v16, 0x80000000, v13
	v_lshl_add_u32 v2, v2, 23, v16
	v_lshl_or_b32 v1, v1, 21, v2
	v_add_u32_e32 v1, 0x38000000, v1
                                        ; implicit-def: $vgpr16
.LBB2_2259:                             ;   in Loop: Header=BB2_2021 Depth=3
	s_andn2_saveexec_b64 s[36:37], s[36:37]
; %bb.2260:                             ;   in Loop: Header=BB2_2021 Depth=3
	v_cmp_lt_i64_e32 vcc, -1, v[12:13]
	v_cndmask_b32_e32 v1, v27, v6, vcc
	v_cmp_eq_u32_e32 vcc, 0, v16
	v_cndmask_b32_e32 v1, v7, v1, vcc
; %bb.2261:                             ;   in Loop: Header=BB2_2021 Depth=3
	s_or_b64 exec, exec, s[36:37]
.LBB2_2262:                             ;   in Loop: Header=BB2_2021 Depth=3
	s_or_b64 exec, exec, s[42:43]
.LBB2_2263:                             ;   in Loop: Header=BB2_2021 Depth=3
	s_or_b64 exec, exec, s[40:41]
	v_bfe_u32 v16, v9, 24, 2
	v_and_b32_e32 v12, 0x7c000000, v9
	v_cmp_eq_u32_e32 vcc, s83, v12
	v_ffbh_u32_e32 v12, v16
	v_min_u32_e32 v25, 32, v12
	v_lshrrev_b32_e32 v2, 24, v9
	v_subrev_u32_e32 v12, 29, v25
	v_bfe_u32 v17, v9, 26, 5
	v_lshlrev_b64 v[12:13], v12, v[2:3]
	v_cmp_eq_u32_e64 s[40:41], 0, v17
	v_sub_u32_e32 v13, 30, v25
	v_and_b32_e32 v12, 3, v12
	v_cndmask_b32_e64 v13, v17, v13, s[40:41]
	v_and_b32_e32 v17, 0x80000000, v9
	v_cmp_lt_i64_e64 s[42:43], -1, v[8:9]
	v_cndmask_b32_e64 v12, v16, v12, s[40:41]
	v_lshl_add_u32 v13, v13, 23, v17
	v_lshl_or_b32 v12, v12, 21, v13
	v_cmp_eq_u32_e64 s[40:41], 0, v16
	v_cndmask_b32_e64 v13, v27, v6, s[42:43]
	v_add_u32_e32 v12, 0x38000000, v12
	v_cndmask_b32_e64 v13, v7, v13, s[40:41]
	v_cndmask_b32_e32 v12, v12, v13, vcc
	v_cmp_ne_u32_e32 vcc, s82, v2
	v_cndmask_b32_e32 v2, v53, v12, vcc
	v_cmp_lt_u64_e32 vcc, s[56:57], v[8:9]
	v_mov_b32_e32 v9, v3
	v_cndmask_b32_e32 v2, 0, v2, vcc
	v_mul_f32_e32 v1, v2, v1
	v_and_b32_e32 v8, 0x7f800000, v1
	v_cmp_ne_u64_e32 vcc, s[62:63], v[8:9]
	v_and_b32_e32 v2, 0x7fffff, v1
                                        ; implicit-def: $vgpr25
	s_and_saveexec_b64 s[40:41], vcc
	s_xor_b64 s[42:43], exec, s[40:41]
	s_cbranch_execz .LBB2_2277
; %bb.2264:                             ;   in Loop: Header=BB2_2021 Depth=3
	v_and_b32_e32 v8, 0x7fffffff, v1
	v_mov_b32_e32 v9, v3
	v_cmp_gt_u64_e32 vcc, s[78:79], v[8:9]
	v_and_b32_sdwa v16, v1, s82 dst_sel:DWORD dst_unused:UNUSED_PAD src0_sel:BYTE_3 src1_sel:DWORD
                                        ; implicit-def: $vgpr25
	s_and_saveexec_b64 s[40:41], vcc
	s_xor_b64 s[36:37], exec, s[40:41]
	s_cbranch_execz .LBB2_2274
; %bb.2265:                             ;   in Loop: Header=BB2_2021 Depth=3
	v_mov_b32_e32 v25, 0
	v_cmp_ne_u32_e32 vcc, 0, v1
	s_and_saveexec_b64 s[38:39], vcc
	s_cbranch_execz .LBB2_2273
; %bb.2266:                             ;   in Loop: Header=BB2_2021 Depth=3
	v_bfe_u32 v1, v1, 23, 8
	v_cmp_gt_u32_e64 s[40:41], s44, v1
	v_sub_u32_e32 v8, 0x71, v1
	v_cmp_eq_u32_e32 vcc, 0, v1
	v_cndmask_b32_e64 v8, 0, v8, s[40:41]
	v_mov_b32_e32 v12, 0x70
	v_cndmask_b32_e32 v17, v8, v12, vcc
	v_or_b32_e32 v9, 0x800000, v2
	v_add_u32_e32 v8, 21, v17
	v_cndmask_b32_e32 v2, v9, v2, vcc
	v_lshlrev_b64 v[8:9], v8, -1
	v_add_u32_e32 v12, 20, v17
	v_lshlrev_b64 v[12:13], v12, 1
	v_bfi_b32 v9, v9, 0, 0
	v_bfi_b32 v8, v8, 0, v2
	v_cmp_eq_u64_e64 s[40:41], v[8:9], v[12:13]
	v_lshrrev_b64 v[8:9], v17, v[2:3]
	v_mov_b32_e32 v13, v9
	v_mov_b32_e32 v12, v8
	s_and_saveexec_b64 s[48:49], s[40:41]
; %bb.2267:                             ;   in Loop: Header=BB2_2021 Depth=3
	v_bfe_u32 v2, v8, 21, 1
	v_add_co_u32_e64 v2, s[40:41], v8, v2
	v_add_co_u32_e64 v12, s[40:41], -1, v2
; %bb.2268:                             ;   in Loop: Header=BB2_2021 Depth=3
	s_or_b64 exec, exec, s[48:49]
	v_add_u32_e32 v1, 0xffffff81, v1
	v_mov_b32_e32 v2, 0xffffff82
	v_cndmask_b32_e32 v1, v1, v2, vcc
	v_lshrrev_b32_e32 v2, 23, v8
	v_add3_u32 v17, v17, v1, v2
	v_add_u32_e32 v13, 14, v17
	v_and_b32_e32 v1, 0x1fffff, v12
	v_add_u32_e32 v2, v1, v8
	v_cmp_ne_u32_e32 vcc, 0, v13
                                        ; implicit-def: $vgpr8_vgpr9
                                        ; implicit-def: $vgpr1
	s_and_saveexec_b64 s[40:41], vcc
	s_xor_b64 s[40:41], exec, s[40:41]
; %bb.2269:                             ;   in Loop: Header=BB2_2021 Depth=3
	v_cmp_lt_u64_e32 vcc, s[88:89], v[2:3]
	v_add_u32_e32 v1, 15, v17
	v_cndmask_b32_e64 v8, 0, 1, vcc
	v_cndmask_b32_e32 v1, v13, v1, vcc
	v_lshrrev_b64 v[8:9], v8, v[2:3]
; %bb.2270:                             ;   in Loop: Header=BB2_2021 Depth=3
	s_andn2_saveexec_b64 s[40:41], s[40:41]
; %bb.2271:                             ;   in Loop: Header=BB2_2021 Depth=3
	v_mov_b32_e32 v9, v3
	v_bfe_u32 v1, v2, 23, 1
	v_mov_b32_e32 v8, v2
; %bb.2272:                             ;   in Loop: Header=BB2_2021 Depth=3
	s_or_b64 exec, exec, s[40:41]
	v_lshrrev_b64 v[8:9], 21, v[8:9]
	v_cmp_gt_i32_e32 vcc, 32, v1
	v_cndmask_b32_e32 v9, 0, v9, vcc
	v_cndmask_b32_e32 v8, 3, v8, vcc
	v_cmp_eq_u32_e32 vcc, 0, v1
	v_min_i32_e32 v1, 31, v1
	v_cmp_eq_u64_e64 s[40:41], 0, v[8:9]
	v_lshlrev_b32_e32 v1, 2, v1
	v_and_b32_e32 v1, 0xfc, v1
	v_and_or_b32 v1, v8, 3, v1
	s_and_b64 s[40:41], vcc, s[40:41]
	v_cndmask_b32_e64 v1, v1, 0, s[40:41]
	v_or_b32_e32 v25, v1, v16
.LBB2_2273:                             ;   in Loop: Header=BB2_2021 Depth=3
	s_or_b64 exec, exec, s[38:39]
                                        ; implicit-def: $vgpr16
.LBB2_2274:                             ;   in Loop: Header=BB2_2021 Depth=3
	s_andn2_saveexec_b64 s[40:41], s[36:37]
; %bb.2275:                             ;   in Loop: Header=BB2_2021 Depth=3
	v_or_b32_e32 v25, 0x7b, v16
; %bb.2276:                             ;   in Loop: Header=BB2_2021 Depth=3
	s_or_b64 exec, exec, s[40:41]
                                        ; implicit-def: $vgpr1
.LBB2_2277:                             ;   in Loop: Header=BB2_2021 Depth=3
	s_andn2_saveexec_b64 s[40:41], s[42:43]
	s_cbranch_execz .LBB2_2283
; %bb.2278:                             ;   in Loop: Header=BB2_2021 Depth=3
	v_cmp_ne_u64_e32 vcc, 0, v[2:3]
                                        ; implicit-def: $vgpr25
	s_and_saveexec_b64 s[42:43], vcc
	s_xor_b64 s[42:43], exec, s[42:43]
; %bb.2279:                             ;   in Loop: Header=BB2_2021 Depth=3
	v_or_b32_sdwa v25, v1, s81 dst_sel:DWORD dst_unused:UNUSED_PAD src0_sel:BYTE_3 src1_sel:DWORD
                                        ; implicit-def: $vgpr1
; %bb.2280:                             ;   in Loop: Header=BB2_2021 Depth=3
	s_andn2_saveexec_b64 s[42:43], s[42:43]
; %bb.2281:                             ;   in Loop: Header=BB2_2021 Depth=3
	v_cmp_lt_i32_e32 vcc, -1, v1
	v_cndmask_b32_e32 v25, v0, v49, vcc
; %bb.2282:                             ;   in Loop: Header=BB2_2021 Depth=3
	s_or_b64 exec, exec, s[42:43]
.LBB2_2283:                             ;   in Loop: Header=BB2_2021 Depth=3
	s_or_b64 exec, exec, s[40:41]
	v_cmp_ne_u16_sdwa s[42:43], v14, v3 src0_sel:BYTE_0 src1_sel:DWORD
	v_mov_b32_e32 v1, 0
	s_and_saveexec_b64 s[40:41], s[42:43]
	s_cbranch_execz .LBB2_2291
; %bb.2284:                             ;   in Loop: Header=BB2_2021 Depth=3
	v_cmp_ne_u16_sdwa vcc, sext(v14), s70 src0_sel:BYTE_0 src1_sel:DWORD
	v_bfrev_b32_e32 v1, 1
	s_and_saveexec_b64 s[42:43], vcc
	s_cbranch_execz .LBB2_2290
; %bb.2285:                             ;   in Loop: Header=BB2_2021 Depth=3
	v_and_b32_e32 v1, 0x7c, v14
	v_and_b32_e32 v2, 3, v14
	v_cmp_ne_u32_e32 vcc, s71, v1
                                        ; implicit-def: $vgpr1
	s_and_saveexec_b64 s[36:37], vcc
	s_xor_b64 s[36:37], exec, s[36:37]
	s_cbranch_execz .LBB2_2287
; %bb.2286:                             ;   in Loop: Header=BB2_2021 Depth=3
	v_ffbh_u32_e32 v8, v2
	v_min_u32_e32 v12, 32, v8
	v_subrev_u32_e32 v8, 29, v12
	v_lshlrev_b64 v[8:9], v8, v[14:15]
	v_bfe_u32 v1, v14, 2, 5
	v_and_b32_e32 v8, 3, v8
	v_cmp_eq_u32_e32 vcc, 0, v1
	v_sub_u32_e32 v9, 30, v12
	v_cndmask_b32_e32 v2, v2, v8, vcc
	v_lshlrev_b32_e32 v8, 24, v14
	v_cndmask_b32_e32 v1, v1, v9, vcc
	v_and_b32_e32 v8, 0x80000000, v8
	v_lshl_add_u32 v1, v1, 23, v8
	v_lshl_or_b32 v1, v2, 21, v1
	v_add_u32_e32 v1, 0x38000000, v1
                                        ; implicit-def: $vgpr2
.LBB2_2287:                             ;   in Loop: Header=BB2_2021 Depth=3
	s_andn2_saveexec_b64 s[36:37], s[36:37]
; %bb.2288:                             ;   in Loop: Header=BB2_2021 Depth=3
	v_cmp_gt_i16_sdwa vcc, sext(v14), v26 src0_sel:BYTE_0 src1_sel:DWORD
	v_cndmask_b32_e32 v1, v27, v6, vcc
	v_cmp_eq_u32_e32 vcc, 0, v2
	v_cndmask_b32_e32 v1, v7, v1, vcc
; %bb.2289:                             ;   in Loop: Header=BB2_2021 Depth=3
	s_or_b64 exec, exec, s[36:37]
.LBB2_2290:                             ;   in Loop: Header=BB2_2021 Depth=3
	s_or_b64 exec, exec, s[42:43]
.LBB2_2291:                             ;   in Loop: Header=BB2_2021 Depth=3
	s_or_b64 exec, exec, s[40:41]
	v_cmp_gt_i16_sdwa s[42:43], v10, s81 src0_sel:BYTE_0 src1_sel:DWORD
	s_mov_b64 s[40:41], 0
	s_and_saveexec_b64 vcc, s[42:43]
	s_xor_b64 s[42:43], exec, vcc
	s_cbranch_execz .LBB2_2558
; %bb.2292:                             ;   in Loop: Header=BB2_2021 Depth=3
	v_cmp_eq_u16_sdwa s[36:37], v10, s82 src0_sel:BYTE_0 src1_sel:DWORD
	s_mov_b64 s[40:41], -1
	s_and_saveexec_b64 vcc, s[36:37]
; %bb.2293:                             ;   in Loop: Header=BB2_2021 Depth=3
	s_xor_b64 s[40:41], exec, -1
; %bb.2294:                             ;   in Loop: Header=BB2_2021 Depth=3
	s_or_b64 exec, exec, vcc
	s_and_b64 s[40:41], s[40:41], exec
	s_or_saveexec_b64 s[42:43], s[42:43]
	v_bfrev_b32_e32 v2, 1
	s_xor_b64 exec, exec, s[42:43]
	s_cbranch_execnz .LBB2_2559
.LBB2_2295:                             ;   in Loop: Header=BB2_2021 Depth=3
	s_or_b64 exec, exec, s[42:43]
	s_and_saveexec_b64 s[36:37], s[40:41]
	s_cbranch_execz .LBB2_2297
.LBB2_2296:                             ;   in Loop: Header=BB2_2021 Depth=3
	v_and_b32_e32 v2, 3, v10
	v_and_b32_e32 v8, 0x7c, v10
	v_cmp_eq_u32_e32 vcc, s71, v8
	v_ffbh_u32_e32 v8, v2
	v_min_u32_e32 v13, 32, v8
	v_subrev_u32_e32 v8, 29, v13
	v_bfe_u32 v12, v10, 2, 5
	v_lshlrev_b64 v[8:9], v8, v[10:11]
	v_cmp_eq_u32_e64 s[40:41], 0, v12
	v_sub_u32_e32 v9, 30, v13
	v_cndmask_b32_e64 v9, v12, v9, s[40:41]
	v_lshlrev_b32_e32 v12, 24, v10
	v_and_b32_e32 v8, 3, v8
	v_and_b32_e32 v12, 0x80000000, v12
	v_cndmask_b32_e64 v8, v2, v8, s[40:41]
	v_lshl_add_u32 v9, v9, 23, v12
	v_cmp_gt_i16_sdwa s[42:43], sext(v10), v26 src0_sel:BYTE_0 src1_sel:DWORD
	v_lshl_or_b32 v8, v8, 21, v9
	v_cmp_eq_u32_e64 s[40:41], 0, v2
	v_cndmask_b32_e64 v2, v27, v6, s[42:43]
	v_add_u32_e32 v8, 0x38000000, v8
	v_cndmask_b32_e64 v2, v7, v2, s[40:41]
	v_cndmask_b32_e32 v2, v8, v2, vcc
.LBB2_2297:                             ;   in Loop: Header=BB2_2021 Depth=3
	s_or_b64 exec, exec, s[36:37]
	v_mul_f32_e32 v1, v1, v2
	v_and_b32_e32 v8, 0x7f800000, v1
	v_mov_b32_e32 v9, v3
	v_cmp_ne_u64_e32 vcc, s[62:63], v[8:9]
	v_and_b32_e32 v2, 0x7fffff, v1
                                        ; implicit-def: $vgpr52
	s_and_saveexec_b64 s[40:41], vcc
	s_xor_b64 s[42:43], exec, s[40:41]
	s_cbranch_execz .LBB2_2311
; %bb.2298:                             ;   in Loop: Header=BB2_2021 Depth=3
	v_and_b32_e32 v8, 0x7fffffff, v1
	v_mov_b32_e32 v9, v3
	v_cmp_gt_u64_e32 vcc, s[78:79], v[8:9]
	v_and_b32_sdwa v16, v1, s82 dst_sel:DWORD dst_unused:UNUSED_PAD src0_sel:BYTE_3 src1_sel:DWORD
                                        ; implicit-def: $vgpr52
	s_and_saveexec_b64 s[40:41], vcc
	s_xor_b64 s[36:37], exec, s[40:41]
	s_cbranch_execz .LBB2_2308
; %bb.2299:                             ;   in Loop: Header=BB2_2021 Depth=3
	v_mov_b32_e32 v52, 0
	v_cmp_ne_u32_e32 vcc, 0, v1
	s_and_saveexec_b64 s[38:39], vcc
	s_cbranch_execz .LBB2_2307
; %bb.2300:                             ;   in Loop: Header=BB2_2021 Depth=3
	v_bfe_u32 v1, v1, 23, 8
	v_cmp_gt_u32_e64 s[40:41], s44, v1
	v_sub_u32_e32 v8, 0x71, v1
	v_cmp_eq_u32_e32 vcc, 0, v1
	v_cndmask_b32_e64 v8, 0, v8, s[40:41]
	v_mov_b32_e32 v12, 0x70
	v_cndmask_b32_e32 v17, v8, v12, vcc
	v_or_b32_e32 v9, 0x800000, v2
	v_add_u32_e32 v8, 21, v17
	v_cndmask_b32_e32 v2, v9, v2, vcc
	v_lshlrev_b64 v[8:9], v8, -1
	v_add_u32_e32 v12, 20, v17
	v_lshlrev_b64 v[12:13], v12, 1
	v_bfi_b32 v9, v9, 0, 0
	v_bfi_b32 v8, v8, 0, v2
	v_cmp_eq_u64_e64 s[40:41], v[8:9], v[12:13]
	v_lshrrev_b64 v[8:9], v17, v[2:3]
	v_mov_b32_e32 v13, v9
	v_mov_b32_e32 v12, v8
	s_and_saveexec_b64 s[48:49], s[40:41]
; %bb.2301:                             ;   in Loop: Header=BB2_2021 Depth=3
	v_bfe_u32 v2, v8, 21, 1
	v_add_co_u32_e64 v2, s[40:41], v8, v2
	v_add_co_u32_e64 v12, s[40:41], -1, v2
; %bb.2302:                             ;   in Loop: Header=BB2_2021 Depth=3
	s_or_b64 exec, exec, s[48:49]
	v_add_u32_e32 v1, 0xffffff81, v1
	v_mov_b32_e32 v2, 0xffffff82
	v_cndmask_b32_e32 v1, v1, v2, vcc
	v_lshrrev_b32_e32 v2, 23, v8
	v_add3_u32 v17, v17, v1, v2
	v_add_u32_e32 v13, 14, v17
	v_and_b32_e32 v1, 0x1fffff, v12
	v_add_u32_e32 v2, v1, v8
	v_cmp_ne_u32_e32 vcc, 0, v13
                                        ; implicit-def: $vgpr8_vgpr9
                                        ; implicit-def: $vgpr1
	s_and_saveexec_b64 s[40:41], vcc
	s_xor_b64 s[40:41], exec, s[40:41]
; %bb.2303:                             ;   in Loop: Header=BB2_2021 Depth=3
	v_cmp_lt_u64_e32 vcc, s[88:89], v[2:3]
	v_add_u32_e32 v1, 15, v17
	v_cndmask_b32_e64 v8, 0, 1, vcc
	v_cndmask_b32_e32 v1, v13, v1, vcc
	v_lshrrev_b64 v[8:9], v8, v[2:3]
; %bb.2304:                             ;   in Loop: Header=BB2_2021 Depth=3
	s_andn2_saveexec_b64 s[40:41], s[40:41]
; %bb.2305:                             ;   in Loop: Header=BB2_2021 Depth=3
	v_mov_b32_e32 v9, v3
	v_bfe_u32 v1, v2, 23, 1
	v_mov_b32_e32 v8, v2
; %bb.2306:                             ;   in Loop: Header=BB2_2021 Depth=3
	s_or_b64 exec, exec, s[40:41]
	v_lshrrev_b64 v[8:9], 21, v[8:9]
	v_cmp_gt_i32_e32 vcc, 32, v1
	v_cndmask_b32_e32 v9, 0, v9, vcc
	v_cndmask_b32_e32 v8, 3, v8, vcc
	v_cmp_eq_u32_e32 vcc, 0, v1
	v_min_i32_e32 v1, 31, v1
	v_cmp_eq_u64_e64 s[40:41], 0, v[8:9]
	v_lshlrev_b32_e32 v1, 2, v1
	v_and_b32_e32 v1, 0xfc, v1
	v_and_or_b32 v1, v8, 3, v1
	s_and_b64 s[40:41], vcc, s[40:41]
	v_cndmask_b32_e64 v1, v1, 0, s[40:41]
	v_or_b32_e32 v52, v1, v16
.LBB2_2307:                             ;   in Loop: Header=BB2_2021 Depth=3
	s_or_b64 exec, exec, s[38:39]
                                        ; implicit-def: $vgpr16
.LBB2_2308:                             ;   in Loop: Header=BB2_2021 Depth=3
	s_andn2_saveexec_b64 s[40:41], s[36:37]
; %bb.2309:                             ;   in Loop: Header=BB2_2021 Depth=3
	v_or_b32_e32 v52, 0x7b, v16
; %bb.2310:                             ;   in Loop: Header=BB2_2021 Depth=3
	s_or_b64 exec, exec, s[40:41]
                                        ; implicit-def: $vgpr1
.LBB2_2311:                             ;   in Loop: Header=BB2_2021 Depth=3
	s_andn2_saveexec_b64 s[40:41], s[42:43]
	s_cbranch_execz .LBB2_2317
; %bb.2312:                             ;   in Loop: Header=BB2_2021 Depth=3
	v_cmp_ne_u64_e32 vcc, 0, v[2:3]
                                        ; implicit-def: $vgpr52
	s_and_saveexec_b64 s[42:43], vcc
	s_xor_b64 s[42:43], exec, s[42:43]
; %bb.2313:                             ;   in Loop: Header=BB2_2021 Depth=3
	v_or_b32_sdwa v52, v1, s81 dst_sel:DWORD dst_unused:UNUSED_PAD src0_sel:BYTE_3 src1_sel:DWORD
                                        ; implicit-def: $vgpr1
; %bb.2314:                             ;   in Loop: Header=BB2_2021 Depth=3
	s_andn2_saveexec_b64 s[42:43], s[42:43]
; %bb.2315:                             ;   in Loop: Header=BB2_2021 Depth=3
	v_cmp_lt_i32_e32 vcc, -1, v1
	v_cndmask_b32_e32 v52, v0, v49, vcc
; %bb.2316:                             ;   in Loop: Header=BB2_2021 Depth=3
	s_or_b64 exec, exec, s[42:43]
.LBB2_2317:                             ;   in Loop: Header=BB2_2021 Depth=3
	s_or_b64 exec, exec, s[40:41]
	v_lshrrev_b16_e32 v2, 8, v14
	v_cmp_ne_u16_e32 vcc, 0, v2
	v_mov_b32_e32 v1, 0
	s_and_saveexec_b64 s[40:41], vcc
	s_cbranch_execz .LBB2_2325
; %bb.2318:                             ;   in Loop: Header=BB2_2021 Depth=3
	v_cmp_ne_u16_e32 vcc, s82, v2
	v_bfrev_b32_e32 v1, 1
	s_and_saveexec_b64 s[42:43], vcc
	s_cbranch_execz .LBB2_2324
; %bb.2319:                             ;   in Loop: Header=BB2_2021 Depth=3
	v_and_b32_e32 v1, 0x7c, v2
	v_and_b32_e32 v8, 3, v2
	v_cmp_ne_u32_e32 vcc, s71, v1
                                        ; implicit-def: $vgpr1
	s_and_saveexec_b64 s[36:37], vcc
	s_xor_b64 s[36:37], exec, s[36:37]
	s_cbranch_execz .LBB2_2321
; %bb.2320:                             ;   in Loop: Header=BB2_2021 Depth=3
	v_ffbh_u32_e32 v1, v8
	v_min_u32_e32 v12, 32, v1
	v_subrev_u32_e32 v1, 29, v12
	v_bfe_u32 v9, v2, 2, 5
	v_lshlrev_b64 v[1:2], v1, v[2:3]
	v_cmp_eq_u32_e32 vcc, 0, v9
	v_and_b32_e32 v1, 3, v1
	v_sub_u32_e32 v2, 30, v12
	v_cndmask_b32_e32 v1, v8, v1, vcc
	v_lshlrev_b32_e32 v8, 16, v14
	v_cndmask_b32_e32 v2, v9, v2, vcc
	v_and_b32_e32 v8, 0x80000000, v8
	v_lshl_add_u32 v2, v2, 23, v8
	v_lshl_or_b32 v1, v1, 21, v2
	v_add_u32_e32 v1, 0x38000000, v1
                                        ; implicit-def: $vgpr8
.LBB2_2321:                             ;   in Loop: Header=BB2_2021 Depth=3
	s_andn2_saveexec_b64 s[36:37], s[36:37]
; %bb.2322:                             ;   in Loop: Header=BB2_2021 Depth=3
	v_cmp_lt_i16_e32 vcc, -1, v14
	v_cndmask_b32_e32 v1, v27, v6, vcc
	v_cmp_eq_u32_e32 vcc, 0, v8
	v_cndmask_b32_e32 v1, v7, v1, vcc
; %bb.2323:                             ;   in Loop: Header=BB2_2021 Depth=3
	s_or_b64 exec, exec, s[36:37]
.LBB2_2324:                             ;   in Loop: Header=BB2_2021 Depth=3
	s_or_b64 exec, exec, s[42:43]
.LBB2_2325:                             ;   in Loop: Header=BB2_2021 Depth=3
	s_or_b64 exec, exec, s[40:41]
	v_lshrrev_b16_e32 v2, 8, v10
	v_cmp_lt_i16_e32 vcc, s81, v2
	s_mov_b64 s[40:41], 0
	s_and_saveexec_b64 s[42:43], vcc
	s_xor_b64 s[42:43], exec, s[42:43]
	s_cbranch_execz .LBB2_2560
; %bb.2326:                             ;   in Loop: Header=BB2_2021 Depth=3
	v_cmp_eq_u16_e32 vcc, s82, v2
	s_mov_b64 s[40:41], -1
	s_and_saveexec_b64 s[36:37], vcc
; %bb.2327:                             ;   in Loop: Header=BB2_2021 Depth=3
	s_xor_b64 s[40:41], exec, -1
; %bb.2328:                             ;   in Loop: Header=BB2_2021 Depth=3
	s_or_b64 exec, exec, s[36:37]
	s_and_b64 s[40:41], s[40:41], exec
	s_or_saveexec_b64 s[42:43], s[42:43]
	v_bfrev_b32_e32 v8, 1
	s_xor_b64 exec, exec, s[42:43]
	s_cbranch_execnz .LBB2_2561
.LBB2_2329:                             ;   in Loop: Header=BB2_2021 Depth=3
	s_or_b64 exec, exec, s[42:43]
	s_and_saveexec_b64 s[36:37], s[40:41]
	s_cbranch_execz .LBB2_2331
.LBB2_2330:                             ;   in Loop: Header=BB2_2021 Depth=3
	v_and_b32_e32 v12, 3, v2
	v_and_b32_e32 v8, 0x7c, v2
	v_cmp_eq_u32_e32 vcc, s71, v8
	v_ffbh_u32_e32 v8, v12
	v_min_u32_e32 v16, 32, v8
	v_subrev_u32_e32 v8, 29, v16
	v_bfe_u32 v13, v2, 2, 5
	v_lshlrev_b64 v[8:9], v8, v[2:3]
	v_cmp_eq_u32_e64 s[40:41], 0, v13
	v_sub_u32_e32 v9, 30, v16
	v_lshlrev_b32_e32 v2, 24, v2
	v_and_b32_e32 v8, 3, v8
	v_cndmask_b32_e64 v9, v13, v9, s[40:41]
	v_and_b32_e32 v2, 0x80000000, v2
	v_cndmask_b32_e64 v8, v12, v8, s[40:41]
	v_lshl_add_u32 v2, v9, 23, v2
	v_cmp_lt_i16_e64 s[42:43], -1, v10
	v_lshl_or_b32 v2, v8, 21, v2
	v_cmp_eq_u32_e64 s[40:41], 0, v12
	v_cndmask_b32_e64 v8, v27, v6, s[42:43]
	v_add_u32_e32 v2, 0x38000000, v2
	v_cndmask_b32_e64 v8, v7, v8, s[40:41]
	v_cndmask_b32_e32 v8, v2, v8, vcc
.LBB2_2331:                             ;   in Loop: Header=BB2_2021 Depth=3
	s_or_b64 exec, exec, s[36:37]
	v_mul_f32_e32 v1, v1, v8
	v_and_b32_e32 v8, 0x7f800000, v1
	v_mov_b32_e32 v9, v3
	v_cmp_ne_u64_e32 vcc, s[62:63], v[8:9]
	v_and_b32_e32 v2, 0x7fffff, v1
                                        ; implicit-def: $vgpr40
	s_and_saveexec_b64 s[40:41], vcc
	s_xor_b64 s[42:43], exec, s[40:41]
	s_cbranch_execz .LBB2_2345
; %bb.2332:                             ;   in Loop: Header=BB2_2021 Depth=3
	v_and_b32_e32 v8, 0x7fffffff, v1
	v_mov_b32_e32 v9, v3
	v_cmp_gt_u64_e32 vcc, s[78:79], v[8:9]
	v_and_b32_sdwa v16, v1, s82 dst_sel:DWORD dst_unused:UNUSED_PAD src0_sel:BYTE_3 src1_sel:DWORD
                                        ; implicit-def: $vgpr40
	s_and_saveexec_b64 s[40:41], vcc
	s_xor_b64 s[36:37], exec, s[40:41]
	s_cbranch_execz .LBB2_2342
; %bb.2333:                             ;   in Loop: Header=BB2_2021 Depth=3
	v_mov_b32_e32 v40, 0
	v_cmp_ne_u32_e32 vcc, 0, v1
	s_and_saveexec_b64 s[38:39], vcc
	s_cbranch_execz .LBB2_2341
; %bb.2334:                             ;   in Loop: Header=BB2_2021 Depth=3
	v_bfe_u32 v1, v1, 23, 8
	v_cmp_gt_u32_e64 s[40:41], s44, v1
	v_sub_u32_e32 v8, 0x71, v1
	v_cmp_eq_u32_e32 vcc, 0, v1
	v_cndmask_b32_e64 v8, 0, v8, s[40:41]
	v_mov_b32_e32 v12, 0x70
	v_cndmask_b32_e32 v17, v8, v12, vcc
	v_or_b32_e32 v9, 0x800000, v2
	v_add_u32_e32 v8, 21, v17
	v_cndmask_b32_e32 v2, v9, v2, vcc
	v_lshlrev_b64 v[8:9], v8, -1
	v_add_u32_e32 v12, 20, v17
	v_lshlrev_b64 v[12:13], v12, 1
	v_bfi_b32 v9, v9, 0, 0
	v_bfi_b32 v8, v8, 0, v2
	v_cmp_eq_u64_e64 s[40:41], v[8:9], v[12:13]
	v_lshrrev_b64 v[8:9], v17, v[2:3]
	v_mov_b32_e32 v13, v9
	v_mov_b32_e32 v12, v8
	s_and_saveexec_b64 s[48:49], s[40:41]
; %bb.2335:                             ;   in Loop: Header=BB2_2021 Depth=3
	v_bfe_u32 v2, v8, 21, 1
	v_add_co_u32_e64 v2, s[40:41], v8, v2
	v_add_co_u32_e64 v12, s[40:41], -1, v2
; %bb.2336:                             ;   in Loop: Header=BB2_2021 Depth=3
	s_or_b64 exec, exec, s[48:49]
	v_add_u32_e32 v1, 0xffffff81, v1
	v_mov_b32_e32 v2, 0xffffff82
	v_cndmask_b32_e32 v1, v1, v2, vcc
	v_lshrrev_b32_e32 v2, 23, v8
	v_add3_u32 v17, v17, v1, v2
	v_add_u32_e32 v13, 14, v17
	v_and_b32_e32 v1, 0x1fffff, v12
	v_add_u32_e32 v2, v1, v8
	v_cmp_ne_u32_e32 vcc, 0, v13
                                        ; implicit-def: $vgpr8_vgpr9
                                        ; implicit-def: $vgpr1
	s_and_saveexec_b64 s[40:41], vcc
	s_xor_b64 s[40:41], exec, s[40:41]
; %bb.2337:                             ;   in Loop: Header=BB2_2021 Depth=3
	v_cmp_lt_u64_e32 vcc, s[88:89], v[2:3]
	v_add_u32_e32 v1, 15, v17
	v_cndmask_b32_e64 v8, 0, 1, vcc
	v_cndmask_b32_e32 v1, v13, v1, vcc
	v_lshrrev_b64 v[8:9], v8, v[2:3]
; %bb.2338:                             ;   in Loop: Header=BB2_2021 Depth=3
	s_andn2_saveexec_b64 s[40:41], s[40:41]
; %bb.2339:                             ;   in Loop: Header=BB2_2021 Depth=3
	v_mov_b32_e32 v9, v3
	v_bfe_u32 v1, v2, 23, 1
	v_mov_b32_e32 v8, v2
; %bb.2340:                             ;   in Loop: Header=BB2_2021 Depth=3
	s_or_b64 exec, exec, s[40:41]
	v_lshrrev_b64 v[8:9], 21, v[8:9]
	v_cmp_gt_i32_e32 vcc, 32, v1
	v_cndmask_b32_e32 v9, 0, v9, vcc
	v_cndmask_b32_e32 v8, 3, v8, vcc
	v_cmp_eq_u32_e32 vcc, 0, v1
	v_min_i32_e32 v1, 31, v1
	v_cmp_eq_u64_e64 s[40:41], 0, v[8:9]
	v_lshlrev_b32_e32 v1, 2, v1
	v_and_b32_e32 v1, 0xfc, v1
	v_and_or_b32 v1, v8, 3, v1
	s_and_b64 s[40:41], vcc, s[40:41]
	v_cndmask_b32_e64 v1, v1, 0, s[40:41]
	v_or_b32_e32 v40, v1, v16
.LBB2_2341:                             ;   in Loop: Header=BB2_2021 Depth=3
	s_or_b64 exec, exec, s[38:39]
                                        ; implicit-def: $vgpr16
.LBB2_2342:                             ;   in Loop: Header=BB2_2021 Depth=3
	s_andn2_saveexec_b64 s[40:41], s[36:37]
; %bb.2343:                             ;   in Loop: Header=BB2_2021 Depth=3
	v_or_b32_e32 v40, 0x7b, v16
; %bb.2344:                             ;   in Loop: Header=BB2_2021 Depth=3
	s_or_b64 exec, exec, s[40:41]
                                        ; implicit-def: $vgpr1
.LBB2_2345:                             ;   in Loop: Header=BB2_2021 Depth=3
	s_andn2_saveexec_b64 s[40:41], s[42:43]
	s_cbranch_execz .LBB2_2351
; %bb.2346:                             ;   in Loop: Header=BB2_2021 Depth=3
	v_cmp_ne_u64_e32 vcc, 0, v[2:3]
                                        ; implicit-def: $vgpr40
	s_and_saveexec_b64 s[42:43], vcc
	s_xor_b64 s[42:43], exec, s[42:43]
; %bb.2347:                             ;   in Loop: Header=BB2_2021 Depth=3
	v_or_b32_sdwa v40, v1, s81 dst_sel:DWORD dst_unused:UNUSED_PAD src0_sel:BYTE_3 src1_sel:DWORD
                                        ; implicit-def: $vgpr1
; %bb.2348:                             ;   in Loop: Header=BB2_2021 Depth=3
	s_andn2_saveexec_b64 s[42:43], s[42:43]
; %bb.2349:                             ;   in Loop: Header=BB2_2021 Depth=3
	v_cmp_lt_i32_e32 vcc, -1, v1
	v_cndmask_b32_e32 v40, v0, v49, vcc
; %bb.2350:                             ;   in Loop: Header=BB2_2021 Depth=3
	s_or_b64 exec, exec, s[42:43]
.LBB2_2351:                             ;   in Loop: Header=BB2_2021 Depth=3
	s_or_b64 exec, exec, s[40:41]
	v_lshrrev_b32_e32 v2, 16, v14
	v_cmp_ne_u16_sdwa s[42:43], v2, v3 src0_sel:BYTE_0 src1_sel:DWORD
	v_mov_b32_e32 v1, 0
	s_and_saveexec_b64 s[40:41], s[42:43]
	s_cbranch_execz .LBB2_2359
; %bb.2352:                             ;   in Loop: Header=BB2_2021 Depth=3
	v_cmp_ne_u16_sdwa vcc, v2, s82 src0_sel:BYTE_0 src1_sel:DWORD
	v_bfrev_b32_e32 v1, 1
	s_and_saveexec_b64 s[42:43], vcc
	s_cbranch_execz .LBB2_2358
; %bb.2353:                             ;   in Loop: Header=BB2_2021 Depth=3
	v_and_b32_e32 v1, 0x7c0000, v14
	v_bfe_u32 v8, v14, 16, 2
	v_cmp_ne_u32_e32 vcc, s45, v1
                                        ; implicit-def: $vgpr1
	s_and_saveexec_b64 s[36:37], vcc
	s_xor_b64 s[36:37], exec, s[36:37]
	s_cbranch_execz .LBB2_2355
; %bb.2354:                             ;   in Loop: Header=BB2_2021 Depth=3
	v_ffbh_u32_e32 v1, v8
	v_min_u32_e32 v12, 32, v1
	v_subrev_u32_e32 v1, 29, v12
	v_lshlrev_b64 v[1:2], v1, v[2:3]
	v_bfe_u32 v9, v14, 18, 5
	v_and_b32_e32 v1, 3, v1
	v_cmp_eq_u32_e32 vcc, 0, v9
	v_sub_u32_e32 v2, 30, v12
	v_cndmask_b32_e32 v1, v8, v1, vcc
	v_lshlrev_b32_e32 v8, 8, v14
	v_cndmask_b32_e32 v2, v9, v2, vcc
	v_and_b32_e32 v8, 0x80000000, v8
	v_lshl_add_u32 v2, v2, 23, v8
	v_lshl_or_b32 v1, v1, 21, v2
	v_add_u32_e32 v1, 0x38000000, v1
                                        ; implicit-def: $vgpr8
                                        ; implicit-def: $vgpr2
.LBB2_2355:                             ;   in Loop: Header=BB2_2021 Depth=3
	s_andn2_saveexec_b64 s[36:37], s[36:37]
; %bb.2356:                             ;   in Loop: Header=BB2_2021 Depth=3
	v_cmp_gt_i16_sdwa vcc, sext(v2), v26 src0_sel:BYTE_0 src1_sel:DWORD
	v_cndmask_b32_e32 v1, v27, v6, vcc
	v_cmp_eq_u32_e32 vcc, 0, v8
	v_cndmask_b32_e32 v1, v7, v1, vcc
; %bb.2357:                             ;   in Loop: Header=BB2_2021 Depth=3
	s_or_b64 exec, exec, s[36:37]
.LBB2_2358:                             ;   in Loop: Header=BB2_2021 Depth=3
	s_or_b64 exec, exec, s[42:43]
.LBB2_2359:                             ;   in Loop: Header=BB2_2021 Depth=3
	s_or_b64 exec, exec, s[40:41]
	v_lshrrev_b32_e32 v2, 16, v10
	v_cmp_gt_i16_sdwa s[42:43], v2, s81 src0_sel:BYTE_0 src1_sel:DWORD
	s_mov_b64 s[40:41], 0
	s_and_saveexec_b64 vcc, s[42:43]
	s_xor_b64 s[42:43], exec, vcc
	s_cbranch_execz .LBB2_2562
; %bb.2360:                             ;   in Loop: Header=BB2_2021 Depth=3
	v_cmp_eq_u16_sdwa s[36:37], v2, s82 src0_sel:BYTE_0 src1_sel:DWORD
	s_mov_b64 s[40:41], -1
	s_and_saveexec_b64 vcc, s[36:37]
; %bb.2361:                             ;   in Loop: Header=BB2_2021 Depth=3
	s_xor_b64 s[40:41], exec, -1
; %bb.2362:                             ;   in Loop: Header=BB2_2021 Depth=3
	s_or_b64 exec, exec, vcc
	s_and_b64 s[40:41], s[40:41], exec
	s_or_saveexec_b64 s[42:43], s[42:43]
	v_bfrev_b32_e32 v8, 1
	s_xor_b64 exec, exec, s[42:43]
	s_cbranch_execnz .LBB2_2563
.LBB2_2363:                             ;   in Loop: Header=BB2_2021 Depth=3
	s_or_b64 exec, exec, s[42:43]
	s_and_saveexec_b64 s[36:37], s[40:41]
	s_cbranch_execz .LBB2_2365
.LBB2_2364:                             ;   in Loop: Header=BB2_2021 Depth=3
	v_and_b32_e32 v12, 3, v2
	v_and_b32_e32 v8, 0x7c0000, v10
	v_cmp_eq_u32_e32 vcc, s45, v8
	v_ffbh_u32_e32 v8, v12
	v_min_u32_e32 v16, 32, v8
	v_subrev_u32_e32 v8, 29, v16
	v_bfe_u32 v13, v10, 18, 5
	v_lshlrev_b64 v[8:9], v8, v[2:3]
	v_cmp_eq_u32_e64 s[40:41], 0, v13
	v_sub_u32_e32 v9, 30, v16
	v_cndmask_b32_e64 v9, v13, v9, s[40:41]
	v_lshlrev_b32_e32 v13, 24, v2
	v_and_b32_e32 v8, 3, v8
	v_and_b32_e32 v13, 0x80000000, v13
	v_cndmask_b32_e64 v8, v12, v8, s[40:41]
	v_lshl_add_u32 v9, v9, 23, v13
	v_cmp_gt_i16_sdwa s[42:43], sext(v2), v26 src0_sel:BYTE_0 src1_sel:DWORD
	v_lshl_or_b32 v8, v8, 21, v9
	v_cmp_eq_u32_e64 s[40:41], 0, v12
	v_cndmask_b32_e64 v2, v27, v6, s[42:43]
	v_add_u32_e32 v8, 0x38000000, v8
	v_cndmask_b32_e64 v2, v7, v2, s[40:41]
	v_cndmask_b32_e32 v8, v8, v2, vcc
.LBB2_2365:                             ;   in Loop: Header=BB2_2021 Depth=3
	s_or_b64 exec, exec, s[36:37]
	v_mul_f32_e32 v1, v1, v8
	v_and_b32_e32 v8, 0x7f800000, v1
	v_mov_b32_e32 v9, v3
	v_cmp_ne_u64_e32 vcc, s[62:63], v[8:9]
	v_and_b32_e32 v2, 0x7fffff, v1
                                        ; implicit-def: $vgpr41
	s_and_saveexec_b64 s[40:41], vcc
	s_xor_b64 s[42:43], exec, s[40:41]
	s_cbranch_execz .LBB2_2379
; %bb.2366:                             ;   in Loop: Header=BB2_2021 Depth=3
	v_and_b32_e32 v8, 0x7fffffff, v1
	v_mov_b32_e32 v9, v3
	v_cmp_gt_u64_e32 vcc, s[78:79], v[8:9]
	v_and_b32_sdwa v16, v1, s82 dst_sel:DWORD dst_unused:UNUSED_PAD src0_sel:BYTE_3 src1_sel:DWORD
                                        ; implicit-def: $vgpr41
	s_and_saveexec_b64 s[40:41], vcc
	s_xor_b64 s[36:37], exec, s[40:41]
	s_cbranch_execz .LBB2_2376
; %bb.2367:                             ;   in Loop: Header=BB2_2021 Depth=3
	v_mov_b32_e32 v41, 0
	v_cmp_ne_u32_e32 vcc, 0, v1
	s_and_saveexec_b64 s[38:39], vcc
	s_cbranch_execz .LBB2_2375
; %bb.2368:                             ;   in Loop: Header=BB2_2021 Depth=3
	v_bfe_u32 v1, v1, 23, 8
	v_cmp_gt_u32_e64 s[40:41], s44, v1
	v_sub_u32_e32 v8, 0x71, v1
	v_cmp_eq_u32_e32 vcc, 0, v1
	v_cndmask_b32_e64 v8, 0, v8, s[40:41]
	v_mov_b32_e32 v12, 0x70
	v_cndmask_b32_e32 v17, v8, v12, vcc
	v_or_b32_e32 v9, 0x800000, v2
	v_add_u32_e32 v8, 21, v17
	v_cndmask_b32_e32 v2, v9, v2, vcc
	v_lshlrev_b64 v[8:9], v8, -1
	v_add_u32_e32 v12, 20, v17
	v_lshlrev_b64 v[12:13], v12, 1
	v_bfi_b32 v9, v9, 0, 0
	v_bfi_b32 v8, v8, 0, v2
	v_cmp_eq_u64_e64 s[40:41], v[8:9], v[12:13]
	v_lshrrev_b64 v[8:9], v17, v[2:3]
	v_mov_b32_e32 v13, v9
	v_mov_b32_e32 v12, v8
	s_and_saveexec_b64 s[48:49], s[40:41]
; %bb.2369:                             ;   in Loop: Header=BB2_2021 Depth=3
	v_bfe_u32 v2, v8, 21, 1
	v_add_co_u32_e64 v2, s[40:41], v8, v2
	v_add_co_u32_e64 v12, s[40:41], -1, v2
; %bb.2370:                             ;   in Loop: Header=BB2_2021 Depth=3
	s_or_b64 exec, exec, s[48:49]
	v_add_u32_e32 v1, 0xffffff81, v1
	v_mov_b32_e32 v2, 0xffffff82
	v_cndmask_b32_e32 v1, v1, v2, vcc
	v_lshrrev_b32_e32 v2, 23, v8
	v_add3_u32 v17, v17, v1, v2
	v_add_u32_e32 v13, 14, v17
	v_and_b32_e32 v1, 0x1fffff, v12
	v_add_u32_e32 v2, v1, v8
	v_cmp_ne_u32_e32 vcc, 0, v13
                                        ; implicit-def: $vgpr8_vgpr9
                                        ; implicit-def: $vgpr1
	s_and_saveexec_b64 s[40:41], vcc
	s_xor_b64 s[40:41], exec, s[40:41]
; %bb.2371:                             ;   in Loop: Header=BB2_2021 Depth=3
	v_cmp_lt_u64_e32 vcc, s[88:89], v[2:3]
	v_add_u32_e32 v1, 15, v17
	v_cndmask_b32_e64 v8, 0, 1, vcc
	v_cndmask_b32_e32 v1, v13, v1, vcc
	v_lshrrev_b64 v[8:9], v8, v[2:3]
; %bb.2372:                             ;   in Loop: Header=BB2_2021 Depth=3
	s_andn2_saveexec_b64 s[40:41], s[40:41]
; %bb.2373:                             ;   in Loop: Header=BB2_2021 Depth=3
	v_mov_b32_e32 v9, v3
	v_bfe_u32 v1, v2, 23, 1
	v_mov_b32_e32 v8, v2
; %bb.2374:                             ;   in Loop: Header=BB2_2021 Depth=3
	s_or_b64 exec, exec, s[40:41]
	v_lshrrev_b64 v[8:9], 21, v[8:9]
	v_cmp_gt_i32_e32 vcc, 32, v1
	v_cndmask_b32_e32 v9, 0, v9, vcc
	v_cndmask_b32_e32 v8, 3, v8, vcc
	v_cmp_eq_u32_e32 vcc, 0, v1
	v_min_i32_e32 v1, 31, v1
	v_cmp_eq_u64_e64 s[40:41], 0, v[8:9]
	v_lshlrev_b32_e32 v1, 2, v1
	v_and_b32_e32 v1, 0xfc, v1
	v_and_or_b32 v1, v8, 3, v1
	s_and_b64 s[40:41], vcc, s[40:41]
	v_cndmask_b32_e64 v1, v1, 0, s[40:41]
	v_or_b32_e32 v41, v1, v16
.LBB2_2375:                             ;   in Loop: Header=BB2_2021 Depth=3
	s_or_b64 exec, exec, s[38:39]
                                        ; implicit-def: $vgpr16
.LBB2_2376:                             ;   in Loop: Header=BB2_2021 Depth=3
	s_andn2_saveexec_b64 s[40:41], s[36:37]
; %bb.2377:                             ;   in Loop: Header=BB2_2021 Depth=3
	v_or_b32_e32 v41, 0x7b, v16
; %bb.2378:                             ;   in Loop: Header=BB2_2021 Depth=3
	s_or_b64 exec, exec, s[40:41]
                                        ; implicit-def: $vgpr1
.LBB2_2379:                             ;   in Loop: Header=BB2_2021 Depth=3
	s_andn2_saveexec_b64 s[40:41], s[42:43]
	s_cbranch_execz .LBB2_2385
; %bb.2380:                             ;   in Loop: Header=BB2_2021 Depth=3
	v_cmp_ne_u64_e32 vcc, 0, v[2:3]
                                        ; implicit-def: $vgpr41
	s_and_saveexec_b64 s[42:43], vcc
	s_xor_b64 s[42:43], exec, s[42:43]
; %bb.2381:                             ;   in Loop: Header=BB2_2021 Depth=3
	v_or_b32_sdwa v41, v1, s81 dst_sel:DWORD dst_unused:UNUSED_PAD src0_sel:BYTE_3 src1_sel:DWORD
                                        ; implicit-def: $vgpr1
; %bb.2382:                             ;   in Loop: Header=BB2_2021 Depth=3
	s_andn2_saveexec_b64 s[42:43], s[42:43]
; %bb.2383:                             ;   in Loop: Header=BB2_2021 Depth=3
	v_cmp_lt_i32_e32 vcc, -1, v1
	v_cndmask_b32_e32 v41, v0, v49, vcc
; %bb.2384:                             ;   in Loop: Header=BB2_2021 Depth=3
	s_or_b64 exec, exec, s[42:43]
.LBB2_2385:                             ;   in Loop: Header=BB2_2021 Depth=3
	s_or_b64 exec, exec, s[40:41]
	v_cmp_lt_u32_e32 vcc, s57, v14
	v_mov_b32_e32 v1, 0
	s_and_saveexec_b64 s[40:41], vcc
	s_cbranch_execz .LBB2_2393
; %bb.2386:                             ;   in Loop: Header=BB2_2021 Depth=3
	v_lshrrev_b32_e32 v2, 24, v14
	v_cmp_ne_u32_e32 vcc, s82, v2
	v_bfrev_b32_e32 v1, 1
	s_and_saveexec_b64 s[42:43], vcc
	s_cbranch_execz .LBB2_2392
; %bb.2387:                             ;   in Loop: Header=BB2_2021 Depth=3
	v_and_b32_e32 v1, 0x7c000000, v14
	v_bfe_u32 v8, v14, 24, 2
	v_cmp_ne_u32_e32 vcc, s83, v1
                                        ; implicit-def: $vgpr1
	s_and_saveexec_b64 s[36:37], vcc
	s_xor_b64 s[36:37], exec, s[36:37]
	s_cbranch_execz .LBB2_2389
; %bb.2388:                             ;   in Loop: Header=BB2_2021 Depth=3
	v_ffbh_u32_e32 v1, v8
	v_min_u32_e32 v12, 32, v1
	v_subrev_u32_e32 v1, 29, v12
	v_lshlrev_b64 v[1:2], v1, v[2:3]
	v_bfe_u32 v9, v14, 26, 5
	v_sub_u32_e32 v2, 30, v12
	v_and_b32_e32 v1, 3, v1
	v_cmp_eq_u32_e32 vcc, 0, v9
	v_cndmask_b32_e32 v2, v9, v2, vcc
	v_cndmask_b32_e32 v1, v8, v1, vcc
	v_and_b32_e32 v8, 0x80000000, v14
	v_lshl_add_u32 v2, v2, 23, v8
	v_lshl_or_b32 v1, v1, 21, v2
	v_add_u32_e32 v1, 0x38000000, v1
                                        ; implicit-def: $vgpr8
.LBB2_2389:                             ;   in Loop: Header=BB2_2021 Depth=3
	s_andn2_saveexec_b64 s[36:37], s[36:37]
; %bb.2390:                             ;   in Loop: Header=BB2_2021 Depth=3
	v_cmp_lt_i32_e32 vcc, -1, v14
	v_cndmask_b32_e32 v1, v27, v6, vcc
	v_cmp_eq_u32_e32 vcc, 0, v8
	v_cndmask_b32_e32 v1, v7, v1, vcc
; %bb.2391:                             ;   in Loop: Header=BB2_2021 Depth=3
	s_or_b64 exec, exec, s[36:37]
.LBB2_2392:                             ;   in Loop: Header=BB2_2021 Depth=3
	s_or_b64 exec, exec, s[42:43]
.LBB2_2393:                             ;   in Loop: Header=BB2_2021 Depth=3
	s_or_b64 exec, exec, s[40:41]
	v_bfe_u32 v12, v10, 24, 2
	v_and_b32_e32 v8, 0x7c000000, v10
	v_cmp_eq_u32_e32 vcc, s83, v8
	v_ffbh_u32_e32 v8, v12
	v_min_u32_e32 v16, 32, v8
	v_lshrrev_b32_e32 v2, 24, v10
	v_subrev_u32_e32 v8, 29, v16
	v_bfe_u32 v13, v10, 26, 5
	v_lshlrev_b64 v[8:9], v8, v[2:3]
	v_cmp_eq_u32_e64 s[40:41], 0, v13
	v_sub_u32_e32 v9, 30, v16
	v_and_b32_e32 v8, 3, v8
	v_cndmask_b32_e64 v9, v13, v9, s[40:41]
	v_and_b32_e32 v13, 0x80000000, v10
	v_cndmask_b32_e64 v8, v12, v8, s[40:41]
	v_lshl_add_u32 v9, v9, 23, v13
	v_cmp_lt_i32_e64 s[42:43], -1, v10
	v_lshl_or_b32 v8, v8, 21, v9
	v_cmp_eq_u32_e64 s[40:41], 0, v12
	v_cndmask_b32_e64 v9, v27, v6, s[42:43]
	v_add_u32_e32 v8, 0x38000000, v8
	v_cndmask_b32_e64 v9, v7, v9, s[40:41]
	v_cndmask_b32_e32 v8, v8, v9, vcc
	v_cmp_ne_u32_e32 vcc, s82, v2
	v_cndmask_b32_e32 v2, v53, v8, vcc
	v_cmp_lt_u32_e32 vcc, s57, v10
	v_cndmask_b32_e32 v2, 0, v2, vcc
	v_mul_f32_e32 v1, v2, v1
	v_and_b32_e32 v8, 0x7f800000, v1
	v_mov_b32_e32 v9, v3
	v_cmp_ne_u64_e32 vcc, s[62:63], v[8:9]
	v_and_b32_e32 v2, 0x7fffff, v1
                                        ; implicit-def: $vgpr42
	s_and_saveexec_b64 s[40:41], vcc
	s_xor_b64 s[42:43], exec, s[40:41]
	s_cbranch_execz .LBB2_2407
; %bb.2394:                             ;   in Loop: Header=BB2_2021 Depth=3
	v_and_b32_e32 v8, 0x7fffffff, v1
	v_mov_b32_e32 v9, v3
	v_cmp_gt_u64_e32 vcc, s[78:79], v[8:9]
	v_and_b32_sdwa v16, v1, s82 dst_sel:DWORD dst_unused:UNUSED_PAD src0_sel:BYTE_3 src1_sel:DWORD
                                        ; implicit-def: $vgpr42
	s_and_saveexec_b64 s[40:41], vcc
	s_xor_b64 s[36:37], exec, s[40:41]
	s_cbranch_execz .LBB2_2404
; %bb.2395:                             ;   in Loop: Header=BB2_2021 Depth=3
	v_mov_b32_e32 v42, 0
	v_cmp_ne_u32_e32 vcc, 0, v1
	s_and_saveexec_b64 s[38:39], vcc
	s_cbranch_execz .LBB2_2403
; %bb.2396:                             ;   in Loop: Header=BB2_2021 Depth=3
	v_bfe_u32 v1, v1, 23, 8
	v_cmp_gt_u32_e64 s[40:41], s44, v1
	v_sub_u32_e32 v8, 0x71, v1
	v_cmp_eq_u32_e32 vcc, 0, v1
	v_cndmask_b32_e64 v8, 0, v8, s[40:41]
	v_mov_b32_e32 v12, 0x70
	v_cndmask_b32_e32 v17, v8, v12, vcc
	v_or_b32_e32 v9, 0x800000, v2
	v_add_u32_e32 v8, 21, v17
	v_cndmask_b32_e32 v2, v9, v2, vcc
	v_lshlrev_b64 v[8:9], v8, -1
	v_add_u32_e32 v12, 20, v17
	v_lshlrev_b64 v[12:13], v12, 1
	v_bfi_b32 v9, v9, 0, 0
	v_bfi_b32 v8, v8, 0, v2
	v_cmp_eq_u64_e64 s[40:41], v[8:9], v[12:13]
	v_lshrrev_b64 v[8:9], v17, v[2:3]
	v_mov_b32_e32 v13, v9
	v_mov_b32_e32 v12, v8
	s_and_saveexec_b64 s[48:49], s[40:41]
; %bb.2397:                             ;   in Loop: Header=BB2_2021 Depth=3
	v_bfe_u32 v2, v8, 21, 1
	v_add_co_u32_e64 v2, s[40:41], v8, v2
	v_add_co_u32_e64 v12, s[40:41], -1, v2
; %bb.2398:                             ;   in Loop: Header=BB2_2021 Depth=3
	s_or_b64 exec, exec, s[48:49]
	v_add_u32_e32 v1, 0xffffff81, v1
	v_mov_b32_e32 v2, 0xffffff82
	v_cndmask_b32_e32 v1, v1, v2, vcc
	v_lshrrev_b32_e32 v2, 23, v8
	v_add3_u32 v17, v17, v1, v2
	v_add_u32_e32 v13, 14, v17
	v_and_b32_e32 v1, 0x1fffff, v12
	v_add_u32_e32 v2, v1, v8
	v_cmp_ne_u32_e32 vcc, 0, v13
                                        ; implicit-def: $vgpr8_vgpr9
                                        ; implicit-def: $vgpr1
	s_and_saveexec_b64 s[40:41], vcc
	s_xor_b64 s[40:41], exec, s[40:41]
; %bb.2399:                             ;   in Loop: Header=BB2_2021 Depth=3
	v_cmp_lt_u64_e32 vcc, s[88:89], v[2:3]
	v_add_u32_e32 v1, 15, v17
	v_cndmask_b32_e64 v8, 0, 1, vcc
	v_cndmask_b32_e32 v1, v13, v1, vcc
	v_lshrrev_b64 v[8:9], v8, v[2:3]
; %bb.2400:                             ;   in Loop: Header=BB2_2021 Depth=3
	s_andn2_saveexec_b64 s[40:41], s[40:41]
; %bb.2401:                             ;   in Loop: Header=BB2_2021 Depth=3
	v_mov_b32_e32 v9, v3
	v_bfe_u32 v1, v2, 23, 1
	v_mov_b32_e32 v8, v2
; %bb.2402:                             ;   in Loop: Header=BB2_2021 Depth=3
	s_or_b64 exec, exec, s[40:41]
	v_lshrrev_b64 v[8:9], 21, v[8:9]
	v_cmp_gt_i32_e32 vcc, 32, v1
	v_cndmask_b32_e32 v9, 0, v9, vcc
	v_cndmask_b32_e32 v8, 3, v8, vcc
	v_cmp_eq_u32_e32 vcc, 0, v1
	v_min_i32_e32 v1, 31, v1
	v_cmp_eq_u64_e64 s[40:41], 0, v[8:9]
	v_lshlrev_b32_e32 v1, 2, v1
	v_and_b32_e32 v1, 0xfc, v1
	v_and_or_b32 v1, v8, 3, v1
	s_and_b64 s[40:41], vcc, s[40:41]
	v_cndmask_b32_e64 v1, v1, 0, s[40:41]
	v_or_b32_e32 v42, v1, v16
.LBB2_2403:                             ;   in Loop: Header=BB2_2021 Depth=3
	s_or_b64 exec, exec, s[38:39]
                                        ; implicit-def: $vgpr16
.LBB2_2404:                             ;   in Loop: Header=BB2_2021 Depth=3
	s_andn2_saveexec_b64 s[40:41], s[36:37]
; %bb.2405:                             ;   in Loop: Header=BB2_2021 Depth=3
	v_or_b32_e32 v42, 0x7b, v16
; %bb.2406:                             ;   in Loop: Header=BB2_2021 Depth=3
	s_or_b64 exec, exec, s[40:41]
                                        ; implicit-def: $vgpr1
.LBB2_2407:                             ;   in Loop: Header=BB2_2021 Depth=3
	s_andn2_saveexec_b64 s[40:41], s[42:43]
	s_cbranch_execz .LBB2_2413
; %bb.2408:                             ;   in Loop: Header=BB2_2021 Depth=3
	v_cmp_ne_u64_e32 vcc, 0, v[2:3]
                                        ; implicit-def: $vgpr42
	s_and_saveexec_b64 s[42:43], vcc
	s_xor_b64 s[42:43], exec, s[42:43]
; %bb.2409:                             ;   in Loop: Header=BB2_2021 Depth=3
	v_or_b32_sdwa v42, v1, s81 dst_sel:DWORD dst_unused:UNUSED_PAD src0_sel:BYTE_3 src1_sel:DWORD
                                        ; implicit-def: $vgpr1
; %bb.2410:                             ;   in Loop: Header=BB2_2021 Depth=3
	s_andn2_saveexec_b64 s[42:43], s[42:43]
; %bb.2411:                             ;   in Loop: Header=BB2_2021 Depth=3
	v_cmp_lt_i32_e32 vcc, -1, v1
	v_cndmask_b32_e32 v42, v0, v49, vcc
; %bb.2412:                             ;   in Loop: Header=BB2_2021 Depth=3
	s_or_b64 exec, exec, s[42:43]
.LBB2_2413:                             ;   in Loop: Header=BB2_2021 Depth=3
	s_or_b64 exec, exec, s[40:41]
	v_mov_b32_e32 v2, v15
	v_cmp_ne_u16_sdwa s[42:43], v15, v3 src0_sel:BYTE_0 src1_sel:DWORD
	v_mov_b32_e32 v1, 0
	s_and_saveexec_b64 s[40:41], s[42:43]
	s_cbranch_execz .LBB2_2421
; %bb.2414:                             ;   in Loop: Header=BB2_2021 Depth=3
	v_cmp_ne_u16_sdwa vcc, v15, s82 src0_sel:BYTE_0 src1_sel:DWORD
	v_bfrev_b32_e32 v1, 1
	s_and_saveexec_b64 s[42:43], vcc
	s_cbranch_execz .LBB2_2420
; %bb.2415:                             ;   in Loop: Header=BB2_2021 Depth=3
	v_and_b32_e32 v1, 0x7c, v15
	v_and_b32_e32 v8, 3, v15
	v_cmp_ne_u32_e32 vcc, s71, v1
                                        ; implicit-def: $vgpr1
	s_and_saveexec_b64 s[36:37], vcc
	s_xor_b64 s[36:37], exec, s[36:37]
	s_cbranch_execz .LBB2_2417
; %bb.2416:                             ;   in Loop: Header=BB2_2021 Depth=3
	v_ffbh_u32_e32 v9, v8
	v_min_u32_e32 v9, 32, v9
	v_bfe_u32 v1, v15, 2, 5
	v_subrev_u32_e32 v12, 29, v9
	v_lshlrev_b64 v[12:13], v12, v[2:3]
	v_sub_u32_e32 v9, 30, v9
	v_cmp_eq_u32_e32 vcc, 0, v1
	v_cndmask_b32_e32 v1, v1, v9, vcc
	v_lshlrev_b32_e32 v9, 24, v15
	v_and_b32_e32 v12, 3, v12
	v_and_b32_e32 v9, 0x80000000, v9
	v_cndmask_b32_e32 v8, v8, v12, vcc
	v_lshl_add_u32 v1, v1, 23, v9
	v_lshl_or_b32 v1, v8, 21, v1
	v_add_u32_e32 v1, 0x38000000, v1
                                        ; implicit-def: $vgpr8
.LBB2_2417:                             ;   in Loop: Header=BB2_2021 Depth=3
	s_andn2_saveexec_b64 s[36:37], s[36:37]
; %bb.2418:                             ;   in Loop: Header=BB2_2021 Depth=3
	v_cmp_gt_i16_sdwa vcc, sext(v15), v26 src0_sel:BYTE_0 src1_sel:DWORD
	v_cndmask_b32_e32 v1, v27, v6, vcc
	v_cmp_eq_u32_e32 vcc, 0, v8
	v_cndmask_b32_e32 v1, v7, v1, vcc
; %bb.2419:                             ;   in Loop: Header=BB2_2021 Depth=3
	s_or_b64 exec, exec, s[36:37]
.LBB2_2420:                             ;   in Loop: Header=BB2_2021 Depth=3
	s_or_b64 exec, exec, s[42:43]
.LBB2_2421:                             ;   in Loop: Header=BB2_2021 Depth=3
	s_or_b64 exec, exec, s[40:41]
	v_cmp_gt_i16_sdwa s[42:43], v11, s81 src0_sel:BYTE_0 src1_sel:DWORD
	s_mov_b64 s[40:41], 0
	s_and_saveexec_b64 vcc, s[42:43]
	s_xor_b64 s[42:43], exec, vcc
	s_cbranch_execz .LBB2_2425
; %bb.2422:                             ;   in Loop: Header=BB2_2021 Depth=3
	v_cmp_eq_u16_sdwa s[36:37], v11, s82 src0_sel:BYTE_0 src1_sel:DWORD
	s_mov_b64 s[40:41], -1
	s_and_saveexec_b64 vcc, s[36:37]
; %bb.2423:                             ;   in Loop: Header=BB2_2021 Depth=3
	s_xor_b64 s[40:41], exec, -1
; %bb.2424:                             ;   in Loop: Header=BB2_2021 Depth=3
	s_or_b64 exec, exec, vcc
	s_and_b64 s[40:41], s[40:41], exec
.LBB2_2425:                             ;   in Loop: Header=BB2_2021 Depth=3
	s_or_saveexec_b64 s[42:43], s[42:43]
	v_bfrev_b32_e32 v12, 1
	s_xor_b64 exec, exec, s[42:43]
; %bb.2426:                             ;   in Loop: Header=BB2_2021 Depth=3
	v_cmp_ne_u16_sdwa vcc, v11, v3 src0_sel:BYTE_0 src1_sel:DWORD
	s_andn2_b64 s[40:41], s[40:41], exec
	s_and_b64 vcc, vcc, exec
	v_mov_b32_e32 v12, 0
	s_or_b64 s[40:41], s[40:41], vcc
; %bb.2427:                             ;   in Loop: Header=BB2_2021 Depth=3
	s_or_b64 exec, exec, s[42:43]
	v_mov_b32_e32 v8, v11
	v_mov_b32_e32 v9, v3
	s_and_saveexec_b64 s[36:37], s[40:41]
	s_cbranch_execz .LBB2_2429
; %bb.2428:                             ;   in Loop: Header=BB2_2021 Depth=3
	v_and_b32_e32 v16, 3, v11
	v_and_b32_e32 v12, 0x7c, v11
	v_cmp_eq_u32_e32 vcc, s71, v12
	v_ffbh_u32_e32 v12, v16
	v_min_u32_e32 v39, 32, v12
	v_subrev_u32_e32 v12, 29, v39
	v_bfe_u32 v17, v11, 2, 5
	v_lshlrev_b64 v[12:13], v12, v[8:9]
	v_cmp_eq_u32_e64 s[40:41], 0, v17
	v_sub_u32_e32 v9, 30, v39
	v_lshlrev_b32_e32 v13, 24, v11
	v_and_b32_e32 v12, 3, v12
	v_cndmask_b32_e64 v9, v17, v9, s[40:41]
	v_and_b32_e32 v13, 0x80000000, v13
	v_cndmask_b32_e64 v12, v16, v12, s[40:41]
	v_lshl_add_u32 v9, v9, 23, v13
	v_cmp_gt_i16_sdwa s[42:43], sext(v11), v26 src0_sel:BYTE_0 src1_sel:DWORD
	v_lshl_or_b32 v9, v12, 21, v9
	v_cmp_eq_u32_e64 s[40:41], 0, v16
	v_cndmask_b32_e64 v12, v27, v6, s[42:43]
	v_add_u32_e32 v9, 0x38000000, v9
	v_cndmask_b32_e64 v12, v7, v12, s[40:41]
	v_cndmask_b32_e32 v12, v9, v12, vcc
.LBB2_2429:                             ;   in Loop: Header=BB2_2021 Depth=3
	s_or_b64 exec, exec, s[36:37]
	v_mul_f32_e32 v1, v1, v12
	v_and_b32_e32 v16, 0x7f800000, v1
	v_mov_b32_e32 v17, v3
	v_cmp_ne_u64_e32 vcc, s[62:63], v[16:17]
	v_and_b32_e32 v12, 0x7fffff, v1
	v_mov_b32_e32 v13, v3
                                        ; implicit-def: $vgpr16
	s_and_saveexec_b64 s[40:41], vcc
	s_xor_b64 s[42:43], exec, s[40:41]
	s_cbranch_execz .LBB2_2443
; %bb.2430:                             ;   in Loop: Header=BB2_2021 Depth=3
	v_and_b32_e32 v16, 0x7fffffff, v1
	v_mov_b32_e32 v17, v3
	v_cmp_gt_u64_e32 vcc, s[78:79], v[16:17]
	v_and_b32_sdwa v9, v1, s82 dst_sel:DWORD dst_unused:UNUSED_PAD src0_sel:BYTE_3 src1_sel:DWORD
                                        ; implicit-def: $vgpr16
	s_and_saveexec_b64 s[40:41], vcc
	s_xor_b64 s[36:37], exec, s[40:41]
	s_cbranch_execz .LBB2_2440
; %bb.2431:                             ;   in Loop: Header=BB2_2021 Depth=3
	v_mov_b32_e32 v16, 0
	v_cmp_ne_u32_e32 vcc, 0, v1
	s_and_saveexec_b64 s[38:39], vcc
	s_cbranch_execz .LBB2_2439
; %bb.2432:                             ;   in Loop: Header=BB2_2021 Depth=3
	v_bfe_u32 v1, v1, 23, 8
	v_cmp_gt_u32_e64 s[40:41], s44, v1
	v_sub_u32_e32 v16, 0x71, v1
	v_cmp_eq_u32_e32 vcc, 0, v1
	v_cndmask_b32_e64 v16, 0, v16, s[40:41]
	v_mov_b32_e32 v39, 0x70
	v_cndmask_b32_e32 v39, v16, v39, vcc
	v_or_b32_e32 v17, 0x800000, v12
	v_add_u32_e32 v16, 21, v39
	v_cndmask_b32_e32 v12, v17, v12, vcc
	v_lshlrev_b64 v[16:17], v16, -1
	v_add_u32_e32 v43, 20, v39
	v_bfi_b32 v16, v16, 0, v12
	v_lshlrev_b64 v[43:44], v43, 1
	v_lshrrev_b64 v[12:13], v39, v[12:13]
	v_bfi_b32 v17, v17, 0, 0
	v_cmp_eq_u64_e64 s[40:41], v[16:17], v[43:44]
	v_mov_b32_e32 v17, v13
	v_mov_b32_e32 v16, v12
	s_and_saveexec_b64 s[48:49], s[40:41]
; %bb.2433:                             ;   in Loop: Header=BB2_2021 Depth=3
	v_bfe_u32 v13, v12, 21, 1
	v_add_co_u32_e64 v13, s[40:41], v12, v13
	v_add_co_u32_e64 v16, s[40:41], -1, v13
; %bb.2434:                             ;   in Loop: Header=BB2_2021 Depth=3
	s_or_b64 exec, exec, s[48:49]
	v_add_u32_e32 v1, 0xffffff81, v1
	v_mov_b32_e32 v13, 0xffffff82
	v_cndmask_b32_e32 v1, v1, v13, vcc
	v_lshrrev_b32_e32 v13, 23, v12
	v_add3_u32 v39, v39, v1, v13
	v_add_u32_e32 v17, 14, v39
	v_and_b32_e32 v1, 0x1fffff, v16
	v_add_u32_e32 v12, v1, v12
	v_mov_b32_e32 v13, v3
	v_cmp_ne_u32_e32 vcc, 0, v17
                                        ; implicit-def: $vgpr1
	s_and_saveexec_b64 s[40:41], vcc
	s_xor_b64 s[40:41], exec, s[40:41]
; %bb.2435:                             ;   in Loop: Header=BB2_2021 Depth=3
	v_cmp_lt_u64_e32 vcc, s[88:89], v[12:13]
	v_add_u32_e32 v1, 15, v39
	v_cndmask_b32_e64 v16, 0, 1, vcc
	v_cndmask_b32_e32 v1, v17, v1, vcc
	v_lshrrev_b64 v[12:13], v16, v[12:13]
; %bb.2436:                             ;   in Loop: Header=BB2_2021 Depth=3
	s_or_saveexec_b64 s[40:41], s[40:41]
	buffer_load_dword v44, off, s[0:3], s33 offset:196 ; 4-byte Folded Reload
	s_xor_b64 exec, exec, s[40:41]
; %bb.2437:                             ;   in Loop: Header=BB2_2021 Depth=3
	v_bfe_u32 v1, v12, 23, 1
; %bb.2438:                             ;   in Loop: Header=BB2_2021 Depth=3
	s_or_b64 exec, exec, s[40:41]
	v_lshrrev_b64 v[12:13], 21, v[12:13]
	v_cmp_gt_i32_e32 vcc, 32, v1
	v_cndmask_b32_e32 v13, 0, v13, vcc
	v_cndmask_b32_e32 v12, 3, v12, vcc
	v_cmp_eq_u32_e32 vcc, 0, v1
	v_min_i32_e32 v1, 31, v1
	v_cmp_eq_u64_e64 s[40:41], 0, v[12:13]
	v_lshlrev_b32_e32 v1, 2, v1
	v_and_b32_e32 v1, 0xfc, v1
	v_and_or_b32 v1, v12, 3, v1
	s_and_b64 s[40:41], vcc, s[40:41]
	v_cndmask_b32_e64 v1, v1, 0, s[40:41]
	v_or_b32_e32 v16, v1, v9
.LBB2_2439:                             ;   in Loop: Header=BB2_2021 Depth=3
	s_or_b64 exec, exec, s[38:39]
                                        ; implicit-def: $vgpr9
.LBB2_2440:                             ;   in Loop: Header=BB2_2021 Depth=3
	s_andn2_saveexec_b64 s[40:41], s[36:37]
; %bb.2441:                             ;   in Loop: Header=BB2_2021 Depth=3
	v_or_b32_e32 v16, 0x7b, v9
; %bb.2442:                             ;   in Loop: Header=BB2_2021 Depth=3
	s_or_b64 exec, exec, s[40:41]
                                        ; implicit-def: $vgpr1
                                        ; implicit-def: $vgpr12_vgpr13
.LBB2_2443:                             ;   in Loop: Header=BB2_2021 Depth=3
	s_andn2_saveexec_b64 s[40:41], s[42:43]
	s_cbranch_execz .LBB2_2449
; %bb.2444:                             ;   in Loop: Header=BB2_2021 Depth=3
	v_cmp_ne_u64_e32 vcc, 0, v[12:13]
                                        ; implicit-def: $vgpr16
	s_and_saveexec_b64 s[42:43], vcc
	s_xor_b64 s[42:43], exec, s[42:43]
; %bb.2445:                             ;   in Loop: Header=BB2_2021 Depth=3
	v_or_b32_sdwa v16, v1, s81 dst_sel:DWORD dst_unused:UNUSED_PAD src0_sel:BYTE_3 src1_sel:DWORD
                                        ; implicit-def: $vgpr1
; %bb.2446:                             ;   in Loop: Header=BB2_2021 Depth=3
	s_andn2_saveexec_b64 s[42:43], s[42:43]
; %bb.2447:                             ;   in Loop: Header=BB2_2021 Depth=3
	v_cmp_lt_i32_e32 vcc, -1, v1
	v_cndmask_b32_e32 v16, v0, v49, vcc
; %bb.2448:                             ;   in Loop: Header=BB2_2021 Depth=3
	s_or_b64 exec, exec, s[42:43]
.LBB2_2449:                             ;   in Loop: Header=BB2_2021 Depth=3
	s_or_b64 exec, exec, s[40:41]
	v_lshrrev_b16_e32 v12, 8, v2
	v_cmp_ne_u16_e32 vcc, 0, v12
	v_mov_b32_e32 v1, 0
	s_and_saveexec_b64 s[40:41], vcc
	s_cbranch_execz .LBB2_2457
; %bb.2450:                             ;   in Loop: Header=BB2_2021 Depth=3
	v_cmp_ne_u16_e32 vcc, s82, v12
	v_bfrev_b32_e32 v1, 1
	s_and_saveexec_b64 s[42:43], vcc
	s_cbranch_execz .LBB2_2456
; %bb.2451:                             ;   in Loop: Header=BB2_2021 Depth=3
	v_and_b32_e32 v1, 0x7c, v12
	v_and_b32_e32 v9, 3, v12
	v_cmp_ne_u32_e32 vcc, s71, v1
                                        ; implicit-def: $vgpr1
	s_and_saveexec_b64 s[36:37], vcc
	s_xor_b64 s[36:37], exec, s[36:37]
	s_cbranch_execz .LBB2_2453
; %bb.2452:                             ;   in Loop: Header=BB2_2021 Depth=3
	v_ffbh_u32_e32 v17, v9
	v_min_u32_e32 v17, 32, v17
	v_mov_b32_e32 v13, v3
	v_subrev_u32_e32 v39, 29, v17
	v_bfe_u32 v1, v12, 2, 5
	v_lshlrev_b64 v[12:13], v39, v[12:13]
	v_sub_u32_e32 v13, 30, v17
	v_cmp_eq_u32_e32 vcc, 0, v1
	v_lshlrev_b32_e32 v2, 16, v2
	v_and_b32_e32 v12, 3, v12
	v_cndmask_b32_e32 v1, v1, v13, vcc
	v_and_b32_e32 v2, 0x80000000, v2
	v_cndmask_b32_e32 v9, v9, v12, vcc
	v_lshl_add_u32 v1, v1, 23, v2
	v_lshl_or_b32 v1, v9, 21, v1
	v_add_u32_e32 v1, 0x38000000, v1
                                        ; implicit-def: $vgpr9
.LBB2_2453:                             ;   in Loop: Header=BB2_2021 Depth=3
	s_andn2_saveexec_b64 s[36:37], s[36:37]
; %bb.2454:                             ;   in Loop: Header=BB2_2021 Depth=3
	v_cmp_lt_i16_e32 vcc, -1, v2
	v_cndmask_b32_e32 v1, v27, v6, vcc
	v_cmp_eq_u32_e32 vcc, 0, v9
	v_cndmask_b32_e32 v1, v7, v1, vcc
; %bb.2455:                             ;   in Loop: Header=BB2_2021 Depth=3
	s_or_b64 exec, exec, s[36:37]
.LBB2_2456:                             ;   in Loop: Header=BB2_2021 Depth=3
	s_or_b64 exec, exec, s[42:43]
.LBB2_2457:                             ;   in Loop: Header=BB2_2021 Depth=3
	s_or_b64 exec, exec, s[40:41]
	v_lshrrev_b16_e32 v2, 8, v8
	v_cmp_lt_i16_e32 vcc, s81, v2
	s_mov_b64 s[40:41], 0
	s_and_saveexec_b64 s[42:43], vcc
	s_xor_b64 s[42:43], exec, s[42:43]
	s_cbranch_execz .LBB2_2564
; %bb.2458:                             ;   in Loop: Header=BB2_2021 Depth=3
	v_cmp_eq_u16_e32 vcc, s82, v2
	s_mov_b64 s[40:41], -1
	s_and_saveexec_b64 s[36:37], vcc
; %bb.2459:                             ;   in Loop: Header=BB2_2021 Depth=3
	s_xor_b64 s[40:41], exec, -1
; %bb.2460:                             ;   in Loop: Header=BB2_2021 Depth=3
	s_or_b64 exec, exec, s[36:37]
	s_and_b64 s[40:41], s[40:41], exec
	s_or_saveexec_b64 s[42:43], s[42:43]
	v_bfrev_b32_e32 v9, 1
	s_xor_b64 exec, exec, s[42:43]
	s_cbranch_execnz .LBB2_2565
.LBB2_2461:                             ;   in Loop: Header=BB2_2021 Depth=3
	s_or_b64 exec, exec, s[42:43]
	s_and_saveexec_b64 s[36:37], s[40:41]
	s_cbranch_execz .LBB2_2463
.LBB2_2462:                             ;   in Loop: Header=BB2_2021 Depth=3
	v_and_b32_e32 v9, 3, v2
	v_and_b32_e32 v12, 0x7c, v2
	v_cmp_eq_u32_e32 vcc, s71, v12
	v_ffbh_u32_e32 v12, v9
	v_min_u32_e32 v39, 32, v12
	v_subrev_u32_e32 v12, 29, v39
	v_bfe_u32 v17, v2, 2, 5
	v_lshlrev_b64 v[12:13], v12, v[2:3]
	v_cmp_eq_u32_e64 s[40:41], 0, v17
	v_sub_u32_e32 v13, 30, v39
	v_lshlrev_b32_e32 v2, 24, v2
	v_and_b32_e32 v12, 3, v12
	v_cndmask_b32_e64 v13, v17, v13, s[40:41]
	v_and_b32_e32 v2, 0x80000000, v2
	v_cndmask_b32_e64 v12, v9, v12, s[40:41]
	v_lshl_add_u32 v2, v13, 23, v2
	v_cmp_lt_i16_e64 s[42:43], -1, v8
	v_lshl_or_b32 v2, v12, 21, v2
	v_cmp_eq_u32_e64 s[40:41], 0, v9
	v_cndmask_b32_e64 v8, v27, v6, s[42:43]
	v_add_u32_e32 v2, 0x38000000, v2
	v_cndmask_b32_e64 v8, v7, v8, s[40:41]
	v_cndmask_b32_e32 v9, v2, v8, vcc
.LBB2_2463:                             ;   in Loop: Header=BB2_2021 Depth=3
	s_or_b64 exec, exec, s[36:37]
	v_mul_f32_e32 v1, v1, v9
	v_and_b32_e32 v8, 0x7f800000, v1
	v_mov_b32_e32 v9, v3
	v_cmp_ne_u64_e32 vcc, s[62:63], v[8:9]
	v_and_b32_e32 v2, 0x7fffff, v1
                                        ; implicit-def: $vgpr17
	s_and_saveexec_b64 s[40:41], vcc
	s_xor_b64 s[42:43], exec, s[40:41]
	s_cbranch_execz .LBB2_2477
; %bb.2464:                             ;   in Loop: Header=BB2_2021 Depth=3
	v_and_b32_e32 v8, 0x7fffffff, v1
	v_mov_b32_e32 v9, v3
	v_cmp_gt_u64_e32 vcc, s[78:79], v[8:9]
	v_and_b32_sdwa v39, v1, s82 dst_sel:DWORD dst_unused:UNUSED_PAD src0_sel:BYTE_3 src1_sel:DWORD
                                        ; implicit-def: $vgpr17
	s_and_saveexec_b64 s[40:41], vcc
	s_xor_b64 s[36:37], exec, s[40:41]
	s_cbranch_execz .LBB2_2474
; %bb.2465:                             ;   in Loop: Header=BB2_2021 Depth=3
	v_mov_b32_e32 v17, 0
	v_cmp_ne_u32_e32 vcc, 0, v1
	s_and_saveexec_b64 s[38:39], vcc
	s_cbranch_execz .LBB2_2473
; %bb.2466:                             ;   in Loop: Header=BB2_2021 Depth=3
	v_bfe_u32 v1, v1, 23, 8
	v_cmp_gt_u32_e64 s[40:41], s44, v1
	v_sub_u32_e32 v8, 0x71, v1
	v_cmp_eq_u32_e32 vcc, 0, v1
	v_cndmask_b32_e64 v8, 0, v8, s[40:41]
	v_mov_b32_e32 v12, 0x70
	v_cndmask_b32_e32 v17, v8, v12, vcc
	v_or_b32_e32 v9, 0x800000, v2
	v_add_u32_e32 v8, 21, v17
	v_cndmask_b32_e32 v2, v9, v2, vcc
	v_lshlrev_b64 v[8:9], v8, -1
	v_add_u32_e32 v12, 20, v17
	v_lshlrev_b64 v[12:13], v12, 1
	v_bfi_b32 v9, v9, 0, 0
	v_bfi_b32 v8, v8, 0, v2
	v_cmp_eq_u64_e64 s[40:41], v[8:9], v[12:13]
	v_lshrrev_b64 v[8:9], v17, v[2:3]
	v_mov_b32_e32 v13, v9
	v_mov_b32_e32 v12, v8
	s_and_saveexec_b64 s[48:49], s[40:41]
; %bb.2467:                             ;   in Loop: Header=BB2_2021 Depth=3
	v_bfe_u32 v2, v8, 21, 1
	v_add_co_u32_e64 v2, s[40:41], v8, v2
	v_add_co_u32_e64 v12, s[40:41], -1, v2
; %bb.2468:                             ;   in Loop: Header=BB2_2021 Depth=3
	s_or_b64 exec, exec, s[48:49]
	v_add_u32_e32 v1, 0xffffff81, v1
	v_mov_b32_e32 v2, 0xffffff82
	v_cndmask_b32_e32 v1, v1, v2, vcc
	v_lshrrev_b32_e32 v2, 23, v8
	v_add3_u32 v17, v17, v1, v2
	v_add_u32_e32 v13, 14, v17
	v_and_b32_e32 v1, 0x1fffff, v12
	v_add_u32_e32 v2, v1, v8
	v_cmp_ne_u32_e32 vcc, 0, v13
                                        ; implicit-def: $vgpr8_vgpr9
                                        ; implicit-def: $vgpr1
	s_and_saveexec_b64 s[40:41], vcc
	s_xor_b64 s[40:41], exec, s[40:41]
; %bb.2469:                             ;   in Loop: Header=BB2_2021 Depth=3
	v_cmp_lt_u64_e32 vcc, s[88:89], v[2:3]
	v_add_u32_e32 v1, 15, v17
	v_cndmask_b32_e64 v8, 0, 1, vcc
	v_cndmask_b32_e32 v1, v13, v1, vcc
	v_lshrrev_b64 v[8:9], v8, v[2:3]
; %bb.2470:                             ;   in Loop: Header=BB2_2021 Depth=3
	s_andn2_saveexec_b64 s[40:41], s[40:41]
; %bb.2471:                             ;   in Loop: Header=BB2_2021 Depth=3
	v_mov_b32_e32 v9, v3
	v_bfe_u32 v1, v2, 23, 1
	v_mov_b32_e32 v8, v2
; %bb.2472:                             ;   in Loop: Header=BB2_2021 Depth=3
	s_or_b64 exec, exec, s[40:41]
	v_lshrrev_b64 v[8:9], 21, v[8:9]
	v_cmp_gt_i32_e32 vcc, 32, v1
	v_cndmask_b32_e32 v9, 0, v9, vcc
	v_cndmask_b32_e32 v8, 3, v8, vcc
	v_cmp_eq_u32_e32 vcc, 0, v1
	v_min_i32_e32 v1, 31, v1
	v_cmp_eq_u64_e64 s[40:41], 0, v[8:9]
	v_lshlrev_b32_e32 v1, 2, v1
	v_and_b32_e32 v1, 0xfc, v1
	v_and_or_b32 v1, v8, 3, v1
	s_and_b64 s[40:41], vcc, s[40:41]
	v_cndmask_b32_e64 v1, v1, 0, s[40:41]
	v_or_b32_e32 v17, v1, v39
.LBB2_2473:                             ;   in Loop: Header=BB2_2021 Depth=3
	s_or_b64 exec, exec, s[38:39]
                                        ; implicit-def: $vgpr39
.LBB2_2474:                             ;   in Loop: Header=BB2_2021 Depth=3
	s_andn2_saveexec_b64 s[40:41], s[36:37]
; %bb.2475:                             ;   in Loop: Header=BB2_2021 Depth=3
	v_or_b32_e32 v17, 0x7b, v39
; %bb.2476:                             ;   in Loop: Header=BB2_2021 Depth=3
	s_or_b64 exec, exec, s[40:41]
                                        ; implicit-def: $vgpr1
.LBB2_2477:                             ;   in Loop: Header=BB2_2021 Depth=3
	s_andn2_saveexec_b64 s[40:41], s[42:43]
	s_cbranch_execz .LBB2_2483
; %bb.2478:                             ;   in Loop: Header=BB2_2021 Depth=3
	v_cmp_ne_u64_e32 vcc, 0, v[2:3]
                                        ; implicit-def: $vgpr17
	s_and_saveexec_b64 s[42:43], vcc
	s_xor_b64 s[42:43], exec, s[42:43]
; %bb.2479:                             ;   in Loop: Header=BB2_2021 Depth=3
	v_or_b32_sdwa v17, v1, s81 dst_sel:DWORD dst_unused:UNUSED_PAD src0_sel:BYTE_3 src1_sel:DWORD
                                        ; implicit-def: $vgpr1
; %bb.2480:                             ;   in Loop: Header=BB2_2021 Depth=3
	s_andn2_saveexec_b64 s[42:43], s[42:43]
; %bb.2481:                             ;   in Loop: Header=BB2_2021 Depth=3
	v_cmp_lt_i32_e32 vcc, -1, v1
	v_cndmask_b32_e32 v17, v0, v49, vcc
; %bb.2482:                             ;   in Loop: Header=BB2_2021 Depth=3
	s_or_b64 exec, exec, s[42:43]
.LBB2_2483:                             ;   in Loop: Header=BB2_2021 Depth=3
	s_or_b64 exec, exec, s[40:41]
	v_lshrrev_b32_e32 v2, 16, v15
	v_cmp_ne_u16_sdwa s[42:43], v2, v3 src0_sel:BYTE_0 src1_sel:DWORD
	v_mov_b32_e32 v1, 0
	s_and_saveexec_b64 s[40:41], s[42:43]
	s_cbranch_execz .LBB2_2491
; %bb.2484:                             ;   in Loop: Header=BB2_2021 Depth=3
	v_cmp_ne_u16_sdwa vcc, v2, s82 src0_sel:BYTE_0 src1_sel:DWORD
	v_bfrev_b32_e32 v1, 1
	s_and_saveexec_b64 s[42:43], vcc
	s_cbranch_execz .LBB2_2490
; %bb.2485:                             ;   in Loop: Header=BB2_2021 Depth=3
	v_and_b32_e32 v1, 0x7c0000, v15
	v_bfe_u32 v8, v15, 16, 2
	v_cmp_ne_u32_e32 vcc, s45, v1
                                        ; implicit-def: $vgpr1
	s_and_saveexec_b64 s[36:37], vcc
	s_xor_b64 s[36:37], exec, s[36:37]
	s_cbranch_execz .LBB2_2487
; %bb.2486:                             ;   in Loop: Header=BB2_2021 Depth=3
	v_ffbh_u32_e32 v1, v8
	v_min_u32_e32 v12, 32, v1
	v_subrev_u32_e32 v1, 29, v12
	v_lshlrev_b64 v[1:2], v1, v[2:3]
	v_bfe_u32 v9, v15, 18, 5
	v_and_b32_e32 v1, 3, v1
	v_cmp_eq_u32_e32 vcc, 0, v9
	v_sub_u32_e32 v2, 30, v12
	v_cndmask_b32_e32 v1, v8, v1, vcc
	v_lshlrev_b32_e32 v8, 8, v15
	v_cndmask_b32_e32 v2, v9, v2, vcc
	v_and_b32_e32 v8, 0x80000000, v8
	v_lshl_add_u32 v2, v2, 23, v8
	v_lshl_or_b32 v1, v1, 21, v2
	v_add_u32_e32 v1, 0x38000000, v1
                                        ; implicit-def: $vgpr8
                                        ; implicit-def: $vgpr2
.LBB2_2487:                             ;   in Loop: Header=BB2_2021 Depth=3
	s_andn2_saveexec_b64 s[36:37], s[36:37]
; %bb.2488:                             ;   in Loop: Header=BB2_2021 Depth=3
	v_cmp_gt_i16_sdwa vcc, sext(v2), v26 src0_sel:BYTE_0 src1_sel:DWORD
	v_cndmask_b32_e32 v1, v27, v6, vcc
	v_cmp_eq_u32_e32 vcc, 0, v8
	v_cndmask_b32_e32 v1, v7, v1, vcc
; %bb.2489:                             ;   in Loop: Header=BB2_2021 Depth=3
	s_or_b64 exec, exec, s[36:37]
.LBB2_2490:                             ;   in Loop: Header=BB2_2021 Depth=3
	s_or_b64 exec, exec, s[42:43]
.LBB2_2491:                             ;   in Loop: Header=BB2_2021 Depth=3
	s_or_b64 exec, exec, s[40:41]
	v_lshrrev_b32_e32 v2, 16, v11
	v_cmp_gt_i16_sdwa s[42:43], v2, s81 src0_sel:BYTE_0 src1_sel:DWORD
	s_mov_b64 s[40:41], 0
	s_and_saveexec_b64 vcc, s[42:43]
	s_xor_b64 s[42:43], exec, vcc
	s_cbranch_execz .LBB2_2566
; %bb.2492:                             ;   in Loop: Header=BB2_2021 Depth=3
	v_cmp_eq_u16_sdwa s[36:37], v2, s82 src0_sel:BYTE_0 src1_sel:DWORD
	s_mov_b64 s[40:41], -1
	s_and_saveexec_b64 vcc, s[36:37]
; %bb.2493:                             ;   in Loop: Header=BB2_2021 Depth=3
	s_xor_b64 s[40:41], exec, -1
; %bb.2494:                             ;   in Loop: Header=BB2_2021 Depth=3
	s_or_b64 exec, exec, vcc
	s_and_b64 s[40:41], s[40:41], exec
	s_or_saveexec_b64 s[42:43], s[42:43]
	v_bfrev_b32_e32 v8, 1
	s_xor_b64 exec, exec, s[42:43]
	s_cbranch_execnz .LBB2_2567
.LBB2_2495:                             ;   in Loop: Header=BB2_2021 Depth=3
	s_or_b64 exec, exec, s[42:43]
	s_and_saveexec_b64 s[36:37], s[40:41]
	s_cbranch_execz .LBB2_2497
.LBB2_2496:                             ;   in Loop: Header=BB2_2021 Depth=3
	v_and_b32_e32 v12, 3, v2
	v_and_b32_e32 v8, 0x7c0000, v11
	v_cmp_eq_u32_e32 vcc, s45, v8
	v_ffbh_u32_e32 v8, v12
	v_min_u32_e32 v39, 32, v8
	v_subrev_u32_e32 v8, 29, v39
	v_bfe_u32 v13, v11, 18, 5
	v_lshlrev_b64 v[8:9], v8, v[2:3]
	v_cmp_eq_u32_e64 s[40:41], 0, v13
	v_sub_u32_e32 v9, 30, v39
	v_cndmask_b32_e64 v9, v13, v9, s[40:41]
	v_lshlrev_b32_e32 v13, 24, v2
	v_and_b32_e32 v8, 3, v8
	v_and_b32_e32 v13, 0x80000000, v13
	v_cndmask_b32_e64 v8, v12, v8, s[40:41]
	v_lshl_add_u32 v9, v9, 23, v13
	v_cmp_gt_i16_sdwa s[42:43], sext(v2), v26 src0_sel:BYTE_0 src1_sel:DWORD
	v_lshl_or_b32 v8, v8, 21, v9
	v_cmp_eq_u32_e64 s[40:41], 0, v12
	v_cndmask_b32_e64 v2, v27, v6, s[42:43]
	v_add_u32_e32 v8, 0x38000000, v8
	v_cndmask_b32_e64 v2, v7, v2, s[40:41]
	v_cndmask_b32_e32 v8, v8, v2, vcc
.LBB2_2497:                             ;   in Loop: Header=BB2_2021 Depth=3
	s_or_b64 exec, exec, s[36:37]
	v_mul_f32_e32 v1, v1, v8
	v_and_b32_e32 v8, 0x7f800000, v1
	v_mov_b32_e32 v9, v3
	v_cmp_ne_u64_e32 vcc, s[62:63], v[8:9]
	v_and_b32_e32 v2, 0x7fffff, v1
                                        ; implicit-def: $vgpr12
	s_and_saveexec_b64 s[40:41], vcc
	s_xor_b64 s[42:43], exec, s[40:41]
	s_cbranch_execz .LBB2_2511
; %bb.2498:                             ;   in Loop: Header=BB2_2021 Depth=3
	v_and_b32_e32 v8, 0x7fffffff, v1
	v_mov_b32_e32 v9, v3
	v_cmp_gt_u64_e32 vcc, s[78:79], v[8:9]
	v_and_b32_sdwa v39, v1, s82 dst_sel:DWORD dst_unused:UNUSED_PAD src0_sel:BYTE_3 src1_sel:DWORD
                                        ; implicit-def: $vgpr12
	s_and_saveexec_b64 s[40:41], vcc
	s_xor_b64 s[36:37], exec, s[40:41]
	s_cbranch_execz .LBB2_2508
; %bb.2499:                             ;   in Loop: Header=BB2_2021 Depth=3
	v_mov_b32_e32 v12, 0
	v_cmp_ne_u32_e32 vcc, 0, v1
	s_and_saveexec_b64 s[38:39], vcc
	s_cbranch_execz .LBB2_2507
; %bb.2500:                             ;   in Loop: Header=BB2_2021 Depth=3
	v_bfe_u32 v1, v1, 23, 8
	v_cmp_gt_u32_e64 s[40:41], s44, v1
	v_sub_u32_e32 v8, 0x71, v1
	v_cmp_eq_u32_e32 vcc, 0, v1
	v_cndmask_b32_e64 v8, 0, v8, s[40:41]
	v_mov_b32_e32 v12, 0x70
	v_cndmask_b32_e32 v43, v8, v12, vcc
	v_or_b32_e32 v9, 0x800000, v2
	v_add_u32_e32 v8, 21, v43
	v_cndmask_b32_e32 v2, v9, v2, vcc
	v_lshlrev_b64 v[8:9], v8, -1
	v_add_u32_e32 v12, 20, v43
	v_lshlrev_b64 v[12:13], v12, 1
	v_bfi_b32 v9, v9, 0, 0
	v_bfi_b32 v8, v8, 0, v2
	v_cmp_eq_u64_e64 s[40:41], v[8:9], v[12:13]
	v_lshrrev_b64 v[8:9], v43, v[2:3]
	v_mov_b32_e32 v13, v9
	v_mov_b32_e32 v12, v8
	s_and_saveexec_b64 s[48:49], s[40:41]
; %bb.2501:                             ;   in Loop: Header=BB2_2021 Depth=3
	v_bfe_u32 v2, v8, 21, 1
	v_add_co_u32_e64 v2, s[40:41], v8, v2
	v_add_co_u32_e64 v12, s[40:41], -1, v2
; %bb.2502:                             ;   in Loop: Header=BB2_2021 Depth=3
	s_or_b64 exec, exec, s[48:49]
	v_add_u32_e32 v1, 0xffffff81, v1
	v_mov_b32_e32 v2, 0xffffff82
	v_cndmask_b32_e32 v1, v1, v2, vcc
	v_lshrrev_b32_e32 v2, 23, v8
	v_add3_u32 v43, v43, v1, v2
	v_add_u32_e32 v13, 14, v43
	v_and_b32_e32 v1, 0x1fffff, v12
	v_add_u32_e32 v2, v1, v8
	v_cmp_ne_u32_e32 vcc, 0, v13
                                        ; implicit-def: $vgpr8_vgpr9
                                        ; implicit-def: $vgpr1
	s_and_saveexec_b64 s[40:41], vcc
	s_xor_b64 s[40:41], exec, s[40:41]
; %bb.2503:                             ;   in Loop: Header=BB2_2021 Depth=3
	v_cmp_lt_u64_e32 vcc, s[88:89], v[2:3]
	v_add_u32_e32 v1, 15, v43
	v_cndmask_b32_e64 v8, 0, 1, vcc
	v_cndmask_b32_e32 v1, v13, v1, vcc
	v_lshrrev_b64 v[8:9], v8, v[2:3]
; %bb.2504:                             ;   in Loop: Header=BB2_2021 Depth=3
	s_andn2_saveexec_b64 s[40:41], s[40:41]
; %bb.2505:                             ;   in Loop: Header=BB2_2021 Depth=3
	v_mov_b32_e32 v9, v3
	v_bfe_u32 v1, v2, 23, 1
	v_mov_b32_e32 v8, v2
; %bb.2506:                             ;   in Loop: Header=BB2_2021 Depth=3
	s_or_b64 exec, exec, s[40:41]
	v_lshrrev_b64 v[8:9], 21, v[8:9]
	v_cmp_gt_i32_e32 vcc, 32, v1
	v_cndmask_b32_e32 v9, 0, v9, vcc
	v_cndmask_b32_e32 v8, 3, v8, vcc
	v_cmp_eq_u32_e32 vcc, 0, v1
	v_min_i32_e32 v1, 31, v1
	v_cmp_eq_u64_e64 s[40:41], 0, v[8:9]
	v_lshlrev_b32_e32 v1, 2, v1
	v_and_b32_e32 v1, 0xfc, v1
	v_and_or_b32 v1, v8, 3, v1
	s_and_b64 s[40:41], vcc, s[40:41]
	v_cndmask_b32_e64 v1, v1, 0, s[40:41]
	v_or_b32_e32 v12, v1, v39
.LBB2_2507:                             ;   in Loop: Header=BB2_2021 Depth=3
	s_or_b64 exec, exec, s[38:39]
                                        ; implicit-def: $vgpr39
.LBB2_2508:                             ;   in Loop: Header=BB2_2021 Depth=3
	s_andn2_saveexec_b64 s[40:41], s[36:37]
; %bb.2509:                             ;   in Loop: Header=BB2_2021 Depth=3
	v_or_b32_e32 v12, 0x7b, v39
; %bb.2510:                             ;   in Loop: Header=BB2_2021 Depth=3
	s_or_b64 exec, exec, s[40:41]
                                        ; implicit-def: $vgpr1
.LBB2_2511:                             ;   in Loop: Header=BB2_2021 Depth=3
	s_andn2_saveexec_b64 s[40:41], s[42:43]
	s_cbranch_execz .LBB2_2517
; %bb.2512:                             ;   in Loop: Header=BB2_2021 Depth=3
	v_cmp_ne_u64_e32 vcc, 0, v[2:3]
                                        ; implicit-def: $vgpr12
	s_and_saveexec_b64 s[42:43], vcc
	s_xor_b64 s[42:43], exec, s[42:43]
; %bb.2513:                             ;   in Loop: Header=BB2_2021 Depth=3
	v_or_b32_sdwa v12, v1, s81 dst_sel:DWORD dst_unused:UNUSED_PAD src0_sel:BYTE_3 src1_sel:DWORD
                                        ; implicit-def: $vgpr1
; %bb.2514:                             ;   in Loop: Header=BB2_2021 Depth=3
	s_andn2_saveexec_b64 s[42:43], s[42:43]
; %bb.2515:                             ;   in Loop: Header=BB2_2021 Depth=3
	v_cmp_lt_i32_e32 vcc, -1, v1
	v_cndmask_b32_e32 v12, v0, v49, vcc
; %bb.2516:                             ;   in Loop: Header=BB2_2021 Depth=3
	s_or_b64 exec, exec, s[42:43]
.LBB2_2517:                             ;   in Loop: Header=BB2_2021 Depth=3
	s_or_b64 exec, exec, s[40:41]
	v_cmp_lt_u64_e32 vcc, s[56:57], v[14:15]
	v_mov_b32_e32 v1, 0
	s_and_saveexec_b64 s[40:41], vcc
	s_cbranch_execz .LBB2_2525
; %bb.2518:                             ;   in Loop: Header=BB2_2021 Depth=3
	v_lshrrev_b32_e32 v2, 24, v15
	v_cmp_ne_u32_e32 vcc, s82, v2
	v_bfrev_b32_e32 v1, 1
	s_and_saveexec_b64 s[42:43], vcc
	s_cbranch_execz .LBB2_2524
; %bb.2519:                             ;   in Loop: Header=BB2_2021 Depth=3
	v_and_b32_e32 v1, 0x7c000000, v15
	v_bfe_u32 v8, v15, 24, 2
	v_cmp_ne_u32_e32 vcc, s83, v1
                                        ; implicit-def: $vgpr1
	s_and_saveexec_b64 s[36:37], vcc
	s_xor_b64 s[36:37], exec, s[36:37]
	s_cbranch_execz .LBB2_2521
; %bb.2520:                             ;   in Loop: Header=BB2_2021 Depth=3
	v_ffbh_u32_e32 v1, v8
	v_min_u32_e32 v13, 32, v1
	v_subrev_u32_e32 v1, 29, v13
	v_lshlrev_b64 v[1:2], v1, v[2:3]
	v_bfe_u32 v9, v15, 26, 5
	v_sub_u32_e32 v2, 30, v13
	v_and_b32_e32 v1, 3, v1
	v_cmp_eq_u32_e32 vcc, 0, v9
	v_cndmask_b32_e32 v2, v9, v2, vcc
	v_cndmask_b32_e32 v1, v8, v1, vcc
	v_and_b32_e32 v8, 0x80000000, v15
	v_lshl_add_u32 v2, v2, 23, v8
	v_lshl_or_b32 v1, v1, 21, v2
	v_add_u32_e32 v1, 0x38000000, v1
                                        ; implicit-def: $vgpr8
                                        ; implicit-def: $vgpr14_vgpr15
.LBB2_2521:                             ;   in Loop: Header=BB2_2021 Depth=3
	s_andn2_saveexec_b64 s[36:37], s[36:37]
; %bb.2522:                             ;   in Loop: Header=BB2_2021 Depth=3
	v_cmp_lt_i64_e32 vcc, -1, v[14:15]
	v_cndmask_b32_e32 v1, v27, v6, vcc
	v_cmp_eq_u32_e32 vcc, 0, v8
	v_cndmask_b32_e32 v1, v7, v1, vcc
; %bb.2523:                             ;   in Loop: Header=BB2_2021 Depth=3
	s_or_b64 exec, exec, s[36:37]
.LBB2_2524:                             ;   in Loop: Header=BB2_2021 Depth=3
	s_or_b64 exec, exec, s[42:43]
.LBB2_2525:                             ;   in Loop: Header=BB2_2021 Depth=3
	s_or_b64 exec, exec, s[40:41]
	v_bfe_u32 v13, v11, 24, 2
	v_and_b32_e32 v8, 0x7c000000, v11
	v_cmp_eq_u32_e32 vcc, s83, v8
	v_ffbh_u32_e32 v8, v13
	v_min_u32_e32 v15, 32, v8
	v_lshrrev_b32_e32 v2, 24, v11
	v_subrev_u32_e32 v8, 29, v15
	v_bfe_u32 v14, v11, 26, 5
	v_lshlrev_b64 v[8:9], v8, v[2:3]
	v_cmp_eq_u32_e64 s[40:41], 0, v14
	v_sub_u32_e32 v9, 30, v15
	v_and_b32_e32 v8, 3, v8
	v_cndmask_b32_e64 v9, v14, v9, s[40:41]
	v_and_b32_e32 v14, 0x80000000, v11
	v_cmp_lt_i64_e64 s[42:43], -1, v[10:11]
	v_cndmask_b32_e64 v8, v13, v8, s[40:41]
	v_lshl_add_u32 v9, v9, 23, v14
	v_lshl_or_b32 v8, v8, 21, v9
	v_cmp_eq_u32_e64 s[40:41], 0, v13
	v_cndmask_b32_e64 v9, v27, v6, s[42:43]
	v_add_u32_e32 v8, 0x38000000, v8
	v_cndmask_b32_e64 v9, v7, v9, s[40:41]
	v_cndmask_b32_e32 v8, v8, v9, vcc
	v_cmp_ne_u32_e32 vcc, s82, v2
	v_cndmask_b32_e32 v2, v53, v8, vcc
	v_cmp_lt_u64_e32 vcc, s[56:57], v[10:11]
	v_mov_b32_e32 v10, v3
	v_cndmask_b32_e32 v2, 0, v2, vcc
	v_mul_f32_e32 v8, v2, v1
	v_and_b32_e32 v9, 0x7f800000, v8
	v_cmp_ne_u64_e32 vcc, s[62:63], v[9:10]
	v_and_b32_e32 v2, 0x7fffff, v8
                                        ; implicit-def: $vgpr1
	s_and_saveexec_b64 s[40:41], vcc
	s_xor_b64 s[42:43], exec, s[40:41]
	s_cbranch_execz .LBB2_2539
; %bb.2526:                             ;   in Loop: Header=BB2_2021 Depth=3
	v_and_b32_e32 v9, 0x7fffffff, v8
	v_mov_b32_e32 v10, v3
	v_cmp_gt_u64_e32 vcc, s[78:79], v[9:10]
	v_and_b32_sdwa v11, v8, s82 dst_sel:DWORD dst_unused:UNUSED_PAD src0_sel:BYTE_3 src1_sel:DWORD
                                        ; implicit-def: $vgpr1
	s_and_saveexec_b64 s[40:41], vcc
	s_xor_b64 s[36:37], exec, s[40:41]
	s_cbranch_execz .LBB2_2536
; %bb.2527:                             ;   in Loop: Header=BB2_2021 Depth=3
	v_mov_b32_e32 v1, 0
	v_cmp_ne_u32_e32 vcc, 0, v8
	s_and_saveexec_b64 s[38:39], vcc
	s_cbranch_execz .LBB2_2535
; %bb.2528:                             ;   in Loop: Header=BB2_2021 Depth=3
	v_bfe_u32 v1, v8, 23, 8
	v_cmp_gt_u32_e64 s[40:41], s44, v1
	v_sub_u32_e32 v8, 0x71, v1
	v_cmp_eq_u32_e32 vcc, 0, v1
	v_cndmask_b32_e64 v8, 0, v8, s[40:41]
	v_mov_b32_e32 v10, 0x70
	v_cndmask_b32_e32 v13, v8, v10, vcc
	v_or_b32_e32 v9, 0x800000, v2
	v_add_u32_e32 v8, 21, v13
	v_cndmask_b32_e32 v2, v9, v2, vcc
	v_lshlrev_b64 v[8:9], v8, -1
	v_add_u32_e32 v10, 20, v13
	v_lshlrev_b64 v[14:15], v10, 1
	v_bfi_b32 v9, v9, 0, 0
	v_bfi_b32 v8, v8, 0, v2
	v_cmp_eq_u64_e64 s[40:41], v[8:9], v[14:15]
	v_lshrrev_b64 v[8:9], v13, v[2:3]
	v_mov_b32_e32 v10, v9
	v_mov_b32_e32 v9, v8
	s_and_saveexec_b64 s[48:49], s[40:41]
; %bb.2529:                             ;   in Loop: Header=BB2_2021 Depth=3
	v_bfe_u32 v2, v8, 21, 1
	v_add_co_u32_e64 v2, s[40:41], v8, v2
	v_add_co_u32_e64 v9, s[40:41], -1, v2
; %bb.2530:                             ;   in Loop: Header=BB2_2021 Depth=3
	s_or_b64 exec, exec, s[48:49]
	v_add_u32_e32 v1, 0xffffff81, v1
	v_mov_b32_e32 v2, 0xffffff82
	v_cndmask_b32_e32 v1, v1, v2, vcc
	v_lshrrev_b32_e32 v2, 23, v8
	v_add3_u32 v13, v13, v1, v2
	v_add_u32_e32 v10, 14, v13
	v_and_b32_e32 v1, 0x1fffff, v9
	v_add_u32_e32 v2, v1, v8
	v_cmp_ne_u32_e32 vcc, 0, v10
                                        ; implicit-def: $vgpr8_vgpr9
                                        ; implicit-def: $vgpr1
	s_and_saveexec_b64 s[40:41], vcc
	s_xor_b64 s[40:41], exec, s[40:41]
; %bb.2531:                             ;   in Loop: Header=BB2_2021 Depth=3
	v_cmp_lt_u64_e32 vcc, s[88:89], v[2:3]
	v_add_u32_e32 v1, 15, v13
	v_cndmask_b32_e64 v8, 0, 1, vcc
	v_cndmask_b32_e32 v1, v10, v1, vcc
	v_lshrrev_b64 v[8:9], v8, v[2:3]
; %bb.2532:                             ;   in Loop: Header=BB2_2021 Depth=3
	s_andn2_saveexec_b64 s[40:41], s[40:41]
; %bb.2533:                             ;   in Loop: Header=BB2_2021 Depth=3
	v_mov_b32_e32 v9, v3
	v_bfe_u32 v1, v2, 23, 1
	v_mov_b32_e32 v8, v2
; %bb.2534:                             ;   in Loop: Header=BB2_2021 Depth=3
	s_or_b64 exec, exec, s[40:41]
	v_lshrrev_b64 v[8:9], 21, v[8:9]
	v_cmp_gt_i32_e32 vcc, 32, v1
	v_cndmask_b32_e32 v9, 0, v9, vcc
	v_cndmask_b32_e32 v8, 3, v8, vcc
	v_cmp_eq_u32_e32 vcc, 0, v1
	v_min_i32_e32 v1, 31, v1
	v_cmp_eq_u64_e64 s[40:41], 0, v[8:9]
	v_lshlrev_b32_e32 v1, 2, v1
	v_and_b32_e32 v1, 0xfc, v1
	v_and_or_b32 v1, v8, 3, v1
	s_and_b64 s[40:41], vcc, s[40:41]
	v_cndmask_b32_e64 v1, v1, 0, s[40:41]
	v_or_b32_e32 v1, v1, v11
.LBB2_2535:                             ;   in Loop: Header=BB2_2021 Depth=3
	s_or_b64 exec, exec, s[38:39]
                                        ; implicit-def: $vgpr11
.LBB2_2536:                             ;   in Loop: Header=BB2_2021 Depth=3
	s_andn2_saveexec_b64 s[40:41], s[36:37]
; %bb.2537:                             ;   in Loop: Header=BB2_2021 Depth=3
	v_or_b32_e32 v1, 0x7b, v11
; %bb.2538:                             ;   in Loop: Header=BB2_2021 Depth=3
	s_or_b64 exec, exec, s[40:41]
                                        ; implicit-def: $vgpr8
.LBB2_2539:                             ;   in Loop: Header=BB2_2021 Depth=3
	s_andn2_saveexec_b64 s[40:41], s[42:43]
	s_cbranch_execz .LBB2_2545
; %bb.2540:                             ;   in Loop: Header=BB2_2021 Depth=3
	v_cmp_ne_u64_e32 vcc, 0, v[2:3]
                                        ; implicit-def: $vgpr1
	s_and_saveexec_b64 s[42:43], vcc
	s_xor_b64 s[42:43], exec, s[42:43]
; %bb.2541:                             ;   in Loop: Header=BB2_2021 Depth=3
	v_or_b32_sdwa v1, v8, s81 dst_sel:DWORD dst_unused:UNUSED_PAD src0_sel:BYTE_3 src1_sel:DWORD
                                        ; implicit-def: $vgpr8
; %bb.2542:                             ;   in Loop: Header=BB2_2021 Depth=3
	s_andn2_saveexec_b64 s[42:43], s[42:43]
; %bb.2543:                             ;   in Loop: Header=BB2_2021 Depth=3
	v_cmp_lt_i32_e32 vcc, -1, v8
	v_cndmask_b32_e32 v1, v0, v49, vcc
; %bb.2544:                             ;   in Loop: Header=BB2_2021 Depth=3
	s_or_b64 exec, exec, s[42:43]
.LBB2_2545:                             ;   in Loop: Header=BB2_2021 Depth=3
	s_or_b64 exec, exec, s[40:41]
	v_lshl_or_b32 v2, v24, 8, v19
	v_lshlrev_b32_e32 v8, 16, v18
	v_lshlrev_b32_e32 v9, 24, v25
	v_or3_b32 v9, v2, v8, v9
	v_lshl_or_b32 v2, v58, 8, v57
	v_lshlrev_b32_e32 v8, 16, v59
	v_lshlrev_b32_e32 v10, 24, v60
	v_or3_b32 v8, v2, v8, v10
	;; [unrolled: 4-line block ×3, first 2 shown]
	v_lshlrev_b32_e32 v1, 24, v1
	v_lshlrev_b32_e32 v2, 16, v12
	v_lshl_or_b32 v11, v17, 8, v16
	v_or3_b32 v11, v11, v2, v1
	s_mov_b64 s[38:39], 0
	s_mov_b64 s[36:37], -1
.LBB2_2546:                             ;   Parent Loop BB2_47 Depth=1
                                        ;     Parent Loop BB2_1943 Depth=2
                                        ;       Parent Loop BB2_2021 Depth=3
                                        ; =>      This Inner Loop Header: Depth=4
	s_cmp_eq_u32 s38, 1
	s_cselect_b64 s[40:41], -1, 0
	v_cndmask_b32_e64 v2, v31, v37, s[40:41]
	v_cndmask_b32_e64 v1, v30, v36, s[40:41]
	global_store_dwordx4 v[1:2], v[8:11], off glc slc
	v_add_co_u32_e32 v1, vcc, 0x400, v1
	s_cmp_eq_u32 s38, 0
	v_addc_co_u32_e32 v2, vcc, 0, v2, vcc
	s_cselect_b64 vcc, -1, 0
	s_and_b64 s[42:43], exec, s[36:37]
	s_mov_b64 s[38:39], 1
	v_cndmask_b32_e64 v36, v36, v1, s[40:41]
	s_mov_b64 s[36:37], 0
	v_cndmask_b32_e64 v37, v37, v2, s[40:41]
	v_cndmask_b32_e32 v31, v31, v2, vcc
	v_cndmask_b32_e32 v30, v30, v1, vcc
	s_mov_b64 vcc, s[42:43]
	s_cbranch_vccnz .LBB2_2546
; %bb.2547:                             ;   in Loop: Header=BB2_2021 Depth=3
	buffer_load_dword v1, off, s[0:3], s33 offset:60 ; 4-byte Folded Reload
	buffer_load_dword v2, off, s[0:3], s33 offset:64 ; 4-byte Folded Reload
	v_sub_u32_e32 v4, v4, v34
	v_sub_u32_e32 v20, v20, v35
	s_waitcnt vmcnt(1)
	v_add_co_u32_e32 v46, vcc, v46, v1
	s_waitcnt vmcnt(0)
	v_addc_co_u32_e32 v47, vcc, v47, v2, vcc
	v_add_co_u32_e32 v55, vcc, v55, v1
	v_addc_co_u32_e32 v56, vcc, v56, v2, vcc
	buffer_load_dword v2, off, s[0:3], s33 offset:56 ; 4-byte Folded Reload
	v_add_u32_e32 v1, 0xfffffc00, v34
	v_add_co_u32_e32 v30, vcc, v30, v1
	s_waitcnt vmcnt(0)
	v_addc_co_u32_e32 v31, vcc, v31, v2, vcc
	v_add_co_u32_e32 v36, vcc, v36, v1
	v_addc_co_u32_e32 v37, vcc, v37, v2, vcc
	v_cmp_gt_i32_e32 vcc, 16, v4
	s_or_b64 s[34:35], vcc, s[34:35]
	s_andn2_b64 exec, exec, s[34:35]
	s_cbranch_execnz .LBB2_2021
	s_branch .LBB2_2568
.LBB2_2548:                             ;   in Loop: Header=BB2_2021 Depth=3
	s_or_saveexec_b64 s[42:43], s[42:43]
	v_bfrev_b32_e32 v2, 1
	s_xor_b64 exec, exec, s[42:43]
	s_cbranch_execz .LBB2_2033
.LBB2_2549:                             ;   in Loop: Header=BB2_2021 Depth=3
	v_cmp_ne_u16_sdwa vcc, v8, v3 src0_sel:BYTE_0 src1_sel:DWORD
	s_andn2_b64 s[40:41], s[40:41], exec
	s_and_b64 vcc, vcc, exec
	v_mov_b32_e32 v2, 0
	s_or_b64 s[40:41], s[40:41], vcc
	s_or_b64 exec, exec, s[42:43]
	s_and_saveexec_b64 s[36:37], s[40:41]
	s_cbranch_execnz .LBB2_2034
	s_branch .LBB2_2035
.LBB2_2550:                             ;   in Loop: Header=BB2_2021 Depth=3
	s_or_saveexec_b64 s[42:43], s[42:43]
	v_bfrev_b32_e32 v16, 1
	s_xor_b64 exec, exec, s[42:43]
	s_cbranch_execz .LBB2_2067
.LBB2_2551:                             ;   in Loop: Header=BB2_2021 Depth=3
	v_cmp_ne_u16_e32 vcc, 0, v2
	s_andn2_b64 s[40:41], s[40:41], exec
	s_and_b64 vcc, vcc, exec
	v_mov_b32_e32 v16, 0
	s_or_b64 s[40:41], s[40:41], vcc
	s_or_b64 exec, exec, s[42:43]
	s_and_saveexec_b64 s[36:37], s[40:41]
	s_cbranch_execnz .LBB2_2068
	s_branch .LBB2_2069
.LBB2_2552:                             ;   in Loop: Header=BB2_2021 Depth=3
	s_or_saveexec_b64 s[42:43], s[42:43]
	v_bfrev_b32_e32 v16, 1
	s_xor_b64 exec, exec, s[42:43]
	s_cbranch_execz .LBB2_2101
.LBB2_2553:                             ;   in Loop: Header=BB2_2021 Depth=3
	v_cmp_ne_u16_sdwa vcc, v2, v3 src0_sel:BYTE_0 src1_sel:DWORD
	s_andn2_b64 s[40:41], s[40:41], exec
	s_and_b64 vcc, vcc, exec
	v_mov_b32_e32 v16, 0
	s_or_b64 s[40:41], s[40:41], vcc
	s_or_b64 exec, exec, s[42:43]
	s_and_saveexec_b64 s[36:37], s[40:41]
	s_cbranch_execnz .LBB2_2102
	s_branch .LBB2_2103
.LBB2_2554:                             ;   in Loop: Header=BB2_2021 Depth=3
	s_or_saveexec_b64 s[42:43], s[42:43]
	v_bfrev_b32_e32 v17, 1
	s_xor_b64 exec, exec, s[42:43]
	s_cbranch_execz .LBB2_2199
.LBB2_2555:                             ;   in Loop: Header=BB2_2021 Depth=3
	v_cmp_ne_u16_e32 vcc, 0, v2
	s_andn2_b64 s[40:41], s[40:41], exec
	s_and_b64 vcc, vcc, exec
	v_mov_b32_e32 v17, 0
	s_or_b64 s[40:41], s[40:41], vcc
	s_or_b64 exec, exec, s[42:43]
	s_and_saveexec_b64 s[36:37], s[40:41]
	s_cbranch_execnz .LBB2_2200
	s_branch .LBB2_2201
.LBB2_2556:                             ;   in Loop: Header=BB2_2021 Depth=3
	s_or_saveexec_b64 s[42:43], s[42:43]
	v_bfrev_b32_e32 v16, 1
	s_xor_b64 exec, exec, s[42:43]
	s_cbranch_execz .LBB2_2233
.LBB2_2557:                             ;   in Loop: Header=BB2_2021 Depth=3
	v_cmp_ne_u16_sdwa vcc, v2, v3 src0_sel:BYTE_0 src1_sel:DWORD
	s_andn2_b64 s[40:41], s[40:41], exec
	s_and_b64 vcc, vcc, exec
	v_mov_b32_e32 v16, 0
	s_or_b64 s[40:41], s[40:41], vcc
	s_or_b64 exec, exec, s[42:43]
	s_and_saveexec_b64 s[36:37], s[40:41]
	s_cbranch_execnz .LBB2_2234
	s_branch .LBB2_2235
.LBB2_2558:                             ;   in Loop: Header=BB2_2021 Depth=3
	s_or_saveexec_b64 s[42:43], s[42:43]
	v_bfrev_b32_e32 v2, 1
	s_xor_b64 exec, exec, s[42:43]
	s_cbranch_execz .LBB2_2295
.LBB2_2559:                             ;   in Loop: Header=BB2_2021 Depth=3
	v_cmp_ne_u16_sdwa vcc, v10, v3 src0_sel:BYTE_0 src1_sel:DWORD
	s_andn2_b64 s[40:41], s[40:41], exec
	s_and_b64 vcc, vcc, exec
	v_mov_b32_e32 v2, 0
	s_or_b64 s[40:41], s[40:41], vcc
	s_or_b64 exec, exec, s[42:43]
	s_and_saveexec_b64 s[36:37], s[40:41]
	s_cbranch_execnz .LBB2_2296
	s_branch .LBB2_2297
.LBB2_2560:                             ;   in Loop: Header=BB2_2021 Depth=3
	s_or_saveexec_b64 s[42:43], s[42:43]
	v_bfrev_b32_e32 v8, 1
	s_xor_b64 exec, exec, s[42:43]
	s_cbranch_execz .LBB2_2329
.LBB2_2561:                             ;   in Loop: Header=BB2_2021 Depth=3
	v_cmp_ne_u16_e32 vcc, 0, v2
	s_andn2_b64 s[40:41], s[40:41], exec
	s_and_b64 vcc, vcc, exec
	v_mov_b32_e32 v8, 0
	s_or_b64 s[40:41], s[40:41], vcc
	s_or_b64 exec, exec, s[42:43]
	s_and_saveexec_b64 s[36:37], s[40:41]
	s_cbranch_execnz .LBB2_2330
	s_branch .LBB2_2331
.LBB2_2562:                             ;   in Loop: Header=BB2_2021 Depth=3
	s_or_saveexec_b64 s[42:43], s[42:43]
	v_bfrev_b32_e32 v8, 1
	s_xor_b64 exec, exec, s[42:43]
	s_cbranch_execz .LBB2_2363
.LBB2_2563:                             ;   in Loop: Header=BB2_2021 Depth=3
	v_cmp_ne_u16_sdwa vcc, v2, v3 src0_sel:BYTE_0 src1_sel:DWORD
	s_andn2_b64 s[40:41], s[40:41], exec
	s_and_b64 vcc, vcc, exec
	v_mov_b32_e32 v8, 0
	s_or_b64 s[40:41], s[40:41], vcc
	s_or_b64 exec, exec, s[42:43]
	s_and_saveexec_b64 s[36:37], s[40:41]
	s_cbranch_execnz .LBB2_2364
	s_branch .LBB2_2365
.LBB2_2564:                             ;   in Loop: Header=BB2_2021 Depth=3
	s_or_saveexec_b64 s[42:43], s[42:43]
	v_bfrev_b32_e32 v9, 1
	s_xor_b64 exec, exec, s[42:43]
	s_cbranch_execz .LBB2_2461
.LBB2_2565:                             ;   in Loop: Header=BB2_2021 Depth=3
	v_cmp_ne_u16_e32 vcc, 0, v2
	s_andn2_b64 s[40:41], s[40:41], exec
	s_and_b64 vcc, vcc, exec
	v_mov_b32_e32 v9, 0
	s_or_b64 s[40:41], s[40:41], vcc
	s_or_b64 exec, exec, s[42:43]
	s_and_saveexec_b64 s[36:37], s[40:41]
	s_cbranch_execnz .LBB2_2462
	s_branch .LBB2_2463
.LBB2_2566:                             ;   in Loop: Header=BB2_2021 Depth=3
	s_or_saveexec_b64 s[42:43], s[42:43]
	v_bfrev_b32_e32 v8, 1
	s_xor_b64 exec, exec, s[42:43]
	s_cbranch_execz .LBB2_2495
.LBB2_2567:                             ;   in Loop: Header=BB2_2021 Depth=3
	v_cmp_ne_u16_sdwa vcc, v2, v3 src0_sel:BYTE_0 src1_sel:DWORD
	s_andn2_b64 s[40:41], s[40:41], exec
	s_and_b64 vcc, vcc, exec
	v_mov_b32_e32 v8, 0
	s_or_b64 s[40:41], s[40:41], vcc
	s_or_b64 exec, exec, s[42:43]
	s_and_saveexec_b64 s[36:37], s[40:41]
	s_cbranch_execnz .LBB2_2496
	s_branch .LBB2_2497
.LBB2_2568:                             ;   in Loop: Header=BB2_1943 Depth=2
	s_or_b64 exec, exec, s[34:35]
	buffer_load_dword v47, off, s[0:3], s33 offset:168 ; 4-byte Folded Reload
	buffer_load_dword v56, off, s[0:3], s33 offset:172 ; 4-byte Folded Reload
	;; [unrolled: 1-line block ×6, first 2 shown]
.LBB2_2569:                             ;   in Loop: Header=BB2_1943 Depth=2
	s_or_b64 exec, exec, s[30:31]
	v_and_b32_e32 v2, 15, v44
	v_cndmask_b32_e64 v4, v21, v2, s[28:29]
	v_mov_b32_e32 v24, 0
	v_cmp_ne_u32_e32 vcc, 0, v4
	s_mov_b64 s[40:41], 0
                                        ; implicit-def: $vgpr25
                                        ; implicit-def: $vgpr40
                                        ; implicit-def: $vgpr1
	s_and_saveexec_b64 s[30:31], vcc
	s_cbranch_execz .LBB2_3123
; %bb.2570:                             ;   in Loop: Header=BB2_1943 Depth=2
	v_sub_u32_e32 v1, v21, v2
	buffer_load_dword v2, off, s[0:3], s33 offset:184 ; 4-byte Folded Reload
	v_cndmask_b32_e64 v1, 0, v1, s[28:29]
	v_cmp_lt_i32_e32 vcc, 0, v20
	v_add_u32_e32 v9, v1, v5
	v_cndmask_b32_e32 v1, 0, v35, vcc
	v_sub_u32_e32 v1, v1, v20
	s_waitcnt vmcnt(0)
	v_lshl_add_u32 v1, v1, 6, v2
	v_ashrrev_i32_e32 v2, 31, v1
	v_lshrrev_b32_e32 v2, 26, v2
	v_add_u32_e32 v2, v1, v2
	v_ashrrev_i32_e32 v5, 6, v2
	v_and_b32_e32 v2, 0xffffffc0, v2
	v_sub_u32_e32 v10, v1, v2
	v_ashrrev_i32_e32 v2, 31, v4
	v_lshrrev_b32_e32 v2, 22, v2
	v_add_u32_e32 v2, v4, v2
	v_and_b32_e32 v21, 0xfffffc00, v2
	v_lshlrev_b32_e32 v1, 4, v10
	v_sub_u32_e32 v31, v4, v21
	v_lshl_add_u32 v1, v5, 10, v1
	v_ashrrev_i32_e32 v8, 10, v2
	v_cmp_lt_i32_e64 s[28:29], 15, v31
	v_sub_u32_e32 v36, v4, v1
	v_addc_co_u32_e64 v2, vcc, 0, v8, s[28:29]
	v_sub_u32_e32 v30, v2, v5
	v_cmp_lt_i32_e32 vcc, 15, v36
	s_and_saveexec_b64 s[34:35], vcc
	s_cbranch_execz .LBB2_3120
; %bb.2571:                             ;   in Loop: Header=BB2_1943 Depth=2
	buffer_store_dword v10, off, s[0:3], s33 offset:276 ; 4-byte Folded Spill
	buffer_store_dword v9, off, s[0:3], s33 offset:248 ; 4-byte Folded Spill
	v_add_u32_e32 v5, v1, v9
	buffer_load_dword v1, off, s[0:3], s33 offset:188 ; 4-byte Folded Reload
	buffer_load_dword v2, off, s[0:3], s33 offset:192 ; 4-byte Folded Reload
	v_ashrrev_i32_e32 v10, 31, v5
	s_mov_b64 s[36:37], 0
	s_waitcnt vmcnt(1)
	v_add_co_u32_e32 v37, vcc, v5, v1
	s_waitcnt vmcnt(0)
	v_addc_co_u32_e32 v57, vcc, v10, v2, vcc
	buffer_load_dword v1, off, s[0:3], s33 offset:220 ; 4-byte Folded Reload
	buffer_load_dword v2, off, s[0:3], s33 offset:224 ; 4-byte Folded Reload
	s_trap 2
	s_waitcnt vmcnt(1)
	v_add_co_u32_e32 v58, vcc, v5, v1
	s_waitcnt vmcnt(0)
	v_addc_co_u32_e32 v59, vcc, v10, v2, vcc
	ds_read_b64 v[1:2], v0
	buffer_load_dword v8, off, s[0:3], s33 offset:176 ; 4-byte Folded Reload
	buffer_load_dword v9, off, s[0:3], s33 offset:180 ; 4-byte Folded Reload
	s_waitcnt vmcnt(1)
	v_add_co_u32_e32 v46, vcc, v5, v8
	s_waitcnt vmcnt(0)
	v_addc_co_u32_e32 v47, vcc, v10, v9, vcc
	s_waitcnt lgkmcnt(0)
	v_add_co_u32_e32 v55, vcc, v1, v5
	v_addc_co_u32_e32 v56, vcc, v2, v10, vcc
.LBB2_2572:                             ;   Parent Loop BB2_47 Depth=1
                                        ;     Parent Loop BB2_1943 Depth=2
                                        ; =>    This Loop Header: Depth=3
                                        ;         Child Loop BB2_3097 Depth 4
	global_load_dwordx4 v[12:15], v[46:47], off glc slc
	global_load_dwordx4 v[8:11], v[55:56], off glc slc
	v_mov_b32_e32 v1, 0
	s_waitcnt vmcnt(1)
	v_cmp_ne_u16_sdwa s[42:43], v12, v3 src0_sel:BYTE_0 src1_sel:DWORD
	s_and_saveexec_b64 s[40:41], s[42:43]
	s_cbranch_execz .LBB2_2580
; %bb.2573:                             ;   in Loop: Header=BB2_2572 Depth=3
	v_cmp_ne_u16_sdwa vcc, sext(v12), s70 src0_sel:BYTE_0 src1_sel:DWORD
	v_bfrev_b32_e32 v1, 1
	s_and_saveexec_b64 s[42:43], vcc
	s_cbranch_execz .LBB2_2579
; %bb.2574:                             ;   in Loop: Header=BB2_2572 Depth=3
	v_and_b32_e32 v1, 0x7c, v12
	v_and_b32_e32 v2, 3, v12
	v_cmp_ne_u32_e32 vcc, s71, v1
                                        ; implicit-def: $vgpr1
	s_and_saveexec_b64 s[38:39], vcc
	s_xor_b64 s[38:39], exec, s[38:39]
	s_cbranch_execz .LBB2_2576
; %bb.2575:                             ;   in Loop: Header=BB2_2572 Depth=3
	v_ffbh_u32_e32 v5, v2
	v_min_u32_e32 v5, 32, v5
	v_bfe_u32 v1, v12, 2, 5
	v_subrev_u32_e32 v16, 29, v5
	v_lshlrev_b64 v[16:17], v16, v[12:13]
	v_sub_u32_e32 v5, 30, v5
	v_cmp_eq_u32_e32 vcc, 0, v1
	v_cndmask_b32_e32 v1, v1, v5, vcc
	v_lshlrev_b32_e32 v5, 24, v12
	v_and_b32_e32 v16, 3, v16
	v_and_b32_e32 v5, 0x80000000, v5
	v_cndmask_b32_e32 v2, v2, v16, vcc
	v_lshl_add_u32 v1, v1, 23, v5
	v_lshl_or_b32 v1, v2, 21, v1
	v_add_u32_e32 v1, 0x38000000, v1
                                        ; implicit-def: $vgpr2
.LBB2_2576:                             ;   in Loop: Header=BB2_2572 Depth=3
	s_andn2_saveexec_b64 s[38:39], s[38:39]
; %bb.2577:                             ;   in Loop: Header=BB2_2572 Depth=3
	v_cmp_gt_i16_sdwa vcc, sext(v12), v26 src0_sel:BYTE_0 src1_sel:DWORD
	v_cndmask_b32_e32 v1, v27, v6, vcc
	v_cmp_eq_u32_e32 vcc, 0, v2
	v_cndmask_b32_e32 v1, v7, v1, vcc
; %bb.2578:                             ;   in Loop: Header=BB2_2572 Depth=3
	s_or_b64 exec, exec, s[38:39]
.LBB2_2579:                             ;   in Loop: Header=BB2_2572 Depth=3
	s_or_b64 exec, exec, s[42:43]
.LBB2_2580:                             ;   in Loop: Header=BB2_2572 Depth=3
	s_or_b64 exec, exec, s[40:41]
	s_waitcnt vmcnt(0)
	v_cmp_gt_i16_sdwa s[42:43], v8, s81 src0_sel:BYTE_0 src1_sel:DWORD
	s_mov_b64 s[40:41], 0
	s_and_saveexec_b64 vcc, s[42:43]
	s_xor_b64 s[42:43], exec, vcc
	s_cbranch_execz .LBB2_3099
; %bb.2581:                             ;   in Loop: Header=BB2_2572 Depth=3
	v_cmp_eq_u16_sdwa s[38:39], v8, s82 src0_sel:BYTE_0 src1_sel:DWORD
	s_mov_b64 s[40:41], -1
	s_and_saveexec_b64 vcc, s[38:39]
; %bb.2582:                             ;   in Loop: Header=BB2_2572 Depth=3
	s_xor_b64 s[40:41], exec, -1
; %bb.2583:                             ;   in Loop: Header=BB2_2572 Depth=3
	s_or_b64 exec, exec, vcc
	s_and_b64 s[40:41], s[40:41], exec
	s_or_saveexec_b64 s[42:43], s[42:43]
	v_bfrev_b32_e32 v2, 1
	s_xor_b64 exec, exec, s[42:43]
	s_cbranch_execnz .LBB2_3100
.LBB2_2584:                             ;   in Loop: Header=BB2_2572 Depth=3
	s_or_b64 exec, exec, s[42:43]
	s_and_saveexec_b64 s[38:39], s[40:41]
	s_cbranch_execz .LBB2_2586
.LBB2_2585:                             ;   in Loop: Header=BB2_2572 Depth=3
	v_and_b32_e32 v2, 3, v8
	v_and_b32_e32 v16, 0x7c, v8
	v_cmp_eq_u32_e32 vcc, s71, v16
	v_ffbh_u32_e32 v16, v2
	v_min_u32_e32 v18, 32, v16
	v_subrev_u32_e32 v16, 29, v18
	v_bfe_u32 v5, v8, 2, 5
	v_lshlrev_b64 v[16:17], v16, v[8:9]
	v_cmp_eq_u32_e64 s[40:41], 0, v5
	v_sub_u32_e32 v17, 30, v18
	v_cndmask_b32_e64 v5, v5, v17, s[40:41]
	v_lshlrev_b32_e32 v17, 24, v8
	v_and_b32_e32 v16, 3, v16
	v_and_b32_e32 v17, 0x80000000, v17
	v_cndmask_b32_e64 v16, v2, v16, s[40:41]
	v_lshl_add_u32 v5, v5, 23, v17
	v_cmp_gt_i16_sdwa s[42:43], sext(v8), v26 src0_sel:BYTE_0 src1_sel:DWORD
	v_lshl_or_b32 v5, v16, 21, v5
	v_cmp_eq_u32_e64 s[40:41], 0, v2
	v_cndmask_b32_e64 v2, v27, v6, s[42:43]
	v_add_u32_e32 v5, 0x38000000, v5
	v_cndmask_b32_e64 v2, v7, v2, s[40:41]
	v_cndmask_b32_e32 v2, v5, v2, vcc
.LBB2_2586:                             ;   in Loop: Header=BB2_2572 Depth=3
	s_or_b64 exec, exec, s[38:39]
	v_mul_f32_e32 v1, v1, v2
	v_and_b32_e32 v16, 0x7f800000, v1
	v_mov_b32_e32 v17, v3
	v_cmp_ne_u64_e32 vcc, s[62:63], v[16:17]
	v_and_b32_e32 v2, 0x7fffff, v1
                                        ; implicit-def: $vgpr60
	s_and_saveexec_b64 s[40:41], vcc
	s_xor_b64 s[42:43], exec, s[40:41]
	s_cbranch_execz .LBB2_2600
; %bb.2587:                             ;   in Loop: Header=BB2_2572 Depth=3
	v_and_b32_e32 v16, 0x7fffffff, v1
	v_mov_b32_e32 v17, v3
	v_cmp_gt_u64_e32 vcc, s[78:79], v[16:17]
	v_and_b32_sdwa v5, v1, s82 dst_sel:DWORD dst_unused:UNUSED_PAD src0_sel:BYTE_3 src1_sel:DWORD
                                        ; implicit-def: $vgpr60
	s_and_saveexec_b64 s[40:41], vcc
	s_xor_b64 s[38:39], exec, s[40:41]
	s_cbranch_execz .LBB2_2597
; %bb.2588:                             ;   in Loop: Header=BB2_2572 Depth=3
	v_mov_b32_e32 v60, 0
	v_cmp_ne_u32_e32 vcc, 0, v1
	s_and_saveexec_b64 s[48:49], vcc
	s_cbranch_execz .LBB2_2596
; %bb.2589:                             ;   in Loop: Header=BB2_2572 Depth=3
	v_bfe_u32 v1, v1, 23, 8
	v_cmp_gt_u32_e64 s[40:41], s44, v1
	v_sub_u32_e32 v16, 0x71, v1
	v_cmp_eq_u32_e32 vcc, 0, v1
	v_cndmask_b32_e64 v16, 0, v16, s[40:41]
	v_mov_b32_e32 v18, 0x70
	v_cndmask_b32_e32 v19, v16, v18, vcc
	v_or_b32_e32 v17, 0x800000, v2
	v_add_u32_e32 v16, 21, v19
	v_cndmask_b32_e32 v2, v17, v2, vcc
	v_lshlrev_b64 v[16:17], v16, -1
	v_add_u32_e32 v18, 20, v19
	v_lshlrev_b64 v[24:25], v18, 1
	v_bfi_b32 v17, v17, 0, 0
	v_bfi_b32 v16, v16, 0, v2
	v_cmp_eq_u64_e64 s[40:41], v[16:17], v[24:25]
	v_lshrrev_b64 v[16:17], v19, v[2:3]
	v_mov_b32_e32 v18, v17
	v_mov_b32_e32 v17, v16
	s_and_saveexec_b64 s[50:51], s[40:41]
; %bb.2590:                             ;   in Loop: Header=BB2_2572 Depth=3
	v_bfe_u32 v2, v16, 21, 1
	v_add_co_u32_e64 v2, s[40:41], v16, v2
	v_add_co_u32_e64 v17, s[40:41], -1, v2
; %bb.2591:                             ;   in Loop: Header=BB2_2572 Depth=3
	s_or_b64 exec, exec, s[50:51]
	v_add_u32_e32 v1, 0xffffff81, v1
	v_mov_b32_e32 v2, 0xffffff82
	v_cndmask_b32_e32 v1, v1, v2, vcc
	v_lshrrev_b32_e32 v2, 23, v16
	v_add3_u32 v19, v19, v1, v2
	v_add_u32_e32 v18, 14, v19
	v_and_b32_e32 v1, 0x1fffff, v17
	v_add_u32_e32 v2, v1, v16
	v_cmp_ne_u32_e32 vcc, 0, v18
                                        ; implicit-def: $vgpr16_vgpr17
                                        ; implicit-def: $vgpr1
	s_and_saveexec_b64 s[40:41], vcc
	s_xor_b64 s[40:41], exec, s[40:41]
; %bb.2592:                             ;   in Loop: Header=BB2_2572 Depth=3
	v_cmp_lt_u64_e32 vcc, s[88:89], v[2:3]
	v_add_u32_e32 v1, 15, v19
	v_cndmask_b32_e64 v16, 0, 1, vcc
	v_cndmask_b32_e32 v1, v18, v1, vcc
	v_lshrrev_b64 v[16:17], v16, v[2:3]
; %bb.2593:                             ;   in Loop: Header=BB2_2572 Depth=3
	s_andn2_saveexec_b64 s[40:41], s[40:41]
; %bb.2594:                             ;   in Loop: Header=BB2_2572 Depth=3
	v_mov_b32_e32 v17, v3
	v_bfe_u32 v1, v2, 23, 1
	v_mov_b32_e32 v16, v2
; %bb.2595:                             ;   in Loop: Header=BB2_2572 Depth=3
	s_or_b64 exec, exec, s[40:41]
	v_lshrrev_b64 v[16:17], 21, v[16:17]
	v_cmp_gt_i32_e32 vcc, 32, v1
	v_cndmask_b32_e32 v17, 0, v17, vcc
	v_cndmask_b32_e32 v16, 3, v16, vcc
	v_cmp_eq_u32_e32 vcc, 0, v1
	v_min_i32_e32 v1, 31, v1
	v_cmp_eq_u64_e64 s[40:41], 0, v[16:17]
	v_lshlrev_b32_e32 v1, 2, v1
	v_and_b32_e32 v1, 0xfc, v1
	v_and_or_b32 v1, v16, 3, v1
	s_and_b64 s[40:41], vcc, s[40:41]
	v_cndmask_b32_e64 v1, v1, 0, s[40:41]
	v_or_b32_e32 v60, v1, v5
.LBB2_2596:                             ;   in Loop: Header=BB2_2572 Depth=3
	s_or_b64 exec, exec, s[48:49]
                                        ; implicit-def: $vgpr5
.LBB2_2597:                             ;   in Loop: Header=BB2_2572 Depth=3
	s_andn2_saveexec_b64 s[40:41], s[38:39]
; %bb.2598:                             ;   in Loop: Header=BB2_2572 Depth=3
	v_or_b32_e32 v60, 0x7b, v5
; %bb.2599:                             ;   in Loop: Header=BB2_2572 Depth=3
	s_or_b64 exec, exec, s[40:41]
                                        ; implicit-def: $vgpr1
.LBB2_2600:                             ;   in Loop: Header=BB2_2572 Depth=3
	s_andn2_saveexec_b64 s[40:41], s[42:43]
	s_cbranch_execz .LBB2_2606
; %bb.2601:                             ;   in Loop: Header=BB2_2572 Depth=3
	v_cmp_ne_u64_e32 vcc, 0, v[2:3]
                                        ; implicit-def: $vgpr60
	s_and_saveexec_b64 s[42:43], vcc
	s_xor_b64 s[42:43], exec, s[42:43]
; %bb.2602:                             ;   in Loop: Header=BB2_2572 Depth=3
	v_or_b32_sdwa v60, v1, s81 dst_sel:DWORD dst_unused:UNUSED_PAD src0_sel:BYTE_3 src1_sel:DWORD
                                        ; implicit-def: $vgpr1
; %bb.2603:                             ;   in Loop: Header=BB2_2572 Depth=3
	s_andn2_saveexec_b64 s[42:43], s[42:43]
; %bb.2604:                             ;   in Loop: Header=BB2_2572 Depth=3
	v_cmp_lt_i32_e32 vcc, -1, v1
	v_cndmask_b32_e32 v60, v0, v49, vcc
; %bb.2605:                             ;   in Loop: Header=BB2_2572 Depth=3
	s_or_b64 exec, exec, s[42:43]
.LBB2_2606:                             ;   in Loop: Header=BB2_2572 Depth=3
	s_or_b64 exec, exec, s[40:41]
	v_lshrrev_b16_e32 v2, 8, v12
	v_cmp_ne_u16_e32 vcc, 0, v2
	v_mov_b32_e32 v1, 0
	s_and_saveexec_b64 s[40:41], vcc
	s_cbranch_execz .LBB2_2614
; %bb.2607:                             ;   in Loop: Header=BB2_2572 Depth=3
	v_cmp_ne_u16_e32 vcc, s82, v2
	v_bfrev_b32_e32 v1, 1
	s_and_saveexec_b64 s[42:43], vcc
	s_cbranch_execz .LBB2_2613
; %bb.2608:                             ;   in Loop: Header=BB2_2572 Depth=3
	v_and_b32_e32 v1, 0x7c, v2
	v_and_b32_e32 v5, 3, v2
	v_cmp_ne_u32_e32 vcc, s71, v1
                                        ; implicit-def: $vgpr1
	s_and_saveexec_b64 s[38:39], vcc
	s_xor_b64 s[38:39], exec, s[38:39]
	s_cbranch_execz .LBB2_2610
; %bb.2609:                             ;   in Loop: Header=BB2_2572 Depth=3
	v_ffbh_u32_e32 v1, v5
	v_min_u32_e32 v17, 32, v1
	v_subrev_u32_e32 v1, 29, v17
	v_bfe_u32 v16, v2, 2, 5
	v_lshlrev_b64 v[1:2], v1, v[2:3]
	v_cmp_eq_u32_e32 vcc, 0, v16
	v_and_b32_e32 v1, 3, v1
	v_sub_u32_e32 v2, 30, v17
	v_cndmask_b32_e32 v1, v5, v1, vcc
	v_lshlrev_b32_e32 v5, 16, v12
	v_cndmask_b32_e32 v2, v16, v2, vcc
	v_and_b32_e32 v5, 0x80000000, v5
	v_lshl_add_u32 v2, v2, 23, v5
	v_lshl_or_b32 v1, v1, 21, v2
	v_add_u32_e32 v1, 0x38000000, v1
                                        ; implicit-def: $vgpr5
.LBB2_2610:                             ;   in Loop: Header=BB2_2572 Depth=3
	s_andn2_saveexec_b64 s[38:39], s[38:39]
; %bb.2611:                             ;   in Loop: Header=BB2_2572 Depth=3
	v_cmp_lt_i16_e32 vcc, -1, v12
	v_cndmask_b32_e32 v1, v27, v6, vcc
	v_cmp_eq_u32_e32 vcc, 0, v5
	v_cndmask_b32_e32 v1, v7, v1, vcc
; %bb.2612:                             ;   in Loop: Header=BB2_2572 Depth=3
	s_or_b64 exec, exec, s[38:39]
.LBB2_2613:                             ;   in Loop: Header=BB2_2572 Depth=3
	s_or_b64 exec, exec, s[42:43]
.LBB2_2614:                             ;   in Loop: Header=BB2_2572 Depth=3
	s_or_b64 exec, exec, s[40:41]
	v_lshrrev_b16_e32 v2, 8, v8
	v_cmp_lt_i16_e32 vcc, s81, v2
	s_mov_b64 s[40:41], 0
	s_and_saveexec_b64 s[42:43], vcc
	s_xor_b64 s[42:43], exec, s[42:43]
	s_cbranch_execz .LBB2_3101
; %bb.2615:                             ;   in Loop: Header=BB2_2572 Depth=3
	v_cmp_eq_u16_e32 vcc, s82, v2
	s_mov_b64 s[40:41], -1
	s_and_saveexec_b64 s[38:39], vcc
; %bb.2616:                             ;   in Loop: Header=BB2_2572 Depth=3
	s_xor_b64 s[40:41], exec, -1
; %bb.2617:                             ;   in Loop: Header=BB2_2572 Depth=3
	s_or_b64 exec, exec, s[38:39]
	s_and_b64 s[40:41], s[40:41], exec
	s_or_saveexec_b64 s[42:43], s[42:43]
	v_bfrev_b32_e32 v5, 1
	s_xor_b64 exec, exec, s[42:43]
	s_cbranch_execnz .LBB2_3102
.LBB2_2618:                             ;   in Loop: Header=BB2_2572 Depth=3
	s_or_b64 exec, exec, s[42:43]
	s_and_saveexec_b64 s[38:39], s[40:41]
	s_cbranch_execz .LBB2_2620
.LBB2_2619:                             ;   in Loop: Header=BB2_2572 Depth=3
	v_and_b32_e32 v5, 3, v2
	v_and_b32_e32 v16, 0x7c, v2
	v_cmp_eq_u32_e32 vcc, s71, v16
	v_ffbh_u32_e32 v16, v5
	v_min_u32_e32 v19, 32, v16
	v_subrev_u32_e32 v16, 29, v19
	v_bfe_u32 v18, v2, 2, 5
	v_lshlrev_b64 v[16:17], v16, v[2:3]
	v_cmp_eq_u32_e64 s[40:41], 0, v18
	v_sub_u32_e32 v17, 30, v19
	v_lshlrev_b32_e32 v2, 24, v2
	v_and_b32_e32 v16, 3, v16
	v_cndmask_b32_e64 v17, v18, v17, s[40:41]
	v_and_b32_e32 v2, 0x80000000, v2
	v_cndmask_b32_e64 v16, v5, v16, s[40:41]
	v_lshl_add_u32 v2, v17, 23, v2
	v_cmp_lt_i16_e64 s[42:43], -1, v8
	v_lshl_or_b32 v2, v16, 21, v2
	v_cmp_eq_u32_e64 s[40:41], 0, v5
	v_cndmask_b32_e64 v5, v27, v6, s[42:43]
	v_add_u32_e32 v2, 0x38000000, v2
	v_cndmask_b32_e64 v5, v7, v5, s[40:41]
	v_cndmask_b32_e32 v5, v2, v5, vcc
.LBB2_2620:                             ;   in Loop: Header=BB2_2572 Depth=3
	s_or_b64 exec, exec, s[38:39]
	v_mul_f32_e32 v1, v1, v5
	v_and_b32_e32 v16, 0x7f800000, v1
	v_mov_b32_e32 v17, v3
	v_cmp_ne_u64_e32 vcc, s[62:63], v[16:17]
	v_and_b32_e32 v2, 0x7fffff, v1
                                        ; implicit-def: $vgpr61
	s_and_saveexec_b64 s[40:41], vcc
	s_xor_b64 s[42:43], exec, s[40:41]
	s_cbranch_execz .LBB2_2634
; %bb.2621:                             ;   in Loop: Header=BB2_2572 Depth=3
	v_and_b32_e32 v16, 0x7fffffff, v1
	v_mov_b32_e32 v17, v3
	v_cmp_gt_u64_e32 vcc, s[78:79], v[16:17]
	v_and_b32_sdwa v5, v1, s82 dst_sel:DWORD dst_unused:UNUSED_PAD src0_sel:BYTE_3 src1_sel:DWORD
                                        ; implicit-def: $vgpr61
	s_and_saveexec_b64 s[40:41], vcc
	s_xor_b64 s[38:39], exec, s[40:41]
	s_cbranch_execz .LBB2_2631
; %bb.2622:                             ;   in Loop: Header=BB2_2572 Depth=3
	v_mov_b32_e32 v61, 0
	v_cmp_ne_u32_e32 vcc, 0, v1
	s_and_saveexec_b64 s[48:49], vcc
	s_cbranch_execz .LBB2_2630
; %bb.2623:                             ;   in Loop: Header=BB2_2572 Depth=3
	v_bfe_u32 v1, v1, 23, 8
	v_cmp_gt_u32_e64 s[40:41], s44, v1
	v_sub_u32_e32 v16, 0x71, v1
	v_cmp_eq_u32_e32 vcc, 0, v1
	v_cndmask_b32_e64 v16, 0, v16, s[40:41]
	v_mov_b32_e32 v18, 0x70
	v_cndmask_b32_e32 v19, v16, v18, vcc
	v_or_b32_e32 v17, 0x800000, v2
	v_add_u32_e32 v16, 21, v19
	v_cndmask_b32_e32 v2, v17, v2, vcc
	v_lshlrev_b64 v[16:17], v16, -1
	v_add_u32_e32 v18, 20, v19
	v_lshlrev_b64 v[24:25], v18, 1
	v_bfi_b32 v17, v17, 0, 0
	v_bfi_b32 v16, v16, 0, v2
	v_cmp_eq_u64_e64 s[40:41], v[16:17], v[24:25]
	v_lshrrev_b64 v[16:17], v19, v[2:3]
	v_mov_b32_e32 v18, v17
	v_mov_b32_e32 v17, v16
	s_and_saveexec_b64 s[50:51], s[40:41]
; %bb.2624:                             ;   in Loop: Header=BB2_2572 Depth=3
	v_bfe_u32 v2, v16, 21, 1
	v_add_co_u32_e64 v2, s[40:41], v16, v2
	v_add_co_u32_e64 v17, s[40:41], -1, v2
; %bb.2625:                             ;   in Loop: Header=BB2_2572 Depth=3
	s_or_b64 exec, exec, s[50:51]
	v_add_u32_e32 v1, 0xffffff81, v1
	v_mov_b32_e32 v2, 0xffffff82
	v_cndmask_b32_e32 v1, v1, v2, vcc
	v_lshrrev_b32_e32 v2, 23, v16
	v_add3_u32 v19, v19, v1, v2
	v_add_u32_e32 v18, 14, v19
	v_and_b32_e32 v1, 0x1fffff, v17
	v_add_u32_e32 v2, v1, v16
	v_cmp_ne_u32_e32 vcc, 0, v18
                                        ; implicit-def: $vgpr16_vgpr17
                                        ; implicit-def: $vgpr1
	s_and_saveexec_b64 s[40:41], vcc
	s_xor_b64 s[40:41], exec, s[40:41]
; %bb.2626:                             ;   in Loop: Header=BB2_2572 Depth=3
	v_cmp_lt_u64_e32 vcc, s[88:89], v[2:3]
	v_add_u32_e32 v1, 15, v19
	v_cndmask_b32_e64 v16, 0, 1, vcc
	v_cndmask_b32_e32 v1, v18, v1, vcc
	v_lshrrev_b64 v[16:17], v16, v[2:3]
; %bb.2627:                             ;   in Loop: Header=BB2_2572 Depth=3
	s_andn2_saveexec_b64 s[40:41], s[40:41]
; %bb.2628:                             ;   in Loop: Header=BB2_2572 Depth=3
	v_mov_b32_e32 v17, v3
	v_bfe_u32 v1, v2, 23, 1
	v_mov_b32_e32 v16, v2
; %bb.2629:                             ;   in Loop: Header=BB2_2572 Depth=3
	s_or_b64 exec, exec, s[40:41]
	v_lshrrev_b64 v[16:17], 21, v[16:17]
	v_cmp_gt_i32_e32 vcc, 32, v1
	v_cndmask_b32_e32 v17, 0, v17, vcc
	v_cndmask_b32_e32 v16, 3, v16, vcc
	v_cmp_eq_u32_e32 vcc, 0, v1
	v_min_i32_e32 v1, 31, v1
	v_cmp_eq_u64_e64 s[40:41], 0, v[16:17]
	v_lshlrev_b32_e32 v1, 2, v1
	v_and_b32_e32 v1, 0xfc, v1
	v_and_or_b32 v1, v16, 3, v1
	s_and_b64 s[40:41], vcc, s[40:41]
	v_cndmask_b32_e64 v1, v1, 0, s[40:41]
	v_or_b32_e32 v61, v1, v5
.LBB2_2630:                             ;   in Loop: Header=BB2_2572 Depth=3
	s_or_b64 exec, exec, s[48:49]
                                        ; implicit-def: $vgpr5
.LBB2_2631:                             ;   in Loop: Header=BB2_2572 Depth=3
	s_andn2_saveexec_b64 s[40:41], s[38:39]
; %bb.2632:                             ;   in Loop: Header=BB2_2572 Depth=3
	v_or_b32_e32 v61, 0x7b, v5
; %bb.2633:                             ;   in Loop: Header=BB2_2572 Depth=3
	s_or_b64 exec, exec, s[40:41]
                                        ; implicit-def: $vgpr1
.LBB2_2634:                             ;   in Loop: Header=BB2_2572 Depth=3
	s_andn2_saveexec_b64 s[40:41], s[42:43]
	s_cbranch_execz .LBB2_2640
; %bb.2635:                             ;   in Loop: Header=BB2_2572 Depth=3
	v_cmp_ne_u64_e32 vcc, 0, v[2:3]
                                        ; implicit-def: $vgpr61
	s_and_saveexec_b64 s[42:43], vcc
	s_xor_b64 s[42:43], exec, s[42:43]
; %bb.2636:                             ;   in Loop: Header=BB2_2572 Depth=3
	v_or_b32_sdwa v61, v1, s81 dst_sel:DWORD dst_unused:UNUSED_PAD src0_sel:BYTE_3 src1_sel:DWORD
                                        ; implicit-def: $vgpr1
; %bb.2637:                             ;   in Loop: Header=BB2_2572 Depth=3
	s_andn2_saveexec_b64 s[42:43], s[42:43]
; %bb.2638:                             ;   in Loop: Header=BB2_2572 Depth=3
	v_cmp_lt_i32_e32 vcc, -1, v1
	v_cndmask_b32_e32 v61, v0, v49, vcc
; %bb.2639:                             ;   in Loop: Header=BB2_2572 Depth=3
	s_or_b64 exec, exec, s[42:43]
.LBB2_2640:                             ;   in Loop: Header=BB2_2572 Depth=3
	s_or_b64 exec, exec, s[40:41]
	v_lshrrev_b32_e32 v2, 16, v12
	v_cmp_ne_u16_sdwa s[42:43], v2, v3 src0_sel:BYTE_0 src1_sel:DWORD
	v_mov_b32_e32 v1, 0
	s_and_saveexec_b64 s[40:41], s[42:43]
	s_cbranch_execz .LBB2_2648
; %bb.2641:                             ;   in Loop: Header=BB2_2572 Depth=3
	v_cmp_ne_u16_sdwa vcc, v2, s82 src0_sel:BYTE_0 src1_sel:DWORD
	v_bfrev_b32_e32 v1, 1
	s_and_saveexec_b64 s[42:43], vcc
	s_cbranch_execz .LBB2_2647
; %bb.2642:                             ;   in Loop: Header=BB2_2572 Depth=3
	v_and_b32_e32 v1, 0x7c0000, v12
	v_bfe_u32 v5, v12, 16, 2
	v_cmp_ne_u32_e32 vcc, s45, v1
                                        ; implicit-def: $vgpr1
	s_and_saveexec_b64 s[38:39], vcc
	s_xor_b64 s[38:39], exec, s[38:39]
	s_cbranch_execz .LBB2_2644
; %bb.2643:                             ;   in Loop: Header=BB2_2572 Depth=3
	v_ffbh_u32_e32 v1, v5
	v_min_u32_e32 v17, 32, v1
	v_subrev_u32_e32 v1, 29, v17
	v_lshlrev_b64 v[1:2], v1, v[2:3]
	v_bfe_u32 v16, v12, 18, 5
	v_and_b32_e32 v1, 3, v1
	v_cmp_eq_u32_e32 vcc, 0, v16
	v_sub_u32_e32 v2, 30, v17
	v_cndmask_b32_e32 v1, v5, v1, vcc
	v_lshlrev_b32_e32 v5, 8, v12
	v_cndmask_b32_e32 v2, v16, v2, vcc
	v_and_b32_e32 v5, 0x80000000, v5
	v_lshl_add_u32 v2, v2, 23, v5
	v_lshl_or_b32 v1, v1, 21, v2
	v_add_u32_e32 v1, 0x38000000, v1
                                        ; implicit-def: $vgpr5
                                        ; implicit-def: $vgpr2
.LBB2_2644:                             ;   in Loop: Header=BB2_2572 Depth=3
	s_andn2_saveexec_b64 s[38:39], s[38:39]
; %bb.2645:                             ;   in Loop: Header=BB2_2572 Depth=3
	v_cmp_gt_i16_sdwa vcc, sext(v2), v26 src0_sel:BYTE_0 src1_sel:DWORD
	v_cndmask_b32_e32 v1, v27, v6, vcc
	v_cmp_eq_u32_e32 vcc, 0, v5
	v_cndmask_b32_e32 v1, v7, v1, vcc
; %bb.2646:                             ;   in Loop: Header=BB2_2572 Depth=3
	s_or_b64 exec, exec, s[38:39]
.LBB2_2647:                             ;   in Loop: Header=BB2_2572 Depth=3
	s_or_b64 exec, exec, s[42:43]
.LBB2_2648:                             ;   in Loop: Header=BB2_2572 Depth=3
	s_or_b64 exec, exec, s[40:41]
	v_lshrrev_b32_e32 v2, 16, v8
	v_cmp_gt_i16_sdwa s[42:43], v2, s81 src0_sel:BYTE_0 src1_sel:DWORD
	s_mov_b64 s[40:41], 0
	s_and_saveexec_b64 vcc, s[42:43]
	s_xor_b64 s[42:43], exec, vcc
	s_cbranch_execz .LBB2_3103
; %bb.2649:                             ;   in Loop: Header=BB2_2572 Depth=3
	v_cmp_eq_u16_sdwa s[38:39], v2, s82 src0_sel:BYTE_0 src1_sel:DWORD
	s_mov_b64 s[40:41], -1
	s_and_saveexec_b64 vcc, s[38:39]
; %bb.2650:                             ;   in Loop: Header=BB2_2572 Depth=3
	s_xor_b64 s[40:41], exec, -1
; %bb.2651:                             ;   in Loop: Header=BB2_2572 Depth=3
	s_or_b64 exec, exec, vcc
	s_and_b64 s[40:41], s[40:41], exec
	s_or_saveexec_b64 s[42:43], s[42:43]
	v_bfrev_b32_e32 v5, 1
	s_xor_b64 exec, exec, s[42:43]
	s_cbranch_execnz .LBB2_3104
.LBB2_2652:                             ;   in Loop: Header=BB2_2572 Depth=3
	s_or_b64 exec, exec, s[42:43]
	s_and_saveexec_b64 s[38:39], s[40:41]
	s_cbranch_execz .LBB2_2654
.LBB2_2653:                             ;   in Loop: Header=BB2_2572 Depth=3
	v_and_b32_e32 v5, 3, v2
	v_and_b32_e32 v16, 0x7c0000, v8
	v_cmp_eq_u32_e32 vcc, s45, v16
	v_ffbh_u32_e32 v16, v5
	v_min_u32_e32 v19, 32, v16
	v_subrev_u32_e32 v16, 29, v19
	v_bfe_u32 v18, v8, 18, 5
	v_lshlrev_b64 v[16:17], v16, v[2:3]
	v_cmp_eq_u32_e64 s[40:41], 0, v18
	v_sub_u32_e32 v17, 30, v19
	v_cndmask_b32_e64 v17, v18, v17, s[40:41]
	v_lshlrev_b32_e32 v18, 24, v2
	v_and_b32_e32 v16, 3, v16
	v_and_b32_e32 v18, 0x80000000, v18
	v_cndmask_b32_e64 v16, v5, v16, s[40:41]
	v_lshl_add_u32 v17, v17, 23, v18
	v_cmp_gt_i16_sdwa s[42:43], sext(v2), v26 src0_sel:BYTE_0 src1_sel:DWORD
	v_lshl_or_b32 v16, v16, 21, v17
	v_cmp_eq_u32_e64 s[40:41], 0, v5
	v_cndmask_b32_e64 v2, v27, v6, s[42:43]
	v_add_u32_e32 v16, 0x38000000, v16
	v_cndmask_b32_e64 v2, v7, v2, s[40:41]
	v_cndmask_b32_e32 v5, v16, v2, vcc
.LBB2_2654:                             ;   in Loop: Header=BB2_2572 Depth=3
	s_or_b64 exec, exec, s[38:39]
	v_mul_f32_e32 v1, v1, v5
	v_and_b32_e32 v16, 0x7f800000, v1
	v_mov_b32_e32 v17, v3
	v_cmp_ne_u64_e32 vcc, s[62:63], v[16:17]
	v_and_b32_e32 v2, 0x7fffff, v1
                                        ; implicit-def: $vgpr5
	s_and_saveexec_b64 s[40:41], vcc
	s_xor_b64 s[42:43], exec, s[40:41]
	s_cbranch_execz .LBB2_2668
; %bb.2655:                             ;   in Loop: Header=BB2_2572 Depth=3
	v_and_b32_e32 v16, 0x7fffffff, v1
	v_mov_b32_e32 v17, v3
	v_cmp_gt_u64_e32 vcc, s[78:79], v[16:17]
	v_and_b32_sdwa v19, v1, s82 dst_sel:DWORD dst_unused:UNUSED_PAD src0_sel:BYTE_3 src1_sel:DWORD
                                        ; implicit-def: $vgpr5
	s_and_saveexec_b64 s[40:41], vcc
	s_xor_b64 s[38:39], exec, s[40:41]
	s_cbranch_execz .LBB2_2665
; %bb.2656:                             ;   in Loop: Header=BB2_2572 Depth=3
	v_mov_b32_e32 v5, 0
	v_cmp_ne_u32_e32 vcc, 0, v1
	s_and_saveexec_b64 s[48:49], vcc
	s_cbranch_execz .LBB2_2664
; %bb.2657:                             ;   in Loop: Header=BB2_2572 Depth=3
	v_bfe_u32 v1, v1, 23, 8
	v_cmp_gt_u32_e64 s[40:41], s44, v1
	v_sub_u32_e32 v5, 0x71, v1
	v_cmp_eq_u32_e32 vcc, 0, v1
	v_cndmask_b32_e64 v5, 0, v5, s[40:41]
	v_mov_b32_e32 v17, 0x70
	v_or_b32_e32 v16, 0x800000, v2
	v_cndmask_b32_e32 v5, v5, v17, vcc
	v_cndmask_b32_e32 v2, v16, v2, vcc
	v_add_u32_e32 v16, 21, v5
	v_lshlrev_b64 v[16:17], v16, -1
	v_add_u32_e32 v18, 20, v5
	v_lshlrev_b64 v[24:25], v18, 1
	v_bfi_b32 v17, v17, 0, 0
	v_bfi_b32 v16, v16, 0, v2
	v_cmp_eq_u64_e64 s[40:41], v[16:17], v[24:25]
	v_lshrrev_b64 v[16:17], v5, v[2:3]
	v_mov_b32_e32 v18, v17
	v_mov_b32_e32 v17, v16
	s_and_saveexec_b64 s[50:51], s[40:41]
; %bb.2658:                             ;   in Loop: Header=BB2_2572 Depth=3
	v_bfe_u32 v2, v16, 21, 1
	v_add_co_u32_e64 v2, s[40:41], v16, v2
	v_add_co_u32_e64 v17, s[40:41], -1, v2
; %bb.2659:                             ;   in Loop: Header=BB2_2572 Depth=3
	s_or_b64 exec, exec, s[50:51]
	v_add_u32_e32 v1, 0xffffff81, v1
	v_mov_b32_e32 v2, 0xffffff82
	v_cndmask_b32_e32 v1, v1, v2, vcc
	v_lshrrev_b32_e32 v2, 23, v16
	v_add3_u32 v18, v5, v1, v2
	v_add_u32_e32 v5, 14, v18
	v_and_b32_e32 v1, 0x1fffff, v17
	v_add_u32_e32 v2, v1, v16
	v_cmp_ne_u32_e32 vcc, 0, v5
                                        ; implicit-def: $vgpr16_vgpr17
                                        ; implicit-def: $vgpr1
	s_and_saveexec_b64 s[40:41], vcc
	s_xor_b64 s[40:41], exec, s[40:41]
; %bb.2660:                             ;   in Loop: Header=BB2_2572 Depth=3
	v_cmp_lt_u64_e32 vcc, s[88:89], v[2:3]
	v_add_u32_e32 v1, 15, v18
	v_cndmask_b32_e32 v1, v5, v1, vcc
	v_cndmask_b32_e64 v5, 0, 1, vcc
	v_lshrrev_b64 v[16:17], v5, v[2:3]
; %bb.2661:                             ;   in Loop: Header=BB2_2572 Depth=3
	s_andn2_saveexec_b64 s[40:41], s[40:41]
; %bb.2662:                             ;   in Loop: Header=BB2_2572 Depth=3
	v_mov_b32_e32 v17, v3
	v_bfe_u32 v1, v2, 23, 1
	v_mov_b32_e32 v16, v2
; %bb.2663:                             ;   in Loop: Header=BB2_2572 Depth=3
	s_or_b64 exec, exec, s[40:41]
	v_lshrrev_b64 v[16:17], 21, v[16:17]
	v_cmp_gt_i32_e32 vcc, 32, v1
	v_cndmask_b32_e32 v17, 0, v17, vcc
	v_cndmask_b32_e32 v16, 3, v16, vcc
	v_cmp_eq_u32_e32 vcc, 0, v1
	v_min_i32_e32 v1, 31, v1
	v_cmp_eq_u64_e64 s[40:41], 0, v[16:17]
	v_lshlrev_b32_e32 v1, 2, v1
	v_and_b32_e32 v1, 0xfc, v1
	v_and_or_b32 v1, v16, 3, v1
	s_and_b64 s[40:41], vcc, s[40:41]
	v_cndmask_b32_e64 v1, v1, 0, s[40:41]
	v_or_b32_e32 v5, v1, v19
.LBB2_2664:                             ;   in Loop: Header=BB2_2572 Depth=3
	s_or_b64 exec, exec, s[48:49]
                                        ; implicit-def: $vgpr19
.LBB2_2665:                             ;   in Loop: Header=BB2_2572 Depth=3
	s_andn2_saveexec_b64 s[40:41], s[38:39]
; %bb.2666:                             ;   in Loop: Header=BB2_2572 Depth=3
	v_or_b32_e32 v5, 0x7b, v19
; %bb.2667:                             ;   in Loop: Header=BB2_2572 Depth=3
	s_or_b64 exec, exec, s[40:41]
                                        ; implicit-def: $vgpr1
.LBB2_2668:                             ;   in Loop: Header=BB2_2572 Depth=3
	s_andn2_saveexec_b64 s[40:41], s[42:43]
	s_cbranch_execz .LBB2_2674
; %bb.2669:                             ;   in Loop: Header=BB2_2572 Depth=3
	v_cmp_ne_u64_e32 vcc, 0, v[2:3]
                                        ; implicit-def: $vgpr5
	s_and_saveexec_b64 s[42:43], vcc
	s_xor_b64 s[42:43], exec, s[42:43]
; %bb.2670:                             ;   in Loop: Header=BB2_2572 Depth=3
	v_or_b32_sdwa v5, v1, s81 dst_sel:DWORD dst_unused:UNUSED_PAD src0_sel:BYTE_3 src1_sel:DWORD
                                        ; implicit-def: $vgpr1
; %bb.2671:                             ;   in Loop: Header=BB2_2572 Depth=3
	s_andn2_saveexec_b64 s[42:43], s[42:43]
; %bb.2672:                             ;   in Loop: Header=BB2_2572 Depth=3
	v_cmp_lt_i32_e32 vcc, -1, v1
	v_cndmask_b32_e32 v5, v0, v49, vcc
; %bb.2673:                             ;   in Loop: Header=BB2_2572 Depth=3
	s_or_b64 exec, exec, s[42:43]
.LBB2_2674:                             ;   in Loop: Header=BB2_2572 Depth=3
	s_or_b64 exec, exec, s[40:41]
	v_cmp_lt_u32_e32 vcc, s57, v12
	v_mov_b32_e32 v1, 0
	s_and_saveexec_b64 s[40:41], vcc
	s_cbranch_execz .LBB2_2682
; %bb.2675:                             ;   in Loop: Header=BB2_2572 Depth=3
	v_lshrrev_b32_e32 v2, 24, v12
	v_cmp_ne_u32_e32 vcc, s82, v2
	v_bfrev_b32_e32 v1, 1
	s_and_saveexec_b64 s[42:43], vcc
	s_cbranch_execz .LBB2_2681
; %bb.2676:                             ;   in Loop: Header=BB2_2572 Depth=3
	v_and_b32_e32 v1, 0x7c000000, v12
	v_bfe_u32 v16, v12, 24, 2
	v_cmp_ne_u32_e32 vcc, s83, v1
                                        ; implicit-def: $vgpr1
	s_and_saveexec_b64 s[38:39], vcc
	s_xor_b64 s[38:39], exec, s[38:39]
	s_cbranch_execz .LBB2_2678
; %bb.2677:                             ;   in Loop: Header=BB2_2572 Depth=3
	v_ffbh_u32_e32 v1, v16
	v_min_u32_e32 v18, 32, v1
	v_subrev_u32_e32 v1, 29, v18
	v_lshlrev_b64 v[1:2], v1, v[2:3]
	v_bfe_u32 v17, v12, 26, 5
	v_sub_u32_e32 v2, 30, v18
	v_and_b32_e32 v1, 3, v1
	v_cmp_eq_u32_e32 vcc, 0, v17
	v_cndmask_b32_e32 v2, v17, v2, vcc
	v_cndmask_b32_e32 v1, v16, v1, vcc
	v_and_b32_e32 v16, 0x80000000, v12
	v_lshl_add_u32 v2, v2, 23, v16
	v_lshl_or_b32 v1, v1, 21, v2
	v_add_u32_e32 v1, 0x38000000, v1
                                        ; implicit-def: $vgpr16
.LBB2_2678:                             ;   in Loop: Header=BB2_2572 Depth=3
	s_andn2_saveexec_b64 s[38:39], s[38:39]
; %bb.2679:                             ;   in Loop: Header=BB2_2572 Depth=3
	v_cmp_lt_i32_e32 vcc, -1, v12
	v_cndmask_b32_e32 v1, v27, v6, vcc
	v_cmp_eq_u32_e32 vcc, 0, v16
	v_cndmask_b32_e32 v1, v7, v1, vcc
; %bb.2680:                             ;   in Loop: Header=BB2_2572 Depth=3
	s_or_b64 exec, exec, s[38:39]
.LBB2_2681:                             ;   in Loop: Header=BB2_2572 Depth=3
	s_or_b64 exec, exec, s[42:43]
.LBB2_2682:                             ;   in Loop: Header=BB2_2572 Depth=3
	s_or_b64 exec, exec, s[40:41]
	v_bfe_u32 v18, v8, 24, 2
	v_and_b32_e32 v16, 0x7c000000, v8
	v_cmp_eq_u32_e32 vcc, s83, v16
	v_ffbh_u32_e32 v16, v18
	v_min_u32_e32 v20, 32, v16
	v_lshrrev_b32_e32 v2, 24, v8
	v_subrev_u32_e32 v16, 29, v20
	v_bfe_u32 v19, v8, 26, 5
	v_lshlrev_b64 v[16:17], v16, v[2:3]
	v_cmp_eq_u32_e64 s[40:41], 0, v19
	v_sub_u32_e32 v17, 30, v20
	v_and_b32_e32 v16, 3, v16
	v_cndmask_b32_e64 v17, v19, v17, s[40:41]
	v_and_b32_e32 v19, 0x80000000, v8
	v_cndmask_b32_e64 v16, v18, v16, s[40:41]
	v_lshl_add_u32 v17, v17, 23, v19
	v_cmp_lt_i32_e64 s[42:43], -1, v8
	v_lshl_or_b32 v16, v16, 21, v17
	v_cmp_eq_u32_e64 s[40:41], 0, v18
	v_cndmask_b32_e64 v17, v27, v6, s[42:43]
	v_add_u32_e32 v16, 0x38000000, v16
	v_cndmask_b32_e64 v17, v7, v17, s[40:41]
	v_cndmask_b32_e32 v16, v16, v17, vcc
	v_cmp_ne_u32_e32 vcc, s82, v2
	v_cndmask_b32_e32 v2, v53, v16, vcc
	v_cmp_lt_u32_e32 vcc, s57, v8
	v_cndmask_b32_e32 v2, 0, v2, vcc
	v_mul_f32_e32 v1, v2, v1
	v_and_b32_e32 v16, 0x7f800000, v1
	v_mov_b32_e32 v17, v3
	v_cmp_ne_u64_e32 vcc, s[62:63], v[16:17]
	v_and_b32_e32 v2, 0x7fffff, v1
                                        ; implicit-def: $vgpr20
	s_and_saveexec_b64 s[40:41], vcc
	s_xor_b64 s[42:43], exec, s[40:41]
	s_cbranch_execz .LBB2_2696
; %bb.2683:                             ;   in Loop: Header=BB2_2572 Depth=3
	v_and_b32_e32 v16, 0x7fffffff, v1
	v_mov_b32_e32 v17, v3
	v_cmp_gt_u64_e32 vcc, s[78:79], v[16:17]
	v_and_b32_sdwa v19, v1, s82 dst_sel:DWORD dst_unused:UNUSED_PAD src0_sel:BYTE_3 src1_sel:DWORD
                                        ; implicit-def: $vgpr20
	s_and_saveexec_b64 s[40:41], vcc
	s_xor_b64 s[38:39], exec, s[40:41]
	s_cbranch_execz .LBB2_2693
; %bb.2684:                             ;   in Loop: Header=BB2_2572 Depth=3
	v_mov_b32_e32 v20, 0
	v_cmp_ne_u32_e32 vcc, 0, v1
	s_and_saveexec_b64 s[48:49], vcc
	s_cbranch_execz .LBB2_2692
; %bb.2685:                             ;   in Loop: Header=BB2_2572 Depth=3
	v_bfe_u32 v1, v1, 23, 8
	v_cmp_gt_u32_e64 s[40:41], s44, v1
	v_sub_u32_e32 v16, 0x71, v1
	v_cmp_eq_u32_e32 vcc, 0, v1
	v_cndmask_b32_e64 v16, 0, v16, s[40:41]
	v_mov_b32_e32 v18, 0x70
	v_cndmask_b32_e32 v20, v16, v18, vcc
	v_or_b32_e32 v17, 0x800000, v2
	v_add_u32_e32 v16, 21, v20
	v_cndmask_b32_e32 v2, v17, v2, vcc
	v_lshlrev_b64 v[16:17], v16, -1
	v_add_u32_e32 v18, 20, v20
	v_lshlrev_b64 v[24:25], v18, 1
	v_bfi_b32 v17, v17, 0, 0
	v_bfi_b32 v16, v16, 0, v2
	v_cmp_eq_u64_e64 s[40:41], v[16:17], v[24:25]
	v_lshrrev_b64 v[16:17], v20, v[2:3]
	v_mov_b32_e32 v18, v17
	v_mov_b32_e32 v17, v16
	s_and_saveexec_b64 s[50:51], s[40:41]
; %bb.2686:                             ;   in Loop: Header=BB2_2572 Depth=3
	v_bfe_u32 v2, v16, 21, 1
	v_add_co_u32_e64 v2, s[40:41], v16, v2
	v_add_co_u32_e64 v17, s[40:41], -1, v2
; %bb.2687:                             ;   in Loop: Header=BB2_2572 Depth=3
	s_or_b64 exec, exec, s[50:51]
	v_add_u32_e32 v1, 0xffffff81, v1
	v_mov_b32_e32 v2, 0xffffff82
	v_cndmask_b32_e32 v1, v1, v2, vcc
	v_lshrrev_b32_e32 v2, 23, v16
	v_add3_u32 v20, v20, v1, v2
	v_add_u32_e32 v18, 14, v20
	v_and_b32_e32 v1, 0x1fffff, v17
	v_add_u32_e32 v2, v1, v16
	v_cmp_ne_u32_e32 vcc, 0, v18
                                        ; implicit-def: $vgpr16_vgpr17
                                        ; implicit-def: $vgpr1
	s_and_saveexec_b64 s[40:41], vcc
	s_xor_b64 s[40:41], exec, s[40:41]
; %bb.2688:                             ;   in Loop: Header=BB2_2572 Depth=3
	v_cmp_lt_u64_e32 vcc, s[88:89], v[2:3]
	v_add_u32_e32 v1, 15, v20
	v_cndmask_b32_e64 v16, 0, 1, vcc
	v_cndmask_b32_e32 v1, v18, v1, vcc
	v_lshrrev_b64 v[16:17], v16, v[2:3]
; %bb.2689:                             ;   in Loop: Header=BB2_2572 Depth=3
	s_andn2_saveexec_b64 s[40:41], s[40:41]
; %bb.2690:                             ;   in Loop: Header=BB2_2572 Depth=3
	v_mov_b32_e32 v17, v3
	v_bfe_u32 v1, v2, 23, 1
	v_mov_b32_e32 v16, v2
; %bb.2691:                             ;   in Loop: Header=BB2_2572 Depth=3
	s_or_b64 exec, exec, s[40:41]
	v_lshrrev_b64 v[16:17], 21, v[16:17]
	v_cmp_gt_i32_e32 vcc, 32, v1
	v_cndmask_b32_e32 v17, 0, v17, vcc
	v_cndmask_b32_e32 v16, 3, v16, vcc
	v_cmp_eq_u32_e32 vcc, 0, v1
	v_min_i32_e32 v1, 31, v1
	v_cmp_eq_u64_e64 s[40:41], 0, v[16:17]
	v_lshlrev_b32_e32 v1, 2, v1
	v_and_b32_e32 v1, 0xfc, v1
	v_and_or_b32 v1, v16, 3, v1
	s_and_b64 s[40:41], vcc, s[40:41]
	v_cndmask_b32_e64 v1, v1, 0, s[40:41]
	v_or_b32_e32 v20, v1, v19
.LBB2_2692:                             ;   in Loop: Header=BB2_2572 Depth=3
	s_or_b64 exec, exec, s[48:49]
                                        ; implicit-def: $vgpr19
.LBB2_2693:                             ;   in Loop: Header=BB2_2572 Depth=3
	s_andn2_saveexec_b64 s[40:41], s[38:39]
; %bb.2694:                             ;   in Loop: Header=BB2_2572 Depth=3
	v_or_b32_e32 v20, 0x7b, v19
; %bb.2695:                             ;   in Loop: Header=BB2_2572 Depth=3
	s_or_b64 exec, exec, s[40:41]
                                        ; implicit-def: $vgpr1
.LBB2_2696:                             ;   in Loop: Header=BB2_2572 Depth=3
	s_andn2_saveexec_b64 s[40:41], s[42:43]
	s_cbranch_execz .LBB2_2702
; %bb.2697:                             ;   in Loop: Header=BB2_2572 Depth=3
	v_cmp_ne_u64_e32 vcc, 0, v[2:3]
                                        ; implicit-def: $vgpr20
	s_and_saveexec_b64 s[42:43], vcc
	s_xor_b64 s[42:43], exec, s[42:43]
; %bb.2698:                             ;   in Loop: Header=BB2_2572 Depth=3
	v_or_b32_sdwa v20, v1, s81 dst_sel:DWORD dst_unused:UNUSED_PAD src0_sel:BYTE_3 src1_sel:DWORD
                                        ; implicit-def: $vgpr1
; %bb.2699:                             ;   in Loop: Header=BB2_2572 Depth=3
	s_andn2_saveexec_b64 s[42:43], s[42:43]
; %bb.2700:                             ;   in Loop: Header=BB2_2572 Depth=3
	v_cmp_lt_i32_e32 vcc, -1, v1
	v_cndmask_b32_e32 v20, v0, v49, vcc
; %bb.2701:                             ;   in Loop: Header=BB2_2572 Depth=3
	s_or_b64 exec, exec, s[42:43]
.LBB2_2702:                             ;   in Loop: Header=BB2_2572 Depth=3
	s_or_b64 exec, exec, s[40:41]
	v_mov_b32_e32 v2, v13
	v_cmp_ne_u16_sdwa s[42:43], v13, v3 src0_sel:BYTE_0 src1_sel:DWORD
	v_mov_b32_e32 v1, 0
	s_and_saveexec_b64 s[40:41], s[42:43]
	s_cbranch_execz .LBB2_2710
; %bb.2703:                             ;   in Loop: Header=BB2_2572 Depth=3
	v_cmp_ne_u16_sdwa vcc, v13, s82 src0_sel:BYTE_0 src1_sel:DWORD
	v_bfrev_b32_e32 v1, 1
	s_and_saveexec_b64 s[42:43], vcc
	s_cbranch_execz .LBB2_2709
; %bb.2704:                             ;   in Loop: Header=BB2_2572 Depth=3
	v_and_b32_e32 v1, 0x7c, v13
	v_and_b32_e32 v16, 3, v13
	v_cmp_ne_u32_e32 vcc, s71, v1
                                        ; implicit-def: $vgpr1
	s_and_saveexec_b64 s[38:39], vcc
	s_xor_b64 s[38:39], exec, s[38:39]
	s_cbranch_execz .LBB2_2706
; %bb.2705:                             ;   in Loop: Header=BB2_2572 Depth=3
	v_ffbh_u32_e32 v17, v16
	v_min_u32_e32 v19, 32, v17
	v_subrev_u32_e32 v17, 29, v19
	v_lshlrev_b64 v[17:18], v17, v[2:3]
	v_bfe_u32 v1, v13, 2, 5
	v_and_b32_e32 v17, 3, v17
	v_cmp_eq_u32_e32 vcc, 0, v1
	v_sub_u32_e32 v18, 30, v19
	v_cndmask_b32_e32 v16, v16, v17, vcc
	v_lshlrev_b32_e32 v17, 24, v13
	v_cndmask_b32_e32 v1, v1, v18, vcc
	v_and_b32_e32 v17, 0x80000000, v17
	v_lshl_add_u32 v1, v1, 23, v17
	v_lshl_or_b32 v1, v16, 21, v1
	v_add_u32_e32 v1, 0x38000000, v1
                                        ; implicit-def: $vgpr16
.LBB2_2706:                             ;   in Loop: Header=BB2_2572 Depth=3
	s_andn2_saveexec_b64 s[38:39], s[38:39]
; %bb.2707:                             ;   in Loop: Header=BB2_2572 Depth=3
	v_cmp_gt_i16_sdwa vcc, sext(v13), v26 src0_sel:BYTE_0 src1_sel:DWORD
	v_cndmask_b32_e32 v1, v27, v6, vcc
	v_cmp_eq_u32_e32 vcc, 0, v16
	v_cndmask_b32_e32 v1, v7, v1, vcc
; %bb.2708:                             ;   in Loop: Header=BB2_2572 Depth=3
	s_or_b64 exec, exec, s[38:39]
.LBB2_2709:                             ;   in Loop: Header=BB2_2572 Depth=3
	s_or_b64 exec, exec, s[42:43]
.LBB2_2710:                             ;   in Loop: Header=BB2_2572 Depth=3
	s_or_b64 exec, exec, s[40:41]
	v_cmp_gt_i16_sdwa s[42:43], v9, s81 src0_sel:BYTE_0 src1_sel:DWORD
	s_mov_b64 s[40:41], 0
	s_and_saveexec_b64 vcc, s[42:43]
	s_xor_b64 s[42:43], exec, vcc
	s_cbranch_execz .LBB2_2714
; %bb.2711:                             ;   in Loop: Header=BB2_2572 Depth=3
	v_cmp_eq_u16_sdwa s[38:39], v9, s82 src0_sel:BYTE_0 src1_sel:DWORD
	s_mov_b64 s[40:41], -1
	s_and_saveexec_b64 vcc, s[38:39]
; %bb.2712:                             ;   in Loop: Header=BB2_2572 Depth=3
	s_xor_b64 s[40:41], exec, -1
; %bb.2713:                             ;   in Loop: Header=BB2_2572 Depth=3
	s_or_b64 exec, exec, vcc
	s_and_b64 s[40:41], s[40:41], exec
.LBB2_2714:                             ;   in Loop: Header=BB2_2572 Depth=3
	s_or_saveexec_b64 s[42:43], s[42:43]
	v_bfrev_b32_e32 v18, 1
	s_xor_b64 exec, exec, s[42:43]
; %bb.2715:                             ;   in Loop: Header=BB2_2572 Depth=3
	v_cmp_ne_u16_sdwa vcc, v9, v3 src0_sel:BYTE_0 src1_sel:DWORD
	s_andn2_b64 s[40:41], s[40:41], exec
	s_and_b64 vcc, vcc, exec
	v_mov_b32_e32 v18, 0
	s_or_b64 s[40:41], s[40:41], vcc
; %bb.2716:                             ;   in Loop: Header=BB2_2572 Depth=3
	s_or_b64 exec, exec, s[42:43]
	v_mov_b32_e32 v16, v9
	v_mov_b32_e32 v17, v3
	s_and_saveexec_b64 s[38:39], s[40:41]
	s_cbranch_execz .LBB2_2718
; %bb.2717:                             ;   in Loop: Header=BB2_2572 Depth=3
	v_and_b32_e32 v19, 3, v9
	v_and_b32_e32 v18, 0x7c, v9
	v_cmp_eq_u32_e32 vcc, s71, v18
	v_ffbh_u32_e32 v18, v19
	v_min_u32_e32 v25, 32, v18
	v_subrev_u32_e32 v18, 29, v25
	v_bfe_u32 v24, v9, 2, 5
	v_lshlrev_b64 v[17:18], v18, v[16:17]
	v_cmp_eq_u32_e64 s[40:41], 0, v24
	v_sub_u32_e32 v18, 30, v25
	v_cndmask_b32_e64 v18, v24, v18, s[40:41]
	v_lshlrev_b32_e32 v24, 24, v9
	v_and_b32_e32 v17, 3, v17
	v_and_b32_e32 v24, 0x80000000, v24
	v_cndmask_b32_e64 v17, v19, v17, s[40:41]
	v_lshl_add_u32 v18, v18, 23, v24
	v_cmp_gt_i16_sdwa s[42:43], sext(v9), v26 src0_sel:BYTE_0 src1_sel:DWORD
	v_lshl_or_b32 v17, v17, 21, v18
	v_cmp_eq_u32_e64 s[40:41], 0, v19
	v_cndmask_b32_e64 v18, v27, v6, s[42:43]
	v_add_u32_e32 v17, 0x38000000, v17
	v_cndmask_b32_e64 v18, v7, v18, s[40:41]
	v_cndmask_b32_e32 v18, v17, v18, vcc
.LBB2_2718:                             ;   in Loop: Header=BB2_2572 Depth=3
	s_or_b64 exec, exec, s[38:39]
	v_mul_f32_e32 v1, v1, v18
	v_and_b32_e32 v18, 0x7f800000, v1
	v_mov_b32_e32 v19, v3
	v_cmp_ne_u64_e32 vcc, s[62:63], v[18:19]
	v_and_b32_e32 v17, 0x7fffff, v1
	v_mov_b32_e32 v18, v3
                                        ; implicit-def: $vgpr19
	s_and_saveexec_b64 s[40:41], vcc
	s_xor_b64 s[42:43], exec, s[40:41]
	s_cbranch_execz .LBB2_2732
; %bb.2719:                             ;   in Loop: Header=BB2_2572 Depth=3
	v_and_b32_e32 v24, 0x7fffffff, v1
	v_mov_b32_e32 v25, v3
	v_cmp_gt_u64_e32 vcc, s[78:79], v[24:25]
	v_and_b32_sdwa v24, v1, s82 dst_sel:DWORD dst_unused:UNUSED_PAD src0_sel:BYTE_3 src1_sel:DWORD
                                        ; implicit-def: $vgpr19
	s_and_saveexec_b64 s[40:41], vcc
	s_xor_b64 s[38:39], exec, s[40:41]
	s_cbranch_execz .LBB2_2729
; %bb.2720:                             ;   in Loop: Header=BB2_2572 Depth=3
	v_mov_b32_e32 v19, 0
	v_cmp_ne_u32_e32 vcc, 0, v1
	s_and_saveexec_b64 s[48:49], vcc
	s_cbranch_execz .LBB2_2728
; %bb.2721:                             ;   in Loop: Header=BB2_2572 Depth=3
	v_bfe_u32 v1, v1, 23, 8
	v_cmp_gt_u32_e64 s[40:41], s44, v1
	v_sub_u32_e32 v19, 0x71, v1
	v_cmp_eq_u32_e32 vcc, 0, v1
	v_cndmask_b32_e64 v19, 0, v19, s[40:41]
	v_mov_b32_e32 v25, 0x70
	v_cndmask_b32_e32 v25, v19, v25, vcc
	v_or_b32_e32 v39, 0x800000, v17
	v_add_u32_e32 v19, 21, v25
	v_cndmask_b32_e32 v17, v39, v17, vcc
	v_lshlrev_b64 v[39:40], v19, -1
	v_add_u32_e32 v19, 20, v25
	v_bfi_b32 v39, v39, 0, v17
	v_lshlrev_b64 v[41:42], v19, 1
	v_lshrrev_b64 v[17:18], v25, v[17:18]
	v_bfi_b32 v40, v40, 0, 0
	v_cmp_eq_u64_e64 s[40:41], v[39:40], v[41:42]
	v_mov_b32_e32 v19, v18
	v_mov_b32_e32 v18, v17
	s_and_saveexec_b64 s[50:51], s[40:41]
; %bb.2722:                             ;   in Loop: Header=BB2_2572 Depth=3
	v_bfe_u32 v18, v17, 21, 1
	v_add_co_u32_e64 v18, s[40:41], v17, v18
	v_add_co_u32_e64 v18, s[40:41], -1, v18
; %bb.2723:                             ;   in Loop: Header=BB2_2572 Depth=3
	s_or_b64 exec, exec, s[50:51]
	v_add_u32_e32 v1, 0xffffff81, v1
	v_mov_b32_e32 v19, 0xffffff82
	v_cndmask_b32_e32 v1, v1, v19, vcc
	v_lshrrev_b32_e32 v19, 23, v17
	v_add3_u32 v25, v25, v1, v19
	v_add_u32_e32 v19, 14, v25
	v_and_b32_e32 v1, 0x1fffff, v18
	v_add_u32_e32 v17, v1, v17
	v_mov_b32_e32 v18, v3
	v_cmp_ne_u32_e32 vcc, 0, v19
                                        ; implicit-def: $vgpr1
	s_and_saveexec_b64 s[40:41], vcc
	s_xor_b64 s[40:41], exec, s[40:41]
; %bb.2724:                             ;   in Loop: Header=BB2_2572 Depth=3
	v_cmp_lt_u64_e32 vcc, s[88:89], v[17:18]
	v_add_u32_e32 v1, 15, v25
	v_cndmask_b32_e32 v1, v19, v1, vcc
	v_cndmask_b32_e64 v19, 0, 1, vcc
	v_lshrrev_b64 v[17:18], v19, v[17:18]
; %bb.2725:                             ;   in Loop: Header=BB2_2572 Depth=3
	s_andn2_saveexec_b64 s[40:41], s[40:41]
; %bb.2726:                             ;   in Loop: Header=BB2_2572 Depth=3
	v_bfe_u32 v1, v17, 23, 1
; %bb.2727:                             ;   in Loop: Header=BB2_2572 Depth=3
	s_or_b64 exec, exec, s[40:41]
	v_lshrrev_b64 v[17:18], 21, v[17:18]
	v_cmp_gt_i32_e32 vcc, 32, v1
	v_cndmask_b32_e32 v18, 0, v18, vcc
	v_cndmask_b32_e32 v17, 3, v17, vcc
	v_cmp_eq_u32_e32 vcc, 0, v1
	v_min_i32_e32 v1, 31, v1
	v_cmp_eq_u64_e64 s[40:41], 0, v[17:18]
	v_lshlrev_b32_e32 v1, 2, v1
	v_and_b32_e32 v1, 0xfc, v1
	v_and_or_b32 v1, v17, 3, v1
	s_and_b64 s[40:41], vcc, s[40:41]
	v_cndmask_b32_e64 v1, v1, 0, s[40:41]
	v_or_b32_e32 v19, v1, v24
.LBB2_2728:                             ;   in Loop: Header=BB2_2572 Depth=3
	s_or_b64 exec, exec, s[48:49]
                                        ; implicit-def: $vgpr24
.LBB2_2729:                             ;   in Loop: Header=BB2_2572 Depth=3
	s_andn2_saveexec_b64 s[40:41], s[38:39]
; %bb.2730:                             ;   in Loop: Header=BB2_2572 Depth=3
	v_or_b32_e32 v19, 0x7b, v24
; %bb.2731:                             ;   in Loop: Header=BB2_2572 Depth=3
	s_or_b64 exec, exec, s[40:41]
                                        ; implicit-def: $vgpr1
                                        ; implicit-def: $vgpr17_vgpr18
.LBB2_2732:                             ;   in Loop: Header=BB2_2572 Depth=3
	s_andn2_saveexec_b64 s[40:41], s[42:43]
	s_cbranch_execz .LBB2_2738
; %bb.2733:                             ;   in Loop: Header=BB2_2572 Depth=3
	v_cmp_ne_u64_e32 vcc, 0, v[17:18]
                                        ; implicit-def: $vgpr19
	s_and_saveexec_b64 s[42:43], vcc
	s_xor_b64 s[42:43], exec, s[42:43]
; %bb.2734:                             ;   in Loop: Header=BB2_2572 Depth=3
	v_or_b32_sdwa v19, v1, s81 dst_sel:DWORD dst_unused:UNUSED_PAD src0_sel:BYTE_3 src1_sel:DWORD
                                        ; implicit-def: $vgpr1
; %bb.2735:                             ;   in Loop: Header=BB2_2572 Depth=3
	s_andn2_saveexec_b64 s[42:43], s[42:43]
; %bb.2736:                             ;   in Loop: Header=BB2_2572 Depth=3
	v_cmp_lt_i32_e32 vcc, -1, v1
	v_cndmask_b32_e32 v19, v0, v49, vcc
; %bb.2737:                             ;   in Loop: Header=BB2_2572 Depth=3
	s_or_b64 exec, exec, s[42:43]
.LBB2_2738:                             ;   in Loop: Header=BB2_2572 Depth=3
	s_or_b64 exec, exec, s[40:41]
	v_lshrrev_b16_e32 v17, 8, v2
	v_cmp_ne_u16_e32 vcc, 0, v17
	v_mov_b32_e32 v1, 0
	s_and_saveexec_b64 s[40:41], vcc
	s_cbranch_execz .LBB2_2746
; %bb.2739:                             ;   in Loop: Header=BB2_2572 Depth=3
	v_cmp_ne_u16_e32 vcc, s82, v17
	v_bfrev_b32_e32 v1, 1
	s_and_saveexec_b64 s[42:43], vcc
	s_cbranch_execz .LBB2_2745
; %bb.2740:                             ;   in Loop: Header=BB2_2572 Depth=3
	v_and_b32_e32 v1, 0x7c, v17
	v_and_b32_e32 v24, 3, v17
	v_cmp_ne_u32_e32 vcc, s71, v1
                                        ; implicit-def: $vgpr1
	s_and_saveexec_b64 s[38:39], vcc
	s_xor_b64 s[38:39], exec, s[38:39]
	s_cbranch_execz .LBB2_2742
; %bb.2741:                             ;   in Loop: Header=BB2_2572 Depth=3
	v_ffbh_u32_e32 v25, v24
	v_min_u32_e32 v25, 32, v25
	v_mov_b32_e32 v18, v3
	v_subrev_u32_e32 v39, 29, v25
	v_bfe_u32 v1, v17, 2, 5
	v_lshlrev_b64 v[17:18], v39, v[17:18]
	v_sub_u32_e32 v18, 30, v25
	v_cmp_eq_u32_e32 vcc, 0, v1
	v_lshlrev_b32_e32 v2, 16, v2
	v_and_b32_e32 v17, 3, v17
	v_cndmask_b32_e32 v1, v1, v18, vcc
	v_and_b32_e32 v2, 0x80000000, v2
	v_cndmask_b32_e32 v17, v24, v17, vcc
	v_lshl_add_u32 v1, v1, 23, v2
	v_lshl_or_b32 v1, v17, 21, v1
	v_add_u32_e32 v1, 0x38000000, v1
                                        ; implicit-def: $vgpr24
.LBB2_2742:                             ;   in Loop: Header=BB2_2572 Depth=3
	s_andn2_saveexec_b64 s[38:39], s[38:39]
; %bb.2743:                             ;   in Loop: Header=BB2_2572 Depth=3
	v_cmp_lt_i16_e32 vcc, -1, v2
	v_cndmask_b32_e32 v1, v27, v6, vcc
	v_cmp_eq_u32_e32 vcc, 0, v24
	v_cndmask_b32_e32 v1, v7, v1, vcc
; %bb.2744:                             ;   in Loop: Header=BB2_2572 Depth=3
	s_or_b64 exec, exec, s[38:39]
.LBB2_2745:                             ;   in Loop: Header=BB2_2572 Depth=3
	s_or_b64 exec, exec, s[42:43]
.LBB2_2746:                             ;   in Loop: Header=BB2_2572 Depth=3
	s_or_b64 exec, exec, s[40:41]
	v_lshrrev_b16_e32 v2, 8, v16
	v_cmp_lt_i16_e32 vcc, s81, v2
	s_mov_b64 s[40:41], 0
	s_and_saveexec_b64 s[42:43], vcc
	s_xor_b64 s[42:43], exec, s[42:43]
	s_cbranch_execz .LBB2_3105
; %bb.2747:                             ;   in Loop: Header=BB2_2572 Depth=3
	v_cmp_eq_u16_e32 vcc, s82, v2
	s_mov_b64 s[40:41], -1
	s_and_saveexec_b64 s[38:39], vcc
; %bb.2748:                             ;   in Loop: Header=BB2_2572 Depth=3
	s_xor_b64 s[40:41], exec, -1
; %bb.2749:                             ;   in Loop: Header=BB2_2572 Depth=3
	s_or_b64 exec, exec, s[38:39]
	s_and_b64 s[40:41], s[40:41], exec
	s_or_saveexec_b64 s[42:43], s[42:43]
	v_bfrev_b32_e32 v17, 1
	s_xor_b64 exec, exec, s[42:43]
	s_cbranch_execnz .LBB2_3106
.LBB2_2750:                             ;   in Loop: Header=BB2_2572 Depth=3
	s_or_b64 exec, exec, s[42:43]
	s_and_saveexec_b64 s[38:39], s[40:41]
	s_cbranch_execz .LBB2_2752
.LBB2_2751:                             ;   in Loop: Header=BB2_2572 Depth=3
	v_and_b32_e32 v24, 3, v2
	v_and_b32_e32 v17, 0x7c, v2
	v_cmp_eq_u32_e32 vcc, s71, v17
	v_ffbh_u32_e32 v17, v24
	v_min_u32_e32 v39, 32, v17
	v_subrev_u32_e32 v17, 29, v39
	v_bfe_u32 v25, v2, 2, 5
	v_lshlrev_b64 v[17:18], v17, v[2:3]
	v_cmp_eq_u32_e64 s[40:41], 0, v25
	v_sub_u32_e32 v18, 30, v39
	v_lshlrev_b32_e32 v2, 24, v2
	v_and_b32_e32 v17, 3, v17
	v_cndmask_b32_e64 v18, v25, v18, s[40:41]
	v_and_b32_e32 v2, 0x80000000, v2
	v_cndmask_b32_e64 v17, v24, v17, s[40:41]
	v_lshl_add_u32 v2, v18, 23, v2
	v_cmp_lt_i16_e64 s[42:43], -1, v16
	v_lshl_or_b32 v2, v17, 21, v2
	v_cmp_eq_u32_e64 s[40:41], 0, v24
	v_cndmask_b32_e64 v16, v27, v6, s[42:43]
	v_add_u32_e32 v2, 0x38000000, v2
	v_cndmask_b32_e64 v16, v7, v16, s[40:41]
	v_cndmask_b32_e32 v17, v2, v16, vcc
.LBB2_2752:                             ;   in Loop: Header=BB2_2572 Depth=3
	s_or_b64 exec, exec, s[38:39]
	v_mul_f32_e32 v1, v1, v17
	v_and_b32_e32 v16, 0x7f800000, v1
	v_mov_b32_e32 v17, v3
	v_cmp_ne_u64_e32 vcc, s[62:63], v[16:17]
	v_and_b32_e32 v2, 0x7fffff, v1
                                        ; implicit-def: $vgpr24
	s_and_saveexec_b64 s[40:41], vcc
	s_xor_b64 s[42:43], exec, s[40:41]
	s_cbranch_execz .LBB2_2766
; %bb.2753:                             ;   in Loop: Header=BB2_2572 Depth=3
	v_and_b32_e32 v16, 0x7fffffff, v1
	v_mov_b32_e32 v17, v3
	v_cmp_gt_u64_e32 vcc, s[78:79], v[16:17]
	v_and_b32_sdwa v25, v1, s82 dst_sel:DWORD dst_unused:UNUSED_PAD src0_sel:BYTE_3 src1_sel:DWORD
                                        ; implicit-def: $vgpr24
	s_and_saveexec_b64 s[40:41], vcc
	s_xor_b64 s[38:39], exec, s[40:41]
	s_cbranch_execz .LBB2_2763
; %bb.2754:                             ;   in Loop: Header=BB2_2572 Depth=3
	v_mov_b32_e32 v24, 0
	v_cmp_ne_u32_e32 vcc, 0, v1
	s_and_saveexec_b64 s[48:49], vcc
	s_cbranch_execz .LBB2_2762
; %bb.2755:                             ;   in Loop: Header=BB2_2572 Depth=3
	v_bfe_u32 v1, v1, 23, 8
	v_cmp_gt_u32_e64 s[40:41], s44, v1
	v_sub_u32_e32 v16, 0x71, v1
	v_cmp_eq_u32_e32 vcc, 0, v1
	v_cndmask_b32_e64 v16, 0, v16, s[40:41]
	v_mov_b32_e32 v18, 0x70
	v_cndmask_b32_e32 v24, v16, v18, vcc
	v_or_b32_e32 v17, 0x800000, v2
	v_add_u32_e32 v16, 21, v24
	v_cndmask_b32_e32 v2, v17, v2, vcc
	v_lshlrev_b64 v[16:17], v16, -1
	v_add_u32_e32 v18, 20, v24
	v_lshlrev_b64 v[39:40], v18, 1
	v_bfi_b32 v17, v17, 0, 0
	v_bfi_b32 v16, v16, 0, v2
	v_cmp_eq_u64_e64 s[40:41], v[16:17], v[39:40]
	v_lshrrev_b64 v[16:17], v24, v[2:3]
	v_mov_b32_e32 v18, v17
	v_mov_b32_e32 v17, v16
	s_and_saveexec_b64 s[50:51], s[40:41]
; %bb.2756:                             ;   in Loop: Header=BB2_2572 Depth=3
	v_bfe_u32 v2, v16, 21, 1
	v_add_co_u32_e64 v2, s[40:41], v16, v2
	v_add_co_u32_e64 v17, s[40:41], -1, v2
; %bb.2757:                             ;   in Loop: Header=BB2_2572 Depth=3
	s_or_b64 exec, exec, s[50:51]
	v_add_u32_e32 v1, 0xffffff81, v1
	v_mov_b32_e32 v2, 0xffffff82
	v_cndmask_b32_e32 v1, v1, v2, vcc
	v_lshrrev_b32_e32 v2, 23, v16
	v_add3_u32 v24, v24, v1, v2
	v_add_u32_e32 v18, 14, v24
	v_and_b32_e32 v1, 0x1fffff, v17
	v_add_u32_e32 v2, v1, v16
	v_cmp_ne_u32_e32 vcc, 0, v18
                                        ; implicit-def: $vgpr16_vgpr17
                                        ; implicit-def: $vgpr1
	s_and_saveexec_b64 s[40:41], vcc
	s_xor_b64 s[40:41], exec, s[40:41]
; %bb.2758:                             ;   in Loop: Header=BB2_2572 Depth=3
	v_cmp_lt_u64_e32 vcc, s[88:89], v[2:3]
	v_add_u32_e32 v1, 15, v24
	v_cndmask_b32_e64 v16, 0, 1, vcc
	v_cndmask_b32_e32 v1, v18, v1, vcc
	v_lshrrev_b64 v[16:17], v16, v[2:3]
; %bb.2759:                             ;   in Loop: Header=BB2_2572 Depth=3
	s_andn2_saveexec_b64 s[40:41], s[40:41]
; %bb.2760:                             ;   in Loop: Header=BB2_2572 Depth=3
	v_mov_b32_e32 v17, v3
	v_bfe_u32 v1, v2, 23, 1
	v_mov_b32_e32 v16, v2
; %bb.2761:                             ;   in Loop: Header=BB2_2572 Depth=3
	s_or_b64 exec, exec, s[40:41]
	v_lshrrev_b64 v[16:17], 21, v[16:17]
	v_cmp_gt_i32_e32 vcc, 32, v1
	v_cndmask_b32_e32 v17, 0, v17, vcc
	v_cndmask_b32_e32 v16, 3, v16, vcc
	v_cmp_eq_u32_e32 vcc, 0, v1
	v_min_i32_e32 v1, 31, v1
	v_cmp_eq_u64_e64 s[40:41], 0, v[16:17]
	v_lshlrev_b32_e32 v1, 2, v1
	v_and_b32_e32 v1, 0xfc, v1
	v_and_or_b32 v1, v16, 3, v1
	s_and_b64 s[40:41], vcc, s[40:41]
	v_cndmask_b32_e64 v1, v1, 0, s[40:41]
	v_or_b32_e32 v24, v1, v25
.LBB2_2762:                             ;   in Loop: Header=BB2_2572 Depth=3
	s_or_b64 exec, exec, s[48:49]
                                        ; implicit-def: $vgpr25
.LBB2_2763:                             ;   in Loop: Header=BB2_2572 Depth=3
	s_andn2_saveexec_b64 s[40:41], s[38:39]
; %bb.2764:                             ;   in Loop: Header=BB2_2572 Depth=3
	v_or_b32_e32 v24, 0x7b, v25
; %bb.2765:                             ;   in Loop: Header=BB2_2572 Depth=3
	s_or_b64 exec, exec, s[40:41]
                                        ; implicit-def: $vgpr1
.LBB2_2766:                             ;   in Loop: Header=BB2_2572 Depth=3
	s_andn2_saveexec_b64 s[40:41], s[42:43]
	s_cbranch_execz .LBB2_2772
; %bb.2767:                             ;   in Loop: Header=BB2_2572 Depth=3
	v_cmp_ne_u64_e32 vcc, 0, v[2:3]
                                        ; implicit-def: $vgpr24
	s_and_saveexec_b64 s[42:43], vcc
	s_xor_b64 s[42:43], exec, s[42:43]
; %bb.2768:                             ;   in Loop: Header=BB2_2572 Depth=3
	v_or_b32_sdwa v24, v1, s81 dst_sel:DWORD dst_unused:UNUSED_PAD src0_sel:BYTE_3 src1_sel:DWORD
                                        ; implicit-def: $vgpr1
; %bb.2769:                             ;   in Loop: Header=BB2_2572 Depth=3
	s_andn2_saveexec_b64 s[42:43], s[42:43]
; %bb.2770:                             ;   in Loop: Header=BB2_2572 Depth=3
	v_cmp_lt_i32_e32 vcc, -1, v1
	v_cndmask_b32_e32 v24, v0, v49, vcc
; %bb.2771:                             ;   in Loop: Header=BB2_2572 Depth=3
	s_or_b64 exec, exec, s[42:43]
.LBB2_2772:                             ;   in Loop: Header=BB2_2572 Depth=3
	s_or_b64 exec, exec, s[40:41]
	v_lshrrev_b32_e32 v2, 16, v13
	v_cmp_ne_u16_sdwa s[42:43], v2, v3 src0_sel:BYTE_0 src1_sel:DWORD
	v_mov_b32_e32 v1, 0
	s_and_saveexec_b64 s[40:41], s[42:43]
	s_cbranch_execz .LBB2_2780
; %bb.2773:                             ;   in Loop: Header=BB2_2572 Depth=3
	v_cmp_ne_u16_sdwa vcc, v2, s82 src0_sel:BYTE_0 src1_sel:DWORD
	v_bfrev_b32_e32 v1, 1
	s_and_saveexec_b64 s[42:43], vcc
	s_cbranch_execz .LBB2_2779
; %bb.2774:                             ;   in Loop: Header=BB2_2572 Depth=3
	v_and_b32_e32 v1, 0x7c0000, v13
	v_bfe_u32 v16, v13, 16, 2
	v_cmp_ne_u32_e32 vcc, s45, v1
                                        ; implicit-def: $vgpr1
	s_and_saveexec_b64 s[38:39], vcc
	s_xor_b64 s[38:39], exec, s[38:39]
	s_cbranch_execz .LBB2_2776
; %bb.2775:                             ;   in Loop: Header=BB2_2572 Depth=3
	v_ffbh_u32_e32 v1, v16
	v_min_u32_e32 v18, 32, v1
	v_subrev_u32_e32 v1, 29, v18
	v_lshlrev_b64 v[1:2], v1, v[2:3]
	v_bfe_u32 v17, v13, 18, 5
	v_and_b32_e32 v1, 3, v1
	v_cmp_eq_u32_e32 vcc, 0, v17
	v_sub_u32_e32 v2, 30, v18
	v_cndmask_b32_e32 v1, v16, v1, vcc
	v_lshlrev_b32_e32 v16, 8, v13
	v_cndmask_b32_e32 v2, v17, v2, vcc
	v_and_b32_e32 v16, 0x80000000, v16
	v_lshl_add_u32 v2, v2, 23, v16
	v_lshl_or_b32 v1, v1, 21, v2
	v_add_u32_e32 v1, 0x38000000, v1
                                        ; implicit-def: $vgpr16
                                        ; implicit-def: $vgpr2
.LBB2_2776:                             ;   in Loop: Header=BB2_2572 Depth=3
	s_andn2_saveexec_b64 s[38:39], s[38:39]
; %bb.2777:                             ;   in Loop: Header=BB2_2572 Depth=3
	v_cmp_gt_i16_sdwa vcc, sext(v2), v26 src0_sel:BYTE_0 src1_sel:DWORD
	v_cndmask_b32_e32 v1, v27, v6, vcc
	v_cmp_eq_u32_e32 vcc, 0, v16
	v_cndmask_b32_e32 v1, v7, v1, vcc
; %bb.2778:                             ;   in Loop: Header=BB2_2572 Depth=3
	s_or_b64 exec, exec, s[38:39]
.LBB2_2779:                             ;   in Loop: Header=BB2_2572 Depth=3
	s_or_b64 exec, exec, s[42:43]
.LBB2_2780:                             ;   in Loop: Header=BB2_2572 Depth=3
	s_or_b64 exec, exec, s[40:41]
	v_lshrrev_b32_e32 v2, 16, v9
	v_cmp_gt_i16_sdwa s[42:43], v2, s81 src0_sel:BYTE_0 src1_sel:DWORD
	s_mov_b64 s[40:41], 0
	s_and_saveexec_b64 vcc, s[42:43]
	s_xor_b64 s[42:43], exec, vcc
	s_cbranch_execz .LBB2_3107
; %bb.2781:                             ;   in Loop: Header=BB2_2572 Depth=3
	v_cmp_eq_u16_sdwa s[38:39], v2, s82 src0_sel:BYTE_0 src1_sel:DWORD
	s_mov_b64 s[40:41], -1
	s_and_saveexec_b64 vcc, s[38:39]
; %bb.2782:                             ;   in Loop: Header=BB2_2572 Depth=3
	s_xor_b64 s[40:41], exec, -1
; %bb.2783:                             ;   in Loop: Header=BB2_2572 Depth=3
	s_or_b64 exec, exec, vcc
	s_and_b64 s[40:41], s[40:41], exec
	s_or_saveexec_b64 s[42:43], s[42:43]
	v_bfrev_b32_e32 v16, 1
	s_xor_b64 exec, exec, s[42:43]
	s_cbranch_execnz .LBB2_3108
.LBB2_2784:                             ;   in Loop: Header=BB2_2572 Depth=3
	s_or_b64 exec, exec, s[42:43]
	s_and_saveexec_b64 s[38:39], s[40:41]
	s_cbranch_execz .LBB2_2786
.LBB2_2785:                             ;   in Loop: Header=BB2_2572 Depth=3
	v_and_b32_e32 v18, 3, v2
	v_and_b32_e32 v16, 0x7c0000, v9
	v_cmp_eq_u32_e32 vcc, s45, v16
	v_ffbh_u32_e32 v16, v18
	v_min_u32_e32 v39, 32, v16
	v_subrev_u32_e32 v16, 29, v39
	v_bfe_u32 v25, v9, 18, 5
	v_lshlrev_b64 v[16:17], v16, v[2:3]
	v_cmp_eq_u32_e64 s[40:41], 0, v25
	v_sub_u32_e32 v17, 30, v39
	v_cndmask_b32_e64 v17, v25, v17, s[40:41]
	v_lshlrev_b32_e32 v25, 24, v2
	v_and_b32_e32 v16, 3, v16
	v_and_b32_e32 v25, 0x80000000, v25
	v_cndmask_b32_e64 v16, v18, v16, s[40:41]
	v_lshl_add_u32 v17, v17, 23, v25
	v_cmp_gt_i16_sdwa s[42:43], sext(v2), v26 src0_sel:BYTE_0 src1_sel:DWORD
	v_lshl_or_b32 v16, v16, 21, v17
	v_cmp_eq_u32_e64 s[40:41], 0, v18
	v_cndmask_b32_e64 v2, v27, v6, s[42:43]
	v_add_u32_e32 v16, 0x38000000, v16
	v_cndmask_b32_e64 v2, v7, v2, s[40:41]
	v_cndmask_b32_e32 v16, v16, v2, vcc
.LBB2_2786:                             ;   in Loop: Header=BB2_2572 Depth=3
	s_or_b64 exec, exec, s[38:39]
	v_mul_f32_e32 v1, v1, v16
	v_and_b32_e32 v16, 0x7f800000, v1
	v_mov_b32_e32 v17, v3
	v_cmp_ne_u64_e32 vcc, s[62:63], v[16:17]
	v_and_b32_e32 v2, 0x7fffff, v1
                                        ; implicit-def: $vgpr18
	s_and_saveexec_b64 s[40:41], vcc
	s_xor_b64 s[42:43], exec, s[40:41]
	s_cbranch_execz .LBB2_2800
; %bb.2787:                             ;   in Loop: Header=BB2_2572 Depth=3
	v_and_b32_e32 v16, 0x7fffffff, v1
	v_mov_b32_e32 v17, v3
	v_cmp_gt_u64_e32 vcc, s[78:79], v[16:17]
	v_and_b32_sdwa v25, v1, s82 dst_sel:DWORD dst_unused:UNUSED_PAD src0_sel:BYTE_3 src1_sel:DWORD
                                        ; implicit-def: $vgpr18
	s_and_saveexec_b64 s[40:41], vcc
	s_xor_b64 s[38:39], exec, s[40:41]
	s_cbranch_execz .LBB2_2797
; %bb.2788:                             ;   in Loop: Header=BB2_2572 Depth=3
	v_mov_b32_e32 v18, 0
	v_cmp_ne_u32_e32 vcc, 0, v1
	s_and_saveexec_b64 s[48:49], vcc
	s_cbranch_execz .LBB2_2796
; %bb.2789:                             ;   in Loop: Header=BB2_2572 Depth=3
	v_bfe_u32 v1, v1, 23, 8
	v_cmp_gt_u32_e64 s[40:41], s44, v1
	v_sub_u32_e32 v16, 0x71, v1
	v_cmp_eq_u32_e32 vcc, 0, v1
	v_cndmask_b32_e64 v16, 0, v16, s[40:41]
	v_mov_b32_e32 v18, 0x70
	v_cndmask_b32_e32 v39, v16, v18, vcc
	v_or_b32_e32 v17, 0x800000, v2
	v_add_u32_e32 v16, 21, v39
	v_cndmask_b32_e32 v2, v17, v2, vcc
	v_lshlrev_b64 v[16:17], v16, -1
	v_add_u32_e32 v18, 20, v39
	v_lshlrev_b64 v[40:41], v18, 1
	v_bfi_b32 v17, v17, 0, 0
	v_bfi_b32 v16, v16, 0, v2
	v_cmp_eq_u64_e64 s[40:41], v[16:17], v[40:41]
	v_lshrrev_b64 v[16:17], v39, v[2:3]
	v_mov_b32_e32 v18, v17
	v_mov_b32_e32 v17, v16
	s_and_saveexec_b64 s[50:51], s[40:41]
; %bb.2790:                             ;   in Loop: Header=BB2_2572 Depth=3
	v_bfe_u32 v2, v16, 21, 1
	v_add_co_u32_e64 v2, s[40:41], v16, v2
	v_add_co_u32_e64 v17, s[40:41], -1, v2
; %bb.2791:                             ;   in Loop: Header=BB2_2572 Depth=3
	s_or_b64 exec, exec, s[50:51]
	v_add_u32_e32 v1, 0xffffff81, v1
	v_mov_b32_e32 v2, 0xffffff82
	v_cndmask_b32_e32 v1, v1, v2, vcc
	v_lshrrev_b32_e32 v2, 23, v16
	v_add3_u32 v39, v39, v1, v2
	v_add_u32_e32 v18, 14, v39
	v_and_b32_e32 v1, 0x1fffff, v17
	v_add_u32_e32 v2, v1, v16
	v_cmp_ne_u32_e32 vcc, 0, v18
                                        ; implicit-def: $vgpr16_vgpr17
                                        ; implicit-def: $vgpr1
	s_and_saveexec_b64 s[40:41], vcc
	s_xor_b64 s[40:41], exec, s[40:41]
; %bb.2792:                             ;   in Loop: Header=BB2_2572 Depth=3
	v_cmp_lt_u64_e32 vcc, s[88:89], v[2:3]
	v_add_u32_e32 v1, 15, v39
	v_cndmask_b32_e64 v16, 0, 1, vcc
	v_cndmask_b32_e32 v1, v18, v1, vcc
	v_lshrrev_b64 v[16:17], v16, v[2:3]
; %bb.2793:                             ;   in Loop: Header=BB2_2572 Depth=3
	s_andn2_saveexec_b64 s[40:41], s[40:41]
; %bb.2794:                             ;   in Loop: Header=BB2_2572 Depth=3
	v_mov_b32_e32 v17, v3
	v_bfe_u32 v1, v2, 23, 1
	v_mov_b32_e32 v16, v2
; %bb.2795:                             ;   in Loop: Header=BB2_2572 Depth=3
	s_or_b64 exec, exec, s[40:41]
	v_lshrrev_b64 v[16:17], 21, v[16:17]
	v_cmp_gt_i32_e32 vcc, 32, v1
	v_cndmask_b32_e32 v17, 0, v17, vcc
	v_cndmask_b32_e32 v16, 3, v16, vcc
	v_cmp_eq_u32_e32 vcc, 0, v1
	v_min_i32_e32 v1, 31, v1
	v_cmp_eq_u64_e64 s[40:41], 0, v[16:17]
	v_lshlrev_b32_e32 v1, 2, v1
	v_and_b32_e32 v1, 0xfc, v1
	v_and_or_b32 v1, v16, 3, v1
	s_and_b64 s[40:41], vcc, s[40:41]
	v_cndmask_b32_e64 v1, v1, 0, s[40:41]
	v_or_b32_e32 v18, v1, v25
.LBB2_2796:                             ;   in Loop: Header=BB2_2572 Depth=3
	s_or_b64 exec, exec, s[48:49]
                                        ; implicit-def: $vgpr25
.LBB2_2797:                             ;   in Loop: Header=BB2_2572 Depth=3
	s_andn2_saveexec_b64 s[40:41], s[38:39]
; %bb.2798:                             ;   in Loop: Header=BB2_2572 Depth=3
	v_or_b32_e32 v18, 0x7b, v25
; %bb.2799:                             ;   in Loop: Header=BB2_2572 Depth=3
	s_or_b64 exec, exec, s[40:41]
                                        ; implicit-def: $vgpr1
.LBB2_2800:                             ;   in Loop: Header=BB2_2572 Depth=3
	s_andn2_saveexec_b64 s[40:41], s[42:43]
	s_cbranch_execz .LBB2_2806
; %bb.2801:                             ;   in Loop: Header=BB2_2572 Depth=3
	v_cmp_ne_u64_e32 vcc, 0, v[2:3]
                                        ; implicit-def: $vgpr18
	s_and_saveexec_b64 s[42:43], vcc
	s_xor_b64 s[42:43], exec, s[42:43]
; %bb.2802:                             ;   in Loop: Header=BB2_2572 Depth=3
	v_or_b32_sdwa v18, v1, s81 dst_sel:DWORD dst_unused:UNUSED_PAD src0_sel:BYTE_3 src1_sel:DWORD
                                        ; implicit-def: $vgpr1
; %bb.2803:                             ;   in Loop: Header=BB2_2572 Depth=3
	s_andn2_saveexec_b64 s[42:43], s[42:43]
; %bb.2804:                             ;   in Loop: Header=BB2_2572 Depth=3
	v_cmp_lt_i32_e32 vcc, -1, v1
	v_cndmask_b32_e32 v18, v0, v49, vcc
; %bb.2805:                             ;   in Loop: Header=BB2_2572 Depth=3
	s_or_b64 exec, exec, s[42:43]
.LBB2_2806:                             ;   in Loop: Header=BB2_2572 Depth=3
	s_or_b64 exec, exec, s[40:41]
	v_cmp_lt_u64_e32 vcc, s[56:57], v[12:13]
	v_mov_b32_e32 v1, 0
	s_and_saveexec_b64 s[40:41], vcc
	s_cbranch_execz .LBB2_2814
; %bb.2807:                             ;   in Loop: Header=BB2_2572 Depth=3
	v_lshrrev_b32_e32 v2, 24, v13
	v_cmp_ne_u32_e32 vcc, s82, v2
	v_bfrev_b32_e32 v1, 1
	s_and_saveexec_b64 s[42:43], vcc
	s_cbranch_execz .LBB2_2813
; %bb.2808:                             ;   in Loop: Header=BB2_2572 Depth=3
	v_and_b32_e32 v1, 0x7c000000, v13
	v_bfe_u32 v16, v13, 24, 2
	v_cmp_ne_u32_e32 vcc, s83, v1
                                        ; implicit-def: $vgpr1
	s_and_saveexec_b64 s[38:39], vcc
	s_xor_b64 s[38:39], exec, s[38:39]
	s_cbranch_execz .LBB2_2810
; %bb.2809:                             ;   in Loop: Header=BB2_2572 Depth=3
	v_ffbh_u32_e32 v1, v16
	v_min_u32_e32 v25, 32, v1
	v_subrev_u32_e32 v1, 29, v25
	v_lshlrev_b64 v[1:2], v1, v[2:3]
	v_bfe_u32 v17, v13, 26, 5
	v_sub_u32_e32 v2, 30, v25
	v_and_b32_e32 v1, 3, v1
	v_cmp_eq_u32_e32 vcc, 0, v17
	v_cndmask_b32_e32 v2, v17, v2, vcc
	v_cndmask_b32_e32 v1, v16, v1, vcc
	v_and_b32_e32 v16, 0x80000000, v13
	v_lshl_add_u32 v2, v2, 23, v16
	v_lshl_or_b32 v1, v1, 21, v2
	v_add_u32_e32 v1, 0x38000000, v1
                                        ; implicit-def: $vgpr16
.LBB2_2810:                             ;   in Loop: Header=BB2_2572 Depth=3
	s_andn2_saveexec_b64 s[38:39], s[38:39]
; %bb.2811:                             ;   in Loop: Header=BB2_2572 Depth=3
	v_cmp_lt_i64_e32 vcc, -1, v[12:13]
	v_cndmask_b32_e32 v1, v27, v6, vcc
	v_cmp_eq_u32_e32 vcc, 0, v16
	v_cndmask_b32_e32 v1, v7, v1, vcc
; %bb.2812:                             ;   in Loop: Header=BB2_2572 Depth=3
	s_or_b64 exec, exec, s[38:39]
.LBB2_2813:                             ;   in Loop: Header=BB2_2572 Depth=3
	s_or_b64 exec, exec, s[42:43]
.LBB2_2814:                             ;   in Loop: Header=BB2_2572 Depth=3
	s_or_b64 exec, exec, s[40:41]
	v_bfe_u32 v16, v9, 24, 2
	v_and_b32_e32 v12, 0x7c000000, v9
	v_cmp_eq_u32_e32 vcc, s83, v12
	v_ffbh_u32_e32 v12, v16
	v_min_u32_e32 v25, 32, v12
	v_lshrrev_b32_e32 v2, 24, v9
	v_subrev_u32_e32 v12, 29, v25
	v_bfe_u32 v17, v9, 26, 5
	v_lshlrev_b64 v[12:13], v12, v[2:3]
	v_cmp_eq_u32_e64 s[40:41], 0, v17
	v_sub_u32_e32 v13, 30, v25
	v_and_b32_e32 v12, 3, v12
	v_cndmask_b32_e64 v13, v17, v13, s[40:41]
	v_and_b32_e32 v17, 0x80000000, v9
	v_cmp_lt_i64_e64 s[42:43], -1, v[8:9]
	v_cndmask_b32_e64 v12, v16, v12, s[40:41]
	v_lshl_add_u32 v13, v13, 23, v17
	v_lshl_or_b32 v12, v12, 21, v13
	v_cmp_eq_u32_e64 s[40:41], 0, v16
	v_cndmask_b32_e64 v13, v27, v6, s[42:43]
	v_add_u32_e32 v12, 0x38000000, v12
	v_cndmask_b32_e64 v13, v7, v13, s[40:41]
	v_cndmask_b32_e32 v12, v12, v13, vcc
	v_cmp_ne_u32_e32 vcc, s82, v2
	v_cndmask_b32_e32 v2, v53, v12, vcc
	v_cmp_lt_u64_e32 vcc, s[56:57], v[8:9]
	v_mov_b32_e32 v9, v3
	v_cndmask_b32_e32 v2, 0, v2, vcc
	v_mul_f32_e32 v1, v2, v1
	v_and_b32_e32 v8, 0x7f800000, v1
	v_cmp_ne_u64_e32 vcc, s[62:63], v[8:9]
	v_and_b32_e32 v2, 0x7fffff, v1
                                        ; implicit-def: $vgpr25
	s_and_saveexec_b64 s[40:41], vcc
	s_xor_b64 s[42:43], exec, s[40:41]
	s_cbranch_execz .LBB2_2828
; %bb.2815:                             ;   in Loop: Header=BB2_2572 Depth=3
	v_and_b32_e32 v8, 0x7fffffff, v1
	v_mov_b32_e32 v9, v3
	v_cmp_gt_u64_e32 vcc, s[78:79], v[8:9]
	v_and_b32_sdwa v16, v1, s82 dst_sel:DWORD dst_unused:UNUSED_PAD src0_sel:BYTE_3 src1_sel:DWORD
                                        ; implicit-def: $vgpr25
	s_and_saveexec_b64 s[40:41], vcc
	s_xor_b64 s[38:39], exec, s[40:41]
	s_cbranch_execz .LBB2_2825
; %bb.2816:                             ;   in Loop: Header=BB2_2572 Depth=3
	v_mov_b32_e32 v25, 0
	v_cmp_ne_u32_e32 vcc, 0, v1
	s_and_saveexec_b64 s[48:49], vcc
	s_cbranch_execz .LBB2_2824
; %bb.2817:                             ;   in Loop: Header=BB2_2572 Depth=3
	v_bfe_u32 v1, v1, 23, 8
	v_cmp_gt_u32_e64 s[40:41], s44, v1
	v_sub_u32_e32 v8, 0x71, v1
	v_cmp_eq_u32_e32 vcc, 0, v1
	v_cndmask_b32_e64 v8, 0, v8, s[40:41]
	v_mov_b32_e32 v12, 0x70
	v_cndmask_b32_e32 v17, v8, v12, vcc
	v_or_b32_e32 v9, 0x800000, v2
	v_add_u32_e32 v8, 21, v17
	v_cndmask_b32_e32 v2, v9, v2, vcc
	v_lshlrev_b64 v[8:9], v8, -1
	v_add_u32_e32 v12, 20, v17
	v_lshlrev_b64 v[12:13], v12, 1
	v_bfi_b32 v9, v9, 0, 0
	v_bfi_b32 v8, v8, 0, v2
	v_cmp_eq_u64_e64 s[40:41], v[8:9], v[12:13]
	v_lshrrev_b64 v[8:9], v17, v[2:3]
	v_mov_b32_e32 v13, v9
	v_mov_b32_e32 v12, v8
	s_and_saveexec_b64 s[50:51], s[40:41]
; %bb.2818:                             ;   in Loop: Header=BB2_2572 Depth=3
	v_bfe_u32 v2, v8, 21, 1
	v_add_co_u32_e64 v2, s[40:41], v8, v2
	v_add_co_u32_e64 v12, s[40:41], -1, v2
; %bb.2819:                             ;   in Loop: Header=BB2_2572 Depth=3
	s_or_b64 exec, exec, s[50:51]
	v_add_u32_e32 v1, 0xffffff81, v1
	v_mov_b32_e32 v2, 0xffffff82
	v_cndmask_b32_e32 v1, v1, v2, vcc
	v_lshrrev_b32_e32 v2, 23, v8
	v_add3_u32 v17, v17, v1, v2
	v_add_u32_e32 v13, 14, v17
	v_and_b32_e32 v1, 0x1fffff, v12
	v_add_u32_e32 v2, v1, v8
	v_cmp_ne_u32_e32 vcc, 0, v13
                                        ; implicit-def: $vgpr8_vgpr9
                                        ; implicit-def: $vgpr1
	s_and_saveexec_b64 s[40:41], vcc
	s_xor_b64 s[40:41], exec, s[40:41]
; %bb.2820:                             ;   in Loop: Header=BB2_2572 Depth=3
	v_cmp_lt_u64_e32 vcc, s[88:89], v[2:3]
	v_add_u32_e32 v1, 15, v17
	v_cndmask_b32_e64 v8, 0, 1, vcc
	v_cndmask_b32_e32 v1, v13, v1, vcc
	v_lshrrev_b64 v[8:9], v8, v[2:3]
; %bb.2821:                             ;   in Loop: Header=BB2_2572 Depth=3
	s_andn2_saveexec_b64 s[40:41], s[40:41]
; %bb.2822:                             ;   in Loop: Header=BB2_2572 Depth=3
	v_mov_b32_e32 v9, v3
	v_bfe_u32 v1, v2, 23, 1
	v_mov_b32_e32 v8, v2
; %bb.2823:                             ;   in Loop: Header=BB2_2572 Depth=3
	s_or_b64 exec, exec, s[40:41]
	v_lshrrev_b64 v[8:9], 21, v[8:9]
	v_cmp_gt_i32_e32 vcc, 32, v1
	v_cndmask_b32_e32 v9, 0, v9, vcc
	v_cndmask_b32_e32 v8, 3, v8, vcc
	v_cmp_eq_u32_e32 vcc, 0, v1
	v_min_i32_e32 v1, 31, v1
	v_cmp_eq_u64_e64 s[40:41], 0, v[8:9]
	v_lshlrev_b32_e32 v1, 2, v1
	v_and_b32_e32 v1, 0xfc, v1
	v_and_or_b32 v1, v8, 3, v1
	s_and_b64 s[40:41], vcc, s[40:41]
	v_cndmask_b32_e64 v1, v1, 0, s[40:41]
	v_or_b32_e32 v25, v1, v16
.LBB2_2824:                             ;   in Loop: Header=BB2_2572 Depth=3
	s_or_b64 exec, exec, s[48:49]
                                        ; implicit-def: $vgpr16
.LBB2_2825:                             ;   in Loop: Header=BB2_2572 Depth=3
	s_andn2_saveexec_b64 s[40:41], s[38:39]
; %bb.2826:                             ;   in Loop: Header=BB2_2572 Depth=3
	v_or_b32_e32 v25, 0x7b, v16
; %bb.2827:                             ;   in Loop: Header=BB2_2572 Depth=3
	s_or_b64 exec, exec, s[40:41]
                                        ; implicit-def: $vgpr1
.LBB2_2828:                             ;   in Loop: Header=BB2_2572 Depth=3
	s_andn2_saveexec_b64 s[40:41], s[42:43]
	s_cbranch_execz .LBB2_2834
; %bb.2829:                             ;   in Loop: Header=BB2_2572 Depth=3
	v_cmp_ne_u64_e32 vcc, 0, v[2:3]
                                        ; implicit-def: $vgpr25
	s_and_saveexec_b64 s[42:43], vcc
	s_xor_b64 s[42:43], exec, s[42:43]
; %bb.2830:                             ;   in Loop: Header=BB2_2572 Depth=3
	v_or_b32_sdwa v25, v1, s81 dst_sel:DWORD dst_unused:UNUSED_PAD src0_sel:BYTE_3 src1_sel:DWORD
                                        ; implicit-def: $vgpr1
; %bb.2831:                             ;   in Loop: Header=BB2_2572 Depth=3
	s_andn2_saveexec_b64 s[42:43], s[42:43]
; %bb.2832:                             ;   in Loop: Header=BB2_2572 Depth=3
	v_cmp_lt_i32_e32 vcc, -1, v1
	v_cndmask_b32_e32 v25, v0, v49, vcc
; %bb.2833:                             ;   in Loop: Header=BB2_2572 Depth=3
	s_or_b64 exec, exec, s[42:43]
.LBB2_2834:                             ;   in Loop: Header=BB2_2572 Depth=3
	s_or_b64 exec, exec, s[40:41]
	v_cmp_ne_u16_sdwa s[42:43], v14, v3 src0_sel:BYTE_0 src1_sel:DWORD
	v_mov_b32_e32 v1, 0
	s_and_saveexec_b64 s[40:41], s[42:43]
	s_cbranch_execz .LBB2_2842
; %bb.2835:                             ;   in Loop: Header=BB2_2572 Depth=3
	v_cmp_ne_u16_sdwa vcc, sext(v14), s70 src0_sel:BYTE_0 src1_sel:DWORD
	v_bfrev_b32_e32 v1, 1
	s_and_saveexec_b64 s[42:43], vcc
	s_cbranch_execz .LBB2_2841
; %bb.2836:                             ;   in Loop: Header=BB2_2572 Depth=3
	v_and_b32_e32 v1, 0x7c, v14
	v_and_b32_e32 v2, 3, v14
	v_cmp_ne_u32_e32 vcc, s71, v1
                                        ; implicit-def: $vgpr1
	s_and_saveexec_b64 s[38:39], vcc
	s_xor_b64 s[38:39], exec, s[38:39]
	s_cbranch_execz .LBB2_2838
; %bb.2837:                             ;   in Loop: Header=BB2_2572 Depth=3
	v_ffbh_u32_e32 v8, v2
	v_min_u32_e32 v12, 32, v8
	v_subrev_u32_e32 v8, 29, v12
	v_lshlrev_b64 v[8:9], v8, v[14:15]
	v_bfe_u32 v1, v14, 2, 5
	v_and_b32_e32 v8, 3, v8
	v_cmp_eq_u32_e32 vcc, 0, v1
	v_sub_u32_e32 v9, 30, v12
	v_cndmask_b32_e32 v2, v2, v8, vcc
	v_lshlrev_b32_e32 v8, 24, v14
	v_cndmask_b32_e32 v1, v1, v9, vcc
	v_and_b32_e32 v8, 0x80000000, v8
	v_lshl_add_u32 v1, v1, 23, v8
	v_lshl_or_b32 v1, v2, 21, v1
	v_add_u32_e32 v1, 0x38000000, v1
                                        ; implicit-def: $vgpr2
.LBB2_2838:                             ;   in Loop: Header=BB2_2572 Depth=3
	s_andn2_saveexec_b64 s[38:39], s[38:39]
; %bb.2839:                             ;   in Loop: Header=BB2_2572 Depth=3
	v_cmp_gt_i16_sdwa vcc, sext(v14), v26 src0_sel:BYTE_0 src1_sel:DWORD
	v_cndmask_b32_e32 v1, v27, v6, vcc
	v_cmp_eq_u32_e32 vcc, 0, v2
	v_cndmask_b32_e32 v1, v7, v1, vcc
; %bb.2840:                             ;   in Loop: Header=BB2_2572 Depth=3
	s_or_b64 exec, exec, s[38:39]
.LBB2_2841:                             ;   in Loop: Header=BB2_2572 Depth=3
	s_or_b64 exec, exec, s[42:43]
.LBB2_2842:                             ;   in Loop: Header=BB2_2572 Depth=3
	s_or_b64 exec, exec, s[40:41]
	v_cmp_gt_i16_sdwa s[42:43], v10, s81 src0_sel:BYTE_0 src1_sel:DWORD
	s_mov_b64 s[40:41], 0
	s_and_saveexec_b64 vcc, s[42:43]
	s_xor_b64 s[42:43], exec, vcc
	s_cbranch_execz .LBB2_3109
; %bb.2843:                             ;   in Loop: Header=BB2_2572 Depth=3
	v_cmp_eq_u16_sdwa s[38:39], v10, s82 src0_sel:BYTE_0 src1_sel:DWORD
	s_mov_b64 s[40:41], -1
	s_and_saveexec_b64 vcc, s[38:39]
; %bb.2844:                             ;   in Loop: Header=BB2_2572 Depth=3
	s_xor_b64 s[40:41], exec, -1
; %bb.2845:                             ;   in Loop: Header=BB2_2572 Depth=3
	s_or_b64 exec, exec, vcc
	s_and_b64 s[40:41], s[40:41], exec
	s_or_saveexec_b64 s[42:43], s[42:43]
	v_bfrev_b32_e32 v2, 1
	s_xor_b64 exec, exec, s[42:43]
	s_cbranch_execnz .LBB2_3110
.LBB2_2846:                             ;   in Loop: Header=BB2_2572 Depth=3
	s_or_b64 exec, exec, s[42:43]
	s_and_saveexec_b64 s[38:39], s[40:41]
	s_cbranch_execz .LBB2_2848
.LBB2_2847:                             ;   in Loop: Header=BB2_2572 Depth=3
	v_and_b32_e32 v2, 3, v10
	v_and_b32_e32 v8, 0x7c, v10
	v_cmp_eq_u32_e32 vcc, s71, v8
	v_ffbh_u32_e32 v8, v2
	v_min_u32_e32 v13, 32, v8
	v_subrev_u32_e32 v8, 29, v13
	v_bfe_u32 v12, v10, 2, 5
	v_lshlrev_b64 v[8:9], v8, v[10:11]
	v_cmp_eq_u32_e64 s[40:41], 0, v12
	v_sub_u32_e32 v9, 30, v13
	v_cndmask_b32_e64 v9, v12, v9, s[40:41]
	v_lshlrev_b32_e32 v12, 24, v10
	v_and_b32_e32 v8, 3, v8
	v_and_b32_e32 v12, 0x80000000, v12
	v_cndmask_b32_e64 v8, v2, v8, s[40:41]
	v_lshl_add_u32 v9, v9, 23, v12
	v_cmp_gt_i16_sdwa s[42:43], sext(v10), v26 src0_sel:BYTE_0 src1_sel:DWORD
	v_lshl_or_b32 v8, v8, 21, v9
	v_cmp_eq_u32_e64 s[40:41], 0, v2
	v_cndmask_b32_e64 v2, v27, v6, s[42:43]
	v_add_u32_e32 v8, 0x38000000, v8
	v_cndmask_b32_e64 v2, v7, v2, s[40:41]
	v_cndmask_b32_e32 v2, v8, v2, vcc
.LBB2_2848:                             ;   in Loop: Header=BB2_2572 Depth=3
	s_or_b64 exec, exec, s[38:39]
	v_mul_f32_e32 v1, v1, v2
	v_and_b32_e32 v8, 0x7f800000, v1
	v_mov_b32_e32 v9, v3
	v_cmp_ne_u64_e32 vcc, s[62:63], v[8:9]
	v_and_b32_e32 v2, 0x7fffff, v1
                                        ; implicit-def: $vgpr52
	s_and_saveexec_b64 s[40:41], vcc
	s_xor_b64 s[42:43], exec, s[40:41]
	s_cbranch_execz .LBB2_2862
; %bb.2849:                             ;   in Loop: Header=BB2_2572 Depth=3
	v_and_b32_e32 v8, 0x7fffffff, v1
	v_mov_b32_e32 v9, v3
	v_cmp_gt_u64_e32 vcc, s[78:79], v[8:9]
	v_and_b32_sdwa v16, v1, s82 dst_sel:DWORD dst_unused:UNUSED_PAD src0_sel:BYTE_3 src1_sel:DWORD
                                        ; implicit-def: $vgpr52
	s_and_saveexec_b64 s[40:41], vcc
	s_xor_b64 s[38:39], exec, s[40:41]
	s_cbranch_execz .LBB2_2859
; %bb.2850:                             ;   in Loop: Header=BB2_2572 Depth=3
	v_mov_b32_e32 v52, 0
	v_cmp_ne_u32_e32 vcc, 0, v1
	s_and_saveexec_b64 s[48:49], vcc
	s_cbranch_execz .LBB2_2858
; %bb.2851:                             ;   in Loop: Header=BB2_2572 Depth=3
	v_bfe_u32 v1, v1, 23, 8
	v_cmp_gt_u32_e64 s[40:41], s44, v1
	v_sub_u32_e32 v8, 0x71, v1
	v_cmp_eq_u32_e32 vcc, 0, v1
	v_cndmask_b32_e64 v8, 0, v8, s[40:41]
	v_mov_b32_e32 v12, 0x70
	v_cndmask_b32_e32 v17, v8, v12, vcc
	v_or_b32_e32 v9, 0x800000, v2
	v_add_u32_e32 v8, 21, v17
	v_cndmask_b32_e32 v2, v9, v2, vcc
	v_lshlrev_b64 v[8:9], v8, -1
	v_add_u32_e32 v12, 20, v17
	v_lshlrev_b64 v[12:13], v12, 1
	v_bfi_b32 v9, v9, 0, 0
	v_bfi_b32 v8, v8, 0, v2
	v_cmp_eq_u64_e64 s[40:41], v[8:9], v[12:13]
	v_lshrrev_b64 v[8:9], v17, v[2:3]
	v_mov_b32_e32 v13, v9
	v_mov_b32_e32 v12, v8
	s_and_saveexec_b64 s[50:51], s[40:41]
; %bb.2852:                             ;   in Loop: Header=BB2_2572 Depth=3
	v_bfe_u32 v2, v8, 21, 1
	v_add_co_u32_e64 v2, s[40:41], v8, v2
	v_add_co_u32_e64 v12, s[40:41], -1, v2
; %bb.2853:                             ;   in Loop: Header=BB2_2572 Depth=3
	s_or_b64 exec, exec, s[50:51]
	v_add_u32_e32 v1, 0xffffff81, v1
	v_mov_b32_e32 v2, 0xffffff82
	v_cndmask_b32_e32 v1, v1, v2, vcc
	v_lshrrev_b32_e32 v2, 23, v8
	v_add3_u32 v17, v17, v1, v2
	v_add_u32_e32 v13, 14, v17
	v_and_b32_e32 v1, 0x1fffff, v12
	v_add_u32_e32 v2, v1, v8
	v_cmp_ne_u32_e32 vcc, 0, v13
                                        ; implicit-def: $vgpr8_vgpr9
                                        ; implicit-def: $vgpr1
	s_and_saveexec_b64 s[40:41], vcc
	s_xor_b64 s[40:41], exec, s[40:41]
; %bb.2854:                             ;   in Loop: Header=BB2_2572 Depth=3
	v_cmp_lt_u64_e32 vcc, s[88:89], v[2:3]
	v_add_u32_e32 v1, 15, v17
	v_cndmask_b32_e64 v8, 0, 1, vcc
	v_cndmask_b32_e32 v1, v13, v1, vcc
	v_lshrrev_b64 v[8:9], v8, v[2:3]
; %bb.2855:                             ;   in Loop: Header=BB2_2572 Depth=3
	s_andn2_saveexec_b64 s[40:41], s[40:41]
; %bb.2856:                             ;   in Loop: Header=BB2_2572 Depth=3
	v_mov_b32_e32 v9, v3
	v_bfe_u32 v1, v2, 23, 1
	v_mov_b32_e32 v8, v2
; %bb.2857:                             ;   in Loop: Header=BB2_2572 Depth=3
	s_or_b64 exec, exec, s[40:41]
	v_lshrrev_b64 v[8:9], 21, v[8:9]
	v_cmp_gt_i32_e32 vcc, 32, v1
	v_cndmask_b32_e32 v9, 0, v9, vcc
	v_cndmask_b32_e32 v8, 3, v8, vcc
	v_cmp_eq_u32_e32 vcc, 0, v1
	v_min_i32_e32 v1, 31, v1
	v_cmp_eq_u64_e64 s[40:41], 0, v[8:9]
	v_lshlrev_b32_e32 v1, 2, v1
	v_and_b32_e32 v1, 0xfc, v1
	v_and_or_b32 v1, v8, 3, v1
	s_and_b64 s[40:41], vcc, s[40:41]
	v_cndmask_b32_e64 v1, v1, 0, s[40:41]
	v_or_b32_e32 v52, v1, v16
.LBB2_2858:                             ;   in Loop: Header=BB2_2572 Depth=3
	s_or_b64 exec, exec, s[48:49]
                                        ; implicit-def: $vgpr16
.LBB2_2859:                             ;   in Loop: Header=BB2_2572 Depth=3
	s_andn2_saveexec_b64 s[40:41], s[38:39]
; %bb.2860:                             ;   in Loop: Header=BB2_2572 Depth=3
	v_or_b32_e32 v52, 0x7b, v16
; %bb.2861:                             ;   in Loop: Header=BB2_2572 Depth=3
	s_or_b64 exec, exec, s[40:41]
                                        ; implicit-def: $vgpr1
.LBB2_2862:                             ;   in Loop: Header=BB2_2572 Depth=3
	s_andn2_saveexec_b64 s[40:41], s[42:43]
	s_cbranch_execz .LBB2_2868
; %bb.2863:                             ;   in Loop: Header=BB2_2572 Depth=3
	v_cmp_ne_u64_e32 vcc, 0, v[2:3]
                                        ; implicit-def: $vgpr52
	s_and_saveexec_b64 s[42:43], vcc
	s_xor_b64 s[42:43], exec, s[42:43]
; %bb.2864:                             ;   in Loop: Header=BB2_2572 Depth=3
	v_or_b32_sdwa v52, v1, s81 dst_sel:DWORD dst_unused:UNUSED_PAD src0_sel:BYTE_3 src1_sel:DWORD
                                        ; implicit-def: $vgpr1
; %bb.2865:                             ;   in Loop: Header=BB2_2572 Depth=3
	s_andn2_saveexec_b64 s[42:43], s[42:43]
; %bb.2866:                             ;   in Loop: Header=BB2_2572 Depth=3
	v_cmp_lt_i32_e32 vcc, -1, v1
	v_cndmask_b32_e32 v52, v0, v49, vcc
; %bb.2867:                             ;   in Loop: Header=BB2_2572 Depth=3
	s_or_b64 exec, exec, s[42:43]
.LBB2_2868:                             ;   in Loop: Header=BB2_2572 Depth=3
	s_or_b64 exec, exec, s[40:41]
	v_lshrrev_b16_e32 v2, 8, v14
	v_cmp_ne_u16_e32 vcc, 0, v2
	v_mov_b32_e32 v1, 0
	s_and_saveexec_b64 s[40:41], vcc
	s_cbranch_execz .LBB2_2876
; %bb.2869:                             ;   in Loop: Header=BB2_2572 Depth=3
	v_cmp_ne_u16_e32 vcc, s82, v2
	v_bfrev_b32_e32 v1, 1
	s_and_saveexec_b64 s[42:43], vcc
	s_cbranch_execz .LBB2_2875
; %bb.2870:                             ;   in Loop: Header=BB2_2572 Depth=3
	v_and_b32_e32 v1, 0x7c, v2
	v_and_b32_e32 v8, 3, v2
	v_cmp_ne_u32_e32 vcc, s71, v1
                                        ; implicit-def: $vgpr1
	s_and_saveexec_b64 s[38:39], vcc
	s_xor_b64 s[38:39], exec, s[38:39]
	s_cbranch_execz .LBB2_2872
; %bb.2871:                             ;   in Loop: Header=BB2_2572 Depth=3
	v_ffbh_u32_e32 v1, v8
	v_min_u32_e32 v12, 32, v1
	v_subrev_u32_e32 v1, 29, v12
	v_bfe_u32 v9, v2, 2, 5
	v_lshlrev_b64 v[1:2], v1, v[2:3]
	v_cmp_eq_u32_e32 vcc, 0, v9
	v_and_b32_e32 v1, 3, v1
	v_sub_u32_e32 v2, 30, v12
	v_cndmask_b32_e32 v1, v8, v1, vcc
	v_lshlrev_b32_e32 v8, 16, v14
	v_cndmask_b32_e32 v2, v9, v2, vcc
	v_and_b32_e32 v8, 0x80000000, v8
	v_lshl_add_u32 v2, v2, 23, v8
	v_lshl_or_b32 v1, v1, 21, v2
	v_add_u32_e32 v1, 0x38000000, v1
                                        ; implicit-def: $vgpr8
.LBB2_2872:                             ;   in Loop: Header=BB2_2572 Depth=3
	s_andn2_saveexec_b64 s[38:39], s[38:39]
; %bb.2873:                             ;   in Loop: Header=BB2_2572 Depth=3
	v_cmp_lt_i16_e32 vcc, -1, v14
	v_cndmask_b32_e32 v1, v27, v6, vcc
	v_cmp_eq_u32_e32 vcc, 0, v8
	v_cndmask_b32_e32 v1, v7, v1, vcc
; %bb.2874:                             ;   in Loop: Header=BB2_2572 Depth=3
	s_or_b64 exec, exec, s[38:39]
.LBB2_2875:                             ;   in Loop: Header=BB2_2572 Depth=3
	s_or_b64 exec, exec, s[42:43]
.LBB2_2876:                             ;   in Loop: Header=BB2_2572 Depth=3
	s_or_b64 exec, exec, s[40:41]
	v_lshrrev_b16_e32 v2, 8, v10
	v_cmp_lt_i16_e32 vcc, s81, v2
	s_mov_b64 s[40:41], 0
	s_and_saveexec_b64 s[42:43], vcc
	s_xor_b64 s[42:43], exec, s[42:43]
	s_cbranch_execz .LBB2_3111
; %bb.2877:                             ;   in Loop: Header=BB2_2572 Depth=3
	v_cmp_eq_u16_e32 vcc, s82, v2
	s_mov_b64 s[40:41], -1
	s_and_saveexec_b64 s[38:39], vcc
; %bb.2878:                             ;   in Loop: Header=BB2_2572 Depth=3
	s_xor_b64 s[40:41], exec, -1
; %bb.2879:                             ;   in Loop: Header=BB2_2572 Depth=3
	s_or_b64 exec, exec, s[38:39]
	s_and_b64 s[40:41], s[40:41], exec
	s_or_saveexec_b64 s[42:43], s[42:43]
	v_bfrev_b32_e32 v8, 1
	s_xor_b64 exec, exec, s[42:43]
	s_cbranch_execnz .LBB2_3112
.LBB2_2880:                             ;   in Loop: Header=BB2_2572 Depth=3
	s_or_b64 exec, exec, s[42:43]
	s_and_saveexec_b64 s[38:39], s[40:41]
	s_cbranch_execz .LBB2_2882
.LBB2_2881:                             ;   in Loop: Header=BB2_2572 Depth=3
	v_and_b32_e32 v12, 3, v2
	v_and_b32_e32 v8, 0x7c, v2
	v_cmp_eq_u32_e32 vcc, s71, v8
	v_ffbh_u32_e32 v8, v12
	v_min_u32_e32 v16, 32, v8
	v_subrev_u32_e32 v8, 29, v16
	v_bfe_u32 v13, v2, 2, 5
	v_lshlrev_b64 v[8:9], v8, v[2:3]
	v_cmp_eq_u32_e64 s[40:41], 0, v13
	v_sub_u32_e32 v9, 30, v16
	v_lshlrev_b32_e32 v2, 24, v2
	v_and_b32_e32 v8, 3, v8
	v_cndmask_b32_e64 v9, v13, v9, s[40:41]
	v_and_b32_e32 v2, 0x80000000, v2
	v_cndmask_b32_e64 v8, v12, v8, s[40:41]
	v_lshl_add_u32 v2, v9, 23, v2
	v_cmp_lt_i16_e64 s[42:43], -1, v10
	v_lshl_or_b32 v2, v8, 21, v2
	v_cmp_eq_u32_e64 s[40:41], 0, v12
	v_cndmask_b32_e64 v8, v27, v6, s[42:43]
	v_add_u32_e32 v2, 0x38000000, v2
	v_cndmask_b32_e64 v8, v7, v8, s[40:41]
	v_cndmask_b32_e32 v8, v2, v8, vcc
.LBB2_2882:                             ;   in Loop: Header=BB2_2572 Depth=3
	s_or_b64 exec, exec, s[38:39]
	v_mul_f32_e32 v1, v1, v8
	v_and_b32_e32 v8, 0x7f800000, v1
	v_mov_b32_e32 v9, v3
	v_cmp_ne_u64_e32 vcc, s[62:63], v[8:9]
	v_and_b32_e32 v2, 0x7fffff, v1
                                        ; implicit-def: $vgpr40
	s_and_saveexec_b64 s[40:41], vcc
	s_xor_b64 s[42:43], exec, s[40:41]
	s_cbranch_execz .LBB2_2896
; %bb.2883:                             ;   in Loop: Header=BB2_2572 Depth=3
	v_and_b32_e32 v8, 0x7fffffff, v1
	v_mov_b32_e32 v9, v3
	v_cmp_gt_u64_e32 vcc, s[78:79], v[8:9]
	v_and_b32_sdwa v16, v1, s82 dst_sel:DWORD dst_unused:UNUSED_PAD src0_sel:BYTE_3 src1_sel:DWORD
                                        ; implicit-def: $vgpr40
	s_and_saveexec_b64 s[40:41], vcc
	s_xor_b64 s[38:39], exec, s[40:41]
	s_cbranch_execz .LBB2_2893
; %bb.2884:                             ;   in Loop: Header=BB2_2572 Depth=3
	v_mov_b32_e32 v40, 0
	v_cmp_ne_u32_e32 vcc, 0, v1
	s_and_saveexec_b64 s[48:49], vcc
	s_cbranch_execz .LBB2_2892
; %bb.2885:                             ;   in Loop: Header=BB2_2572 Depth=3
	v_bfe_u32 v1, v1, 23, 8
	v_cmp_gt_u32_e64 s[40:41], s44, v1
	v_sub_u32_e32 v8, 0x71, v1
	v_cmp_eq_u32_e32 vcc, 0, v1
	v_cndmask_b32_e64 v8, 0, v8, s[40:41]
	v_mov_b32_e32 v12, 0x70
	v_cndmask_b32_e32 v17, v8, v12, vcc
	v_or_b32_e32 v9, 0x800000, v2
	v_add_u32_e32 v8, 21, v17
	v_cndmask_b32_e32 v2, v9, v2, vcc
	v_lshlrev_b64 v[8:9], v8, -1
	v_add_u32_e32 v12, 20, v17
	v_lshlrev_b64 v[12:13], v12, 1
	v_bfi_b32 v9, v9, 0, 0
	v_bfi_b32 v8, v8, 0, v2
	v_cmp_eq_u64_e64 s[40:41], v[8:9], v[12:13]
	v_lshrrev_b64 v[8:9], v17, v[2:3]
	v_mov_b32_e32 v13, v9
	v_mov_b32_e32 v12, v8
	s_and_saveexec_b64 s[50:51], s[40:41]
; %bb.2886:                             ;   in Loop: Header=BB2_2572 Depth=3
	v_bfe_u32 v2, v8, 21, 1
	v_add_co_u32_e64 v2, s[40:41], v8, v2
	v_add_co_u32_e64 v12, s[40:41], -1, v2
; %bb.2887:                             ;   in Loop: Header=BB2_2572 Depth=3
	s_or_b64 exec, exec, s[50:51]
	v_add_u32_e32 v1, 0xffffff81, v1
	v_mov_b32_e32 v2, 0xffffff82
	v_cndmask_b32_e32 v1, v1, v2, vcc
	v_lshrrev_b32_e32 v2, 23, v8
	v_add3_u32 v17, v17, v1, v2
	v_add_u32_e32 v13, 14, v17
	v_and_b32_e32 v1, 0x1fffff, v12
	v_add_u32_e32 v2, v1, v8
	v_cmp_ne_u32_e32 vcc, 0, v13
                                        ; implicit-def: $vgpr8_vgpr9
                                        ; implicit-def: $vgpr1
	s_and_saveexec_b64 s[40:41], vcc
	s_xor_b64 s[40:41], exec, s[40:41]
; %bb.2888:                             ;   in Loop: Header=BB2_2572 Depth=3
	v_cmp_lt_u64_e32 vcc, s[88:89], v[2:3]
	v_add_u32_e32 v1, 15, v17
	v_cndmask_b32_e64 v8, 0, 1, vcc
	v_cndmask_b32_e32 v1, v13, v1, vcc
	v_lshrrev_b64 v[8:9], v8, v[2:3]
; %bb.2889:                             ;   in Loop: Header=BB2_2572 Depth=3
	s_andn2_saveexec_b64 s[40:41], s[40:41]
; %bb.2890:                             ;   in Loop: Header=BB2_2572 Depth=3
	v_mov_b32_e32 v9, v3
	v_bfe_u32 v1, v2, 23, 1
	v_mov_b32_e32 v8, v2
; %bb.2891:                             ;   in Loop: Header=BB2_2572 Depth=3
	s_or_b64 exec, exec, s[40:41]
	v_lshrrev_b64 v[8:9], 21, v[8:9]
	v_cmp_gt_i32_e32 vcc, 32, v1
	v_cndmask_b32_e32 v9, 0, v9, vcc
	v_cndmask_b32_e32 v8, 3, v8, vcc
	v_cmp_eq_u32_e32 vcc, 0, v1
	v_min_i32_e32 v1, 31, v1
	v_cmp_eq_u64_e64 s[40:41], 0, v[8:9]
	v_lshlrev_b32_e32 v1, 2, v1
	v_and_b32_e32 v1, 0xfc, v1
	v_and_or_b32 v1, v8, 3, v1
	s_and_b64 s[40:41], vcc, s[40:41]
	v_cndmask_b32_e64 v1, v1, 0, s[40:41]
	v_or_b32_e32 v40, v1, v16
.LBB2_2892:                             ;   in Loop: Header=BB2_2572 Depth=3
	s_or_b64 exec, exec, s[48:49]
                                        ; implicit-def: $vgpr16
.LBB2_2893:                             ;   in Loop: Header=BB2_2572 Depth=3
	s_andn2_saveexec_b64 s[40:41], s[38:39]
; %bb.2894:                             ;   in Loop: Header=BB2_2572 Depth=3
	v_or_b32_e32 v40, 0x7b, v16
; %bb.2895:                             ;   in Loop: Header=BB2_2572 Depth=3
	s_or_b64 exec, exec, s[40:41]
                                        ; implicit-def: $vgpr1
.LBB2_2896:                             ;   in Loop: Header=BB2_2572 Depth=3
	s_andn2_saveexec_b64 s[40:41], s[42:43]
	s_cbranch_execz .LBB2_2902
; %bb.2897:                             ;   in Loop: Header=BB2_2572 Depth=3
	v_cmp_ne_u64_e32 vcc, 0, v[2:3]
                                        ; implicit-def: $vgpr40
	s_and_saveexec_b64 s[42:43], vcc
	s_xor_b64 s[42:43], exec, s[42:43]
; %bb.2898:                             ;   in Loop: Header=BB2_2572 Depth=3
	v_or_b32_sdwa v40, v1, s81 dst_sel:DWORD dst_unused:UNUSED_PAD src0_sel:BYTE_3 src1_sel:DWORD
                                        ; implicit-def: $vgpr1
; %bb.2899:                             ;   in Loop: Header=BB2_2572 Depth=3
	s_andn2_saveexec_b64 s[42:43], s[42:43]
; %bb.2900:                             ;   in Loop: Header=BB2_2572 Depth=3
	v_cmp_lt_i32_e32 vcc, -1, v1
	v_cndmask_b32_e32 v40, v0, v49, vcc
; %bb.2901:                             ;   in Loop: Header=BB2_2572 Depth=3
	s_or_b64 exec, exec, s[42:43]
.LBB2_2902:                             ;   in Loop: Header=BB2_2572 Depth=3
	s_or_b64 exec, exec, s[40:41]
	v_lshrrev_b32_e32 v2, 16, v14
	v_cmp_ne_u16_sdwa s[42:43], v2, v3 src0_sel:BYTE_0 src1_sel:DWORD
	v_mov_b32_e32 v1, 0
	s_and_saveexec_b64 s[40:41], s[42:43]
	s_cbranch_execz .LBB2_2910
; %bb.2903:                             ;   in Loop: Header=BB2_2572 Depth=3
	v_cmp_ne_u16_sdwa vcc, v2, s82 src0_sel:BYTE_0 src1_sel:DWORD
	v_bfrev_b32_e32 v1, 1
	s_and_saveexec_b64 s[42:43], vcc
	s_cbranch_execz .LBB2_2909
; %bb.2904:                             ;   in Loop: Header=BB2_2572 Depth=3
	v_and_b32_e32 v1, 0x7c0000, v14
	v_bfe_u32 v8, v14, 16, 2
	v_cmp_ne_u32_e32 vcc, s45, v1
                                        ; implicit-def: $vgpr1
	s_and_saveexec_b64 s[38:39], vcc
	s_xor_b64 s[38:39], exec, s[38:39]
	s_cbranch_execz .LBB2_2906
; %bb.2905:                             ;   in Loop: Header=BB2_2572 Depth=3
	v_ffbh_u32_e32 v1, v8
	v_min_u32_e32 v12, 32, v1
	v_subrev_u32_e32 v1, 29, v12
	v_lshlrev_b64 v[1:2], v1, v[2:3]
	v_bfe_u32 v9, v14, 18, 5
	v_and_b32_e32 v1, 3, v1
	v_cmp_eq_u32_e32 vcc, 0, v9
	v_sub_u32_e32 v2, 30, v12
	v_cndmask_b32_e32 v1, v8, v1, vcc
	v_lshlrev_b32_e32 v8, 8, v14
	v_cndmask_b32_e32 v2, v9, v2, vcc
	v_and_b32_e32 v8, 0x80000000, v8
	v_lshl_add_u32 v2, v2, 23, v8
	v_lshl_or_b32 v1, v1, 21, v2
	v_add_u32_e32 v1, 0x38000000, v1
                                        ; implicit-def: $vgpr8
                                        ; implicit-def: $vgpr2
.LBB2_2906:                             ;   in Loop: Header=BB2_2572 Depth=3
	s_andn2_saveexec_b64 s[38:39], s[38:39]
; %bb.2907:                             ;   in Loop: Header=BB2_2572 Depth=3
	v_cmp_gt_i16_sdwa vcc, sext(v2), v26 src0_sel:BYTE_0 src1_sel:DWORD
	v_cndmask_b32_e32 v1, v27, v6, vcc
	v_cmp_eq_u32_e32 vcc, 0, v8
	v_cndmask_b32_e32 v1, v7, v1, vcc
; %bb.2908:                             ;   in Loop: Header=BB2_2572 Depth=3
	s_or_b64 exec, exec, s[38:39]
.LBB2_2909:                             ;   in Loop: Header=BB2_2572 Depth=3
	s_or_b64 exec, exec, s[42:43]
.LBB2_2910:                             ;   in Loop: Header=BB2_2572 Depth=3
	s_or_b64 exec, exec, s[40:41]
	v_lshrrev_b32_e32 v2, 16, v10
	v_cmp_gt_i16_sdwa s[42:43], v2, s81 src0_sel:BYTE_0 src1_sel:DWORD
	s_mov_b64 s[40:41], 0
	s_and_saveexec_b64 vcc, s[42:43]
	s_xor_b64 s[42:43], exec, vcc
	s_cbranch_execz .LBB2_3113
; %bb.2911:                             ;   in Loop: Header=BB2_2572 Depth=3
	v_cmp_eq_u16_sdwa s[38:39], v2, s82 src0_sel:BYTE_0 src1_sel:DWORD
	s_mov_b64 s[40:41], -1
	s_and_saveexec_b64 vcc, s[38:39]
; %bb.2912:                             ;   in Loop: Header=BB2_2572 Depth=3
	s_xor_b64 s[40:41], exec, -1
; %bb.2913:                             ;   in Loop: Header=BB2_2572 Depth=3
	s_or_b64 exec, exec, vcc
	s_and_b64 s[40:41], s[40:41], exec
	s_or_saveexec_b64 s[42:43], s[42:43]
	v_bfrev_b32_e32 v8, 1
	s_xor_b64 exec, exec, s[42:43]
	s_cbranch_execnz .LBB2_3114
.LBB2_2914:                             ;   in Loop: Header=BB2_2572 Depth=3
	s_or_b64 exec, exec, s[42:43]
	s_and_saveexec_b64 s[38:39], s[40:41]
	s_cbranch_execz .LBB2_2916
.LBB2_2915:                             ;   in Loop: Header=BB2_2572 Depth=3
	v_and_b32_e32 v12, 3, v2
	v_and_b32_e32 v8, 0x7c0000, v10
	v_cmp_eq_u32_e32 vcc, s45, v8
	v_ffbh_u32_e32 v8, v12
	v_min_u32_e32 v16, 32, v8
	v_subrev_u32_e32 v8, 29, v16
	v_bfe_u32 v13, v10, 18, 5
	v_lshlrev_b64 v[8:9], v8, v[2:3]
	v_cmp_eq_u32_e64 s[40:41], 0, v13
	v_sub_u32_e32 v9, 30, v16
	v_cndmask_b32_e64 v9, v13, v9, s[40:41]
	v_lshlrev_b32_e32 v13, 24, v2
	v_and_b32_e32 v8, 3, v8
	v_and_b32_e32 v13, 0x80000000, v13
	v_cndmask_b32_e64 v8, v12, v8, s[40:41]
	v_lshl_add_u32 v9, v9, 23, v13
	v_cmp_gt_i16_sdwa s[42:43], sext(v2), v26 src0_sel:BYTE_0 src1_sel:DWORD
	v_lshl_or_b32 v8, v8, 21, v9
	v_cmp_eq_u32_e64 s[40:41], 0, v12
	v_cndmask_b32_e64 v2, v27, v6, s[42:43]
	v_add_u32_e32 v8, 0x38000000, v8
	v_cndmask_b32_e64 v2, v7, v2, s[40:41]
	v_cndmask_b32_e32 v8, v8, v2, vcc
.LBB2_2916:                             ;   in Loop: Header=BB2_2572 Depth=3
	s_or_b64 exec, exec, s[38:39]
	v_mul_f32_e32 v1, v1, v8
	v_and_b32_e32 v8, 0x7f800000, v1
	v_mov_b32_e32 v9, v3
	v_cmp_ne_u64_e32 vcc, s[62:63], v[8:9]
	v_and_b32_e32 v2, 0x7fffff, v1
                                        ; implicit-def: $vgpr41
	s_and_saveexec_b64 s[40:41], vcc
	s_xor_b64 s[42:43], exec, s[40:41]
	s_cbranch_execz .LBB2_2930
; %bb.2917:                             ;   in Loop: Header=BB2_2572 Depth=3
	v_and_b32_e32 v8, 0x7fffffff, v1
	v_mov_b32_e32 v9, v3
	v_cmp_gt_u64_e32 vcc, s[78:79], v[8:9]
	v_and_b32_sdwa v16, v1, s82 dst_sel:DWORD dst_unused:UNUSED_PAD src0_sel:BYTE_3 src1_sel:DWORD
                                        ; implicit-def: $vgpr41
	s_and_saveexec_b64 s[40:41], vcc
	s_xor_b64 s[38:39], exec, s[40:41]
	s_cbranch_execz .LBB2_2927
; %bb.2918:                             ;   in Loop: Header=BB2_2572 Depth=3
	v_mov_b32_e32 v41, 0
	v_cmp_ne_u32_e32 vcc, 0, v1
	s_and_saveexec_b64 s[48:49], vcc
	s_cbranch_execz .LBB2_2926
; %bb.2919:                             ;   in Loop: Header=BB2_2572 Depth=3
	v_bfe_u32 v1, v1, 23, 8
	v_cmp_gt_u32_e64 s[40:41], s44, v1
	v_sub_u32_e32 v8, 0x71, v1
	v_cmp_eq_u32_e32 vcc, 0, v1
	v_cndmask_b32_e64 v8, 0, v8, s[40:41]
	v_mov_b32_e32 v12, 0x70
	v_cndmask_b32_e32 v17, v8, v12, vcc
	v_or_b32_e32 v9, 0x800000, v2
	v_add_u32_e32 v8, 21, v17
	v_cndmask_b32_e32 v2, v9, v2, vcc
	v_lshlrev_b64 v[8:9], v8, -1
	v_add_u32_e32 v12, 20, v17
	v_lshlrev_b64 v[12:13], v12, 1
	v_bfi_b32 v9, v9, 0, 0
	v_bfi_b32 v8, v8, 0, v2
	v_cmp_eq_u64_e64 s[40:41], v[8:9], v[12:13]
	v_lshrrev_b64 v[8:9], v17, v[2:3]
	v_mov_b32_e32 v13, v9
	v_mov_b32_e32 v12, v8
	s_and_saveexec_b64 s[50:51], s[40:41]
; %bb.2920:                             ;   in Loop: Header=BB2_2572 Depth=3
	v_bfe_u32 v2, v8, 21, 1
	v_add_co_u32_e64 v2, s[40:41], v8, v2
	v_add_co_u32_e64 v12, s[40:41], -1, v2
; %bb.2921:                             ;   in Loop: Header=BB2_2572 Depth=3
	s_or_b64 exec, exec, s[50:51]
	v_add_u32_e32 v1, 0xffffff81, v1
	v_mov_b32_e32 v2, 0xffffff82
	v_cndmask_b32_e32 v1, v1, v2, vcc
	v_lshrrev_b32_e32 v2, 23, v8
	v_add3_u32 v17, v17, v1, v2
	v_add_u32_e32 v13, 14, v17
	v_and_b32_e32 v1, 0x1fffff, v12
	v_add_u32_e32 v2, v1, v8
	v_cmp_ne_u32_e32 vcc, 0, v13
                                        ; implicit-def: $vgpr8_vgpr9
                                        ; implicit-def: $vgpr1
	s_and_saveexec_b64 s[40:41], vcc
	s_xor_b64 s[40:41], exec, s[40:41]
; %bb.2922:                             ;   in Loop: Header=BB2_2572 Depth=3
	v_cmp_lt_u64_e32 vcc, s[88:89], v[2:3]
	v_add_u32_e32 v1, 15, v17
	v_cndmask_b32_e64 v8, 0, 1, vcc
	v_cndmask_b32_e32 v1, v13, v1, vcc
	v_lshrrev_b64 v[8:9], v8, v[2:3]
; %bb.2923:                             ;   in Loop: Header=BB2_2572 Depth=3
	s_andn2_saveexec_b64 s[40:41], s[40:41]
; %bb.2924:                             ;   in Loop: Header=BB2_2572 Depth=3
	v_mov_b32_e32 v9, v3
	v_bfe_u32 v1, v2, 23, 1
	v_mov_b32_e32 v8, v2
; %bb.2925:                             ;   in Loop: Header=BB2_2572 Depth=3
	s_or_b64 exec, exec, s[40:41]
	v_lshrrev_b64 v[8:9], 21, v[8:9]
	v_cmp_gt_i32_e32 vcc, 32, v1
	v_cndmask_b32_e32 v9, 0, v9, vcc
	v_cndmask_b32_e32 v8, 3, v8, vcc
	v_cmp_eq_u32_e32 vcc, 0, v1
	v_min_i32_e32 v1, 31, v1
	v_cmp_eq_u64_e64 s[40:41], 0, v[8:9]
	v_lshlrev_b32_e32 v1, 2, v1
	v_and_b32_e32 v1, 0xfc, v1
	v_and_or_b32 v1, v8, 3, v1
	s_and_b64 s[40:41], vcc, s[40:41]
	v_cndmask_b32_e64 v1, v1, 0, s[40:41]
	v_or_b32_e32 v41, v1, v16
.LBB2_2926:                             ;   in Loop: Header=BB2_2572 Depth=3
	s_or_b64 exec, exec, s[48:49]
                                        ; implicit-def: $vgpr16
.LBB2_2927:                             ;   in Loop: Header=BB2_2572 Depth=3
	s_andn2_saveexec_b64 s[40:41], s[38:39]
; %bb.2928:                             ;   in Loop: Header=BB2_2572 Depth=3
	v_or_b32_e32 v41, 0x7b, v16
; %bb.2929:                             ;   in Loop: Header=BB2_2572 Depth=3
	s_or_b64 exec, exec, s[40:41]
                                        ; implicit-def: $vgpr1
.LBB2_2930:                             ;   in Loop: Header=BB2_2572 Depth=3
	s_andn2_saveexec_b64 s[40:41], s[42:43]
	s_cbranch_execz .LBB2_2936
; %bb.2931:                             ;   in Loop: Header=BB2_2572 Depth=3
	v_cmp_ne_u64_e32 vcc, 0, v[2:3]
                                        ; implicit-def: $vgpr41
	s_and_saveexec_b64 s[42:43], vcc
	s_xor_b64 s[42:43], exec, s[42:43]
; %bb.2932:                             ;   in Loop: Header=BB2_2572 Depth=3
	v_or_b32_sdwa v41, v1, s81 dst_sel:DWORD dst_unused:UNUSED_PAD src0_sel:BYTE_3 src1_sel:DWORD
                                        ; implicit-def: $vgpr1
; %bb.2933:                             ;   in Loop: Header=BB2_2572 Depth=3
	s_andn2_saveexec_b64 s[42:43], s[42:43]
; %bb.2934:                             ;   in Loop: Header=BB2_2572 Depth=3
	v_cmp_lt_i32_e32 vcc, -1, v1
	v_cndmask_b32_e32 v41, v0, v49, vcc
; %bb.2935:                             ;   in Loop: Header=BB2_2572 Depth=3
	s_or_b64 exec, exec, s[42:43]
.LBB2_2936:                             ;   in Loop: Header=BB2_2572 Depth=3
	s_or_b64 exec, exec, s[40:41]
	v_cmp_lt_u32_e32 vcc, s57, v14
	v_mov_b32_e32 v1, 0
	s_and_saveexec_b64 s[40:41], vcc
	s_cbranch_execz .LBB2_2944
; %bb.2937:                             ;   in Loop: Header=BB2_2572 Depth=3
	v_lshrrev_b32_e32 v2, 24, v14
	v_cmp_ne_u32_e32 vcc, s82, v2
	v_bfrev_b32_e32 v1, 1
	s_and_saveexec_b64 s[42:43], vcc
	s_cbranch_execz .LBB2_2943
; %bb.2938:                             ;   in Loop: Header=BB2_2572 Depth=3
	v_and_b32_e32 v1, 0x7c000000, v14
	v_bfe_u32 v8, v14, 24, 2
	v_cmp_ne_u32_e32 vcc, s83, v1
                                        ; implicit-def: $vgpr1
	s_and_saveexec_b64 s[38:39], vcc
	s_xor_b64 s[38:39], exec, s[38:39]
	s_cbranch_execz .LBB2_2940
; %bb.2939:                             ;   in Loop: Header=BB2_2572 Depth=3
	v_ffbh_u32_e32 v1, v8
	v_min_u32_e32 v12, 32, v1
	v_subrev_u32_e32 v1, 29, v12
	v_lshlrev_b64 v[1:2], v1, v[2:3]
	v_bfe_u32 v9, v14, 26, 5
	v_sub_u32_e32 v2, 30, v12
	v_and_b32_e32 v1, 3, v1
	v_cmp_eq_u32_e32 vcc, 0, v9
	v_cndmask_b32_e32 v2, v9, v2, vcc
	v_cndmask_b32_e32 v1, v8, v1, vcc
	v_and_b32_e32 v8, 0x80000000, v14
	v_lshl_add_u32 v2, v2, 23, v8
	v_lshl_or_b32 v1, v1, 21, v2
	v_add_u32_e32 v1, 0x38000000, v1
                                        ; implicit-def: $vgpr8
.LBB2_2940:                             ;   in Loop: Header=BB2_2572 Depth=3
	s_andn2_saveexec_b64 s[38:39], s[38:39]
; %bb.2941:                             ;   in Loop: Header=BB2_2572 Depth=3
	v_cmp_lt_i32_e32 vcc, -1, v14
	v_cndmask_b32_e32 v1, v27, v6, vcc
	v_cmp_eq_u32_e32 vcc, 0, v8
	v_cndmask_b32_e32 v1, v7, v1, vcc
; %bb.2942:                             ;   in Loop: Header=BB2_2572 Depth=3
	s_or_b64 exec, exec, s[38:39]
.LBB2_2943:                             ;   in Loop: Header=BB2_2572 Depth=3
	s_or_b64 exec, exec, s[42:43]
.LBB2_2944:                             ;   in Loop: Header=BB2_2572 Depth=3
	s_or_b64 exec, exec, s[40:41]
	v_bfe_u32 v12, v10, 24, 2
	v_and_b32_e32 v8, 0x7c000000, v10
	v_cmp_eq_u32_e32 vcc, s83, v8
	v_ffbh_u32_e32 v8, v12
	v_min_u32_e32 v16, 32, v8
	v_lshrrev_b32_e32 v2, 24, v10
	v_subrev_u32_e32 v8, 29, v16
	v_bfe_u32 v13, v10, 26, 5
	v_lshlrev_b64 v[8:9], v8, v[2:3]
	v_cmp_eq_u32_e64 s[40:41], 0, v13
	v_sub_u32_e32 v9, 30, v16
	v_and_b32_e32 v8, 3, v8
	v_cndmask_b32_e64 v9, v13, v9, s[40:41]
	v_and_b32_e32 v13, 0x80000000, v10
	v_cndmask_b32_e64 v8, v12, v8, s[40:41]
	v_lshl_add_u32 v9, v9, 23, v13
	v_cmp_lt_i32_e64 s[42:43], -1, v10
	v_lshl_or_b32 v8, v8, 21, v9
	v_cmp_eq_u32_e64 s[40:41], 0, v12
	v_cndmask_b32_e64 v9, v27, v6, s[42:43]
	v_add_u32_e32 v8, 0x38000000, v8
	v_cndmask_b32_e64 v9, v7, v9, s[40:41]
	v_cndmask_b32_e32 v8, v8, v9, vcc
	v_cmp_ne_u32_e32 vcc, s82, v2
	v_cndmask_b32_e32 v2, v53, v8, vcc
	v_cmp_lt_u32_e32 vcc, s57, v10
	v_cndmask_b32_e32 v2, 0, v2, vcc
	v_mul_f32_e32 v1, v2, v1
	v_and_b32_e32 v8, 0x7f800000, v1
	v_mov_b32_e32 v9, v3
	v_cmp_ne_u64_e32 vcc, s[62:63], v[8:9]
	v_and_b32_e32 v2, 0x7fffff, v1
                                        ; implicit-def: $vgpr42
	s_and_saveexec_b64 s[40:41], vcc
	s_xor_b64 s[42:43], exec, s[40:41]
	s_cbranch_execz .LBB2_2958
; %bb.2945:                             ;   in Loop: Header=BB2_2572 Depth=3
	v_and_b32_e32 v8, 0x7fffffff, v1
	v_mov_b32_e32 v9, v3
	v_cmp_gt_u64_e32 vcc, s[78:79], v[8:9]
	v_and_b32_sdwa v16, v1, s82 dst_sel:DWORD dst_unused:UNUSED_PAD src0_sel:BYTE_3 src1_sel:DWORD
                                        ; implicit-def: $vgpr42
	s_and_saveexec_b64 s[40:41], vcc
	s_xor_b64 s[38:39], exec, s[40:41]
	s_cbranch_execz .LBB2_2955
; %bb.2946:                             ;   in Loop: Header=BB2_2572 Depth=3
	v_mov_b32_e32 v42, 0
	v_cmp_ne_u32_e32 vcc, 0, v1
	s_and_saveexec_b64 s[48:49], vcc
	s_cbranch_execz .LBB2_2954
; %bb.2947:                             ;   in Loop: Header=BB2_2572 Depth=3
	v_bfe_u32 v1, v1, 23, 8
	v_cmp_gt_u32_e64 s[40:41], s44, v1
	v_sub_u32_e32 v8, 0x71, v1
	v_cmp_eq_u32_e32 vcc, 0, v1
	v_cndmask_b32_e64 v8, 0, v8, s[40:41]
	v_mov_b32_e32 v12, 0x70
	v_cndmask_b32_e32 v17, v8, v12, vcc
	v_or_b32_e32 v9, 0x800000, v2
	v_add_u32_e32 v8, 21, v17
	v_cndmask_b32_e32 v2, v9, v2, vcc
	v_lshlrev_b64 v[8:9], v8, -1
	v_add_u32_e32 v12, 20, v17
	v_lshlrev_b64 v[12:13], v12, 1
	v_bfi_b32 v9, v9, 0, 0
	v_bfi_b32 v8, v8, 0, v2
	v_cmp_eq_u64_e64 s[40:41], v[8:9], v[12:13]
	v_lshrrev_b64 v[8:9], v17, v[2:3]
	v_mov_b32_e32 v13, v9
	v_mov_b32_e32 v12, v8
	s_and_saveexec_b64 s[50:51], s[40:41]
; %bb.2948:                             ;   in Loop: Header=BB2_2572 Depth=3
	v_bfe_u32 v2, v8, 21, 1
	v_add_co_u32_e64 v2, s[40:41], v8, v2
	v_add_co_u32_e64 v12, s[40:41], -1, v2
; %bb.2949:                             ;   in Loop: Header=BB2_2572 Depth=3
	s_or_b64 exec, exec, s[50:51]
	v_add_u32_e32 v1, 0xffffff81, v1
	v_mov_b32_e32 v2, 0xffffff82
	v_cndmask_b32_e32 v1, v1, v2, vcc
	v_lshrrev_b32_e32 v2, 23, v8
	v_add3_u32 v17, v17, v1, v2
	v_add_u32_e32 v13, 14, v17
	v_and_b32_e32 v1, 0x1fffff, v12
	v_add_u32_e32 v2, v1, v8
	v_cmp_ne_u32_e32 vcc, 0, v13
                                        ; implicit-def: $vgpr8_vgpr9
                                        ; implicit-def: $vgpr1
	s_and_saveexec_b64 s[40:41], vcc
	s_xor_b64 s[40:41], exec, s[40:41]
; %bb.2950:                             ;   in Loop: Header=BB2_2572 Depth=3
	v_cmp_lt_u64_e32 vcc, s[88:89], v[2:3]
	v_add_u32_e32 v1, 15, v17
	v_cndmask_b32_e64 v8, 0, 1, vcc
	v_cndmask_b32_e32 v1, v13, v1, vcc
	v_lshrrev_b64 v[8:9], v8, v[2:3]
; %bb.2951:                             ;   in Loop: Header=BB2_2572 Depth=3
	s_andn2_saveexec_b64 s[40:41], s[40:41]
; %bb.2952:                             ;   in Loop: Header=BB2_2572 Depth=3
	v_mov_b32_e32 v9, v3
	v_bfe_u32 v1, v2, 23, 1
	v_mov_b32_e32 v8, v2
; %bb.2953:                             ;   in Loop: Header=BB2_2572 Depth=3
	s_or_b64 exec, exec, s[40:41]
	v_lshrrev_b64 v[8:9], 21, v[8:9]
	v_cmp_gt_i32_e32 vcc, 32, v1
	v_cndmask_b32_e32 v9, 0, v9, vcc
	v_cndmask_b32_e32 v8, 3, v8, vcc
	v_cmp_eq_u32_e32 vcc, 0, v1
	v_min_i32_e32 v1, 31, v1
	v_cmp_eq_u64_e64 s[40:41], 0, v[8:9]
	v_lshlrev_b32_e32 v1, 2, v1
	v_and_b32_e32 v1, 0xfc, v1
	v_and_or_b32 v1, v8, 3, v1
	s_and_b64 s[40:41], vcc, s[40:41]
	v_cndmask_b32_e64 v1, v1, 0, s[40:41]
	v_or_b32_e32 v42, v1, v16
.LBB2_2954:                             ;   in Loop: Header=BB2_2572 Depth=3
	s_or_b64 exec, exec, s[48:49]
                                        ; implicit-def: $vgpr16
.LBB2_2955:                             ;   in Loop: Header=BB2_2572 Depth=3
	s_andn2_saveexec_b64 s[40:41], s[38:39]
; %bb.2956:                             ;   in Loop: Header=BB2_2572 Depth=3
	v_or_b32_e32 v42, 0x7b, v16
; %bb.2957:                             ;   in Loop: Header=BB2_2572 Depth=3
	s_or_b64 exec, exec, s[40:41]
                                        ; implicit-def: $vgpr1
.LBB2_2958:                             ;   in Loop: Header=BB2_2572 Depth=3
	s_andn2_saveexec_b64 s[40:41], s[42:43]
	s_cbranch_execz .LBB2_2964
; %bb.2959:                             ;   in Loop: Header=BB2_2572 Depth=3
	v_cmp_ne_u64_e32 vcc, 0, v[2:3]
                                        ; implicit-def: $vgpr42
	s_and_saveexec_b64 s[42:43], vcc
	s_xor_b64 s[42:43], exec, s[42:43]
; %bb.2960:                             ;   in Loop: Header=BB2_2572 Depth=3
	v_or_b32_sdwa v42, v1, s81 dst_sel:DWORD dst_unused:UNUSED_PAD src0_sel:BYTE_3 src1_sel:DWORD
                                        ; implicit-def: $vgpr1
; %bb.2961:                             ;   in Loop: Header=BB2_2572 Depth=3
	s_andn2_saveexec_b64 s[42:43], s[42:43]
; %bb.2962:                             ;   in Loop: Header=BB2_2572 Depth=3
	v_cmp_lt_i32_e32 vcc, -1, v1
	v_cndmask_b32_e32 v42, v0, v49, vcc
; %bb.2963:                             ;   in Loop: Header=BB2_2572 Depth=3
	s_or_b64 exec, exec, s[42:43]
.LBB2_2964:                             ;   in Loop: Header=BB2_2572 Depth=3
	s_or_b64 exec, exec, s[40:41]
	v_mov_b32_e32 v2, v15
	v_cmp_ne_u16_sdwa s[42:43], v15, v3 src0_sel:BYTE_0 src1_sel:DWORD
	v_mov_b32_e32 v1, 0
	s_and_saveexec_b64 s[40:41], s[42:43]
	s_cbranch_execz .LBB2_2972
; %bb.2965:                             ;   in Loop: Header=BB2_2572 Depth=3
	v_cmp_ne_u16_sdwa vcc, v15, s82 src0_sel:BYTE_0 src1_sel:DWORD
	v_bfrev_b32_e32 v1, 1
	s_and_saveexec_b64 s[42:43], vcc
	s_cbranch_execz .LBB2_2971
; %bb.2966:                             ;   in Loop: Header=BB2_2572 Depth=3
	v_and_b32_e32 v1, 0x7c, v15
	v_and_b32_e32 v8, 3, v15
	v_cmp_ne_u32_e32 vcc, s71, v1
                                        ; implicit-def: $vgpr1
	s_and_saveexec_b64 s[38:39], vcc
	s_xor_b64 s[38:39], exec, s[38:39]
	s_cbranch_execz .LBB2_2968
; %bb.2967:                             ;   in Loop: Header=BB2_2572 Depth=3
	v_ffbh_u32_e32 v9, v8
	v_min_u32_e32 v9, 32, v9
	v_bfe_u32 v1, v15, 2, 5
	v_subrev_u32_e32 v12, 29, v9
	v_lshlrev_b64 v[12:13], v12, v[2:3]
	v_sub_u32_e32 v9, 30, v9
	v_cmp_eq_u32_e32 vcc, 0, v1
	v_cndmask_b32_e32 v1, v1, v9, vcc
	v_lshlrev_b32_e32 v9, 24, v15
	v_and_b32_e32 v12, 3, v12
	v_and_b32_e32 v9, 0x80000000, v9
	v_cndmask_b32_e32 v8, v8, v12, vcc
	v_lshl_add_u32 v1, v1, 23, v9
	v_lshl_or_b32 v1, v8, 21, v1
	v_add_u32_e32 v1, 0x38000000, v1
                                        ; implicit-def: $vgpr8
.LBB2_2968:                             ;   in Loop: Header=BB2_2572 Depth=3
	s_andn2_saveexec_b64 s[38:39], s[38:39]
; %bb.2969:                             ;   in Loop: Header=BB2_2572 Depth=3
	v_cmp_gt_i16_sdwa vcc, sext(v15), v26 src0_sel:BYTE_0 src1_sel:DWORD
	v_cndmask_b32_e32 v1, v27, v6, vcc
	v_cmp_eq_u32_e32 vcc, 0, v8
	v_cndmask_b32_e32 v1, v7, v1, vcc
; %bb.2970:                             ;   in Loop: Header=BB2_2572 Depth=3
	s_or_b64 exec, exec, s[38:39]
.LBB2_2971:                             ;   in Loop: Header=BB2_2572 Depth=3
	s_or_b64 exec, exec, s[42:43]
.LBB2_2972:                             ;   in Loop: Header=BB2_2572 Depth=3
	s_or_b64 exec, exec, s[40:41]
	v_cmp_gt_i16_sdwa s[42:43], v11, s81 src0_sel:BYTE_0 src1_sel:DWORD
	s_mov_b64 s[40:41], 0
	s_and_saveexec_b64 vcc, s[42:43]
	s_xor_b64 s[42:43], exec, vcc
	s_cbranch_execz .LBB2_2976
; %bb.2973:                             ;   in Loop: Header=BB2_2572 Depth=3
	v_cmp_eq_u16_sdwa s[38:39], v11, s82 src0_sel:BYTE_0 src1_sel:DWORD
	s_mov_b64 s[40:41], -1
	s_and_saveexec_b64 vcc, s[38:39]
; %bb.2974:                             ;   in Loop: Header=BB2_2572 Depth=3
	s_xor_b64 s[40:41], exec, -1
; %bb.2975:                             ;   in Loop: Header=BB2_2572 Depth=3
	s_or_b64 exec, exec, vcc
	s_and_b64 s[40:41], s[40:41], exec
.LBB2_2976:                             ;   in Loop: Header=BB2_2572 Depth=3
	s_or_saveexec_b64 s[42:43], s[42:43]
	v_bfrev_b32_e32 v12, 1
	s_xor_b64 exec, exec, s[42:43]
; %bb.2977:                             ;   in Loop: Header=BB2_2572 Depth=3
	v_cmp_ne_u16_sdwa vcc, v11, v3 src0_sel:BYTE_0 src1_sel:DWORD
	s_andn2_b64 s[40:41], s[40:41], exec
	s_and_b64 vcc, vcc, exec
	v_mov_b32_e32 v12, 0
	s_or_b64 s[40:41], s[40:41], vcc
; %bb.2978:                             ;   in Loop: Header=BB2_2572 Depth=3
	s_or_b64 exec, exec, s[42:43]
	v_mov_b32_e32 v8, v11
	v_mov_b32_e32 v9, v3
	s_and_saveexec_b64 s[38:39], s[40:41]
	s_cbranch_execz .LBB2_2980
; %bb.2979:                             ;   in Loop: Header=BB2_2572 Depth=3
	v_and_b32_e32 v16, 3, v11
	v_and_b32_e32 v12, 0x7c, v11
	v_cmp_eq_u32_e32 vcc, s71, v12
	v_ffbh_u32_e32 v12, v16
	v_min_u32_e32 v39, 32, v12
	v_subrev_u32_e32 v12, 29, v39
	v_bfe_u32 v17, v11, 2, 5
	v_lshlrev_b64 v[12:13], v12, v[8:9]
	v_cmp_eq_u32_e64 s[40:41], 0, v17
	v_sub_u32_e32 v9, 30, v39
	v_lshlrev_b32_e32 v13, 24, v11
	v_and_b32_e32 v12, 3, v12
	v_cndmask_b32_e64 v9, v17, v9, s[40:41]
	v_and_b32_e32 v13, 0x80000000, v13
	v_cndmask_b32_e64 v12, v16, v12, s[40:41]
	v_lshl_add_u32 v9, v9, 23, v13
	v_cmp_gt_i16_sdwa s[42:43], sext(v11), v26 src0_sel:BYTE_0 src1_sel:DWORD
	v_lshl_or_b32 v9, v12, 21, v9
	v_cmp_eq_u32_e64 s[40:41], 0, v16
	v_cndmask_b32_e64 v12, v27, v6, s[42:43]
	v_add_u32_e32 v9, 0x38000000, v9
	v_cndmask_b32_e64 v12, v7, v12, s[40:41]
	v_cndmask_b32_e32 v12, v9, v12, vcc
.LBB2_2980:                             ;   in Loop: Header=BB2_2572 Depth=3
	s_or_b64 exec, exec, s[38:39]
	v_mul_f32_e32 v1, v1, v12
	v_and_b32_e32 v16, 0x7f800000, v1
	v_mov_b32_e32 v17, v3
	v_cmp_ne_u64_e32 vcc, s[62:63], v[16:17]
	v_and_b32_e32 v12, 0x7fffff, v1
	v_mov_b32_e32 v13, v3
                                        ; implicit-def: $vgpr16
	s_and_saveexec_b64 s[40:41], vcc
	s_xor_b64 s[42:43], exec, s[40:41]
	s_cbranch_execz .LBB2_2994
; %bb.2981:                             ;   in Loop: Header=BB2_2572 Depth=3
	v_and_b32_e32 v16, 0x7fffffff, v1
	v_mov_b32_e32 v17, v3
	v_cmp_gt_u64_e32 vcc, s[78:79], v[16:17]
	v_and_b32_sdwa v9, v1, s82 dst_sel:DWORD dst_unused:UNUSED_PAD src0_sel:BYTE_3 src1_sel:DWORD
                                        ; implicit-def: $vgpr16
	s_and_saveexec_b64 s[40:41], vcc
	s_xor_b64 s[38:39], exec, s[40:41]
	s_cbranch_execz .LBB2_2991
; %bb.2982:                             ;   in Loop: Header=BB2_2572 Depth=3
	v_mov_b32_e32 v16, 0
	v_cmp_ne_u32_e32 vcc, 0, v1
	s_and_saveexec_b64 s[48:49], vcc
	s_cbranch_execz .LBB2_2990
; %bb.2983:                             ;   in Loop: Header=BB2_2572 Depth=3
	v_bfe_u32 v1, v1, 23, 8
	v_cmp_gt_u32_e64 s[40:41], s44, v1
	v_sub_u32_e32 v16, 0x71, v1
	v_cmp_eq_u32_e32 vcc, 0, v1
	v_cndmask_b32_e64 v16, 0, v16, s[40:41]
	v_mov_b32_e32 v39, 0x70
	v_cndmask_b32_e32 v39, v16, v39, vcc
	v_or_b32_e32 v17, 0x800000, v12
	v_add_u32_e32 v16, 21, v39
	v_cndmask_b32_e32 v12, v17, v12, vcc
	v_lshlrev_b64 v[16:17], v16, -1
	v_add_u32_e32 v43, 20, v39
	v_bfi_b32 v16, v16, 0, v12
	v_lshlrev_b64 v[43:44], v43, 1
	v_lshrrev_b64 v[12:13], v39, v[12:13]
	v_bfi_b32 v17, v17, 0, 0
	v_cmp_eq_u64_e64 s[40:41], v[16:17], v[43:44]
	v_mov_b32_e32 v17, v13
	v_mov_b32_e32 v16, v12
	s_and_saveexec_b64 s[50:51], s[40:41]
; %bb.2984:                             ;   in Loop: Header=BB2_2572 Depth=3
	v_bfe_u32 v13, v12, 21, 1
	v_add_co_u32_e64 v13, s[40:41], v12, v13
	v_add_co_u32_e64 v16, s[40:41], -1, v13
; %bb.2985:                             ;   in Loop: Header=BB2_2572 Depth=3
	s_or_b64 exec, exec, s[50:51]
	v_add_u32_e32 v1, 0xffffff81, v1
	v_mov_b32_e32 v13, 0xffffff82
	v_cndmask_b32_e32 v1, v1, v13, vcc
	v_lshrrev_b32_e32 v13, 23, v12
	v_add3_u32 v39, v39, v1, v13
	v_add_u32_e32 v17, 14, v39
	v_and_b32_e32 v1, 0x1fffff, v16
	v_add_u32_e32 v12, v1, v12
	v_mov_b32_e32 v13, v3
	v_cmp_ne_u32_e32 vcc, 0, v17
                                        ; implicit-def: $vgpr1
	s_and_saveexec_b64 s[40:41], vcc
	s_xor_b64 s[40:41], exec, s[40:41]
; %bb.2986:                             ;   in Loop: Header=BB2_2572 Depth=3
	v_cmp_lt_u64_e32 vcc, s[88:89], v[12:13]
	v_add_u32_e32 v1, 15, v39
	v_cndmask_b32_e64 v16, 0, 1, vcc
	v_cndmask_b32_e32 v1, v17, v1, vcc
	v_lshrrev_b64 v[12:13], v16, v[12:13]
; %bb.2987:                             ;   in Loop: Header=BB2_2572 Depth=3
	s_or_saveexec_b64 s[40:41], s[40:41]
	buffer_load_dword v44, off, s[0:3], s33 offset:196 ; 4-byte Folded Reload
	s_xor_b64 exec, exec, s[40:41]
; %bb.2988:                             ;   in Loop: Header=BB2_2572 Depth=3
	v_bfe_u32 v1, v12, 23, 1
; %bb.2989:                             ;   in Loop: Header=BB2_2572 Depth=3
	s_or_b64 exec, exec, s[40:41]
	v_lshrrev_b64 v[12:13], 21, v[12:13]
	v_cmp_gt_i32_e32 vcc, 32, v1
	v_cndmask_b32_e32 v13, 0, v13, vcc
	v_cndmask_b32_e32 v12, 3, v12, vcc
	v_cmp_eq_u32_e32 vcc, 0, v1
	v_min_i32_e32 v1, 31, v1
	v_cmp_eq_u64_e64 s[40:41], 0, v[12:13]
	v_lshlrev_b32_e32 v1, 2, v1
	v_and_b32_e32 v1, 0xfc, v1
	v_and_or_b32 v1, v12, 3, v1
	s_and_b64 s[40:41], vcc, s[40:41]
	v_cndmask_b32_e64 v1, v1, 0, s[40:41]
	v_or_b32_e32 v16, v1, v9
.LBB2_2990:                             ;   in Loop: Header=BB2_2572 Depth=3
	s_or_b64 exec, exec, s[48:49]
                                        ; implicit-def: $vgpr9
.LBB2_2991:                             ;   in Loop: Header=BB2_2572 Depth=3
	s_andn2_saveexec_b64 s[40:41], s[38:39]
; %bb.2992:                             ;   in Loop: Header=BB2_2572 Depth=3
	v_or_b32_e32 v16, 0x7b, v9
; %bb.2993:                             ;   in Loop: Header=BB2_2572 Depth=3
	s_or_b64 exec, exec, s[40:41]
                                        ; implicit-def: $vgpr1
                                        ; implicit-def: $vgpr12_vgpr13
.LBB2_2994:                             ;   in Loop: Header=BB2_2572 Depth=3
	s_andn2_saveexec_b64 s[40:41], s[42:43]
	s_cbranch_execz .LBB2_3000
; %bb.2995:                             ;   in Loop: Header=BB2_2572 Depth=3
	v_cmp_ne_u64_e32 vcc, 0, v[12:13]
                                        ; implicit-def: $vgpr16
	s_and_saveexec_b64 s[42:43], vcc
	s_xor_b64 s[42:43], exec, s[42:43]
; %bb.2996:                             ;   in Loop: Header=BB2_2572 Depth=3
	v_or_b32_sdwa v16, v1, s81 dst_sel:DWORD dst_unused:UNUSED_PAD src0_sel:BYTE_3 src1_sel:DWORD
                                        ; implicit-def: $vgpr1
; %bb.2997:                             ;   in Loop: Header=BB2_2572 Depth=3
	s_andn2_saveexec_b64 s[42:43], s[42:43]
; %bb.2998:                             ;   in Loop: Header=BB2_2572 Depth=3
	v_cmp_lt_i32_e32 vcc, -1, v1
	v_cndmask_b32_e32 v16, v0, v49, vcc
; %bb.2999:                             ;   in Loop: Header=BB2_2572 Depth=3
	s_or_b64 exec, exec, s[42:43]
.LBB2_3000:                             ;   in Loop: Header=BB2_2572 Depth=3
	s_or_b64 exec, exec, s[40:41]
	v_lshrrev_b16_e32 v12, 8, v2
	v_cmp_ne_u16_e32 vcc, 0, v12
	v_mov_b32_e32 v1, 0
	s_and_saveexec_b64 s[40:41], vcc
	s_cbranch_execz .LBB2_3008
; %bb.3001:                             ;   in Loop: Header=BB2_2572 Depth=3
	v_cmp_ne_u16_e32 vcc, s82, v12
	v_bfrev_b32_e32 v1, 1
	s_and_saveexec_b64 s[42:43], vcc
	s_cbranch_execz .LBB2_3007
; %bb.3002:                             ;   in Loop: Header=BB2_2572 Depth=3
	v_and_b32_e32 v1, 0x7c, v12
	v_and_b32_e32 v9, 3, v12
	v_cmp_ne_u32_e32 vcc, s71, v1
                                        ; implicit-def: $vgpr1
	s_and_saveexec_b64 s[38:39], vcc
	s_xor_b64 s[38:39], exec, s[38:39]
	s_cbranch_execz .LBB2_3004
; %bb.3003:                             ;   in Loop: Header=BB2_2572 Depth=3
	v_ffbh_u32_e32 v17, v9
	v_min_u32_e32 v17, 32, v17
	v_mov_b32_e32 v13, v3
	v_subrev_u32_e32 v39, 29, v17
	v_bfe_u32 v1, v12, 2, 5
	v_lshlrev_b64 v[12:13], v39, v[12:13]
	v_sub_u32_e32 v13, 30, v17
	v_cmp_eq_u32_e32 vcc, 0, v1
	v_lshlrev_b32_e32 v2, 16, v2
	v_and_b32_e32 v12, 3, v12
	v_cndmask_b32_e32 v1, v1, v13, vcc
	v_and_b32_e32 v2, 0x80000000, v2
	v_cndmask_b32_e32 v9, v9, v12, vcc
	v_lshl_add_u32 v1, v1, 23, v2
	v_lshl_or_b32 v1, v9, 21, v1
	v_add_u32_e32 v1, 0x38000000, v1
                                        ; implicit-def: $vgpr9
.LBB2_3004:                             ;   in Loop: Header=BB2_2572 Depth=3
	s_andn2_saveexec_b64 s[38:39], s[38:39]
; %bb.3005:                             ;   in Loop: Header=BB2_2572 Depth=3
	v_cmp_lt_i16_e32 vcc, -1, v2
	v_cndmask_b32_e32 v1, v27, v6, vcc
	v_cmp_eq_u32_e32 vcc, 0, v9
	v_cndmask_b32_e32 v1, v7, v1, vcc
; %bb.3006:                             ;   in Loop: Header=BB2_2572 Depth=3
	s_or_b64 exec, exec, s[38:39]
.LBB2_3007:                             ;   in Loop: Header=BB2_2572 Depth=3
	s_or_b64 exec, exec, s[42:43]
.LBB2_3008:                             ;   in Loop: Header=BB2_2572 Depth=3
	s_or_b64 exec, exec, s[40:41]
	v_lshrrev_b16_e32 v2, 8, v8
	v_cmp_lt_i16_e32 vcc, s81, v2
	s_mov_b64 s[40:41], 0
	s_and_saveexec_b64 s[42:43], vcc
	s_xor_b64 s[42:43], exec, s[42:43]
	s_cbranch_execz .LBB2_3115
; %bb.3009:                             ;   in Loop: Header=BB2_2572 Depth=3
	v_cmp_eq_u16_e32 vcc, s82, v2
	s_mov_b64 s[40:41], -1
	s_and_saveexec_b64 s[38:39], vcc
; %bb.3010:                             ;   in Loop: Header=BB2_2572 Depth=3
	s_xor_b64 s[40:41], exec, -1
; %bb.3011:                             ;   in Loop: Header=BB2_2572 Depth=3
	s_or_b64 exec, exec, s[38:39]
	s_and_b64 s[40:41], s[40:41], exec
	s_or_saveexec_b64 s[42:43], s[42:43]
	v_bfrev_b32_e32 v9, 1
	s_xor_b64 exec, exec, s[42:43]
	s_cbranch_execnz .LBB2_3116
.LBB2_3012:                             ;   in Loop: Header=BB2_2572 Depth=3
	s_or_b64 exec, exec, s[42:43]
	s_and_saveexec_b64 s[38:39], s[40:41]
	s_cbranch_execz .LBB2_3014
.LBB2_3013:                             ;   in Loop: Header=BB2_2572 Depth=3
	v_and_b32_e32 v9, 3, v2
	v_and_b32_e32 v12, 0x7c, v2
	v_cmp_eq_u32_e32 vcc, s71, v12
	v_ffbh_u32_e32 v12, v9
	v_min_u32_e32 v39, 32, v12
	v_subrev_u32_e32 v12, 29, v39
	v_bfe_u32 v17, v2, 2, 5
	v_lshlrev_b64 v[12:13], v12, v[2:3]
	v_cmp_eq_u32_e64 s[40:41], 0, v17
	v_sub_u32_e32 v13, 30, v39
	v_lshlrev_b32_e32 v2, 24, v2
	v_and_b32_e32 v12, 3, v12
	v_cndmask_b32_e64 v13, v17, v13, s[40:41]
	v_and_b32_e32 v2, 0x80000000, v2
	v_cndmask_b32_e64 v12, v9, v12, s[40:41]
	v_lshl_add_u32 v2, v13, 23, v2
	v_cmp_lt_i16_e64 s[42:43], -1, v8
	v_lshl_or_b32 v2, v12, 21, v2
	v_cmp_eq_u32_e64 s[40:41], 0, v9
	v_cndmask_b32_e64 v8, v27, v6, s[42:43]
	v_add_u32_e32 v2, 0x38000000, v2
	v_cndmask_b32_e64 v8, v7, v8, s[40:41]
	v_cndmask_b32_e32 v9, v2, v8, vcc
.LBB2_3014:                             ;   in Loop: Header=BB2_2572 Depth=3
	s_or_b64 exec, exec, s[38:39]
	v_mul_f32_e32 v1, v1, v9
	v_and_b32_e32 v8, 0x7f800000, v1
	v_mov_b32_e32 v9, v3
	v_cmp_ne_u64_e32 vcc, s[62:63], v[8:9]
	v_and_b32_e32 v2, 0x7fffff, v1
                                        ; implicit-def: $vgpr17
	s_and_saveexec_b64 s[40:41], vcc
	s_xor_b64 s[42:43], exec, s[40:41]
	s_cbranch_execz .LBB2_3028
; %bb.3015:                             ;   in Loop: Header=BB2_2572 Depth=3
	v_and_b32_e32 v8, 0x7fffffff, v1
	v_mov_b32_e32 v9, v3
	v_cmp_gt_u64_e32 vcc, s[78:79], v[8:9]
	v_and_b32_sdwa v39, v1, s82 dst_sel:DWORD dst_unused:UNUSED_PAD src0_sel:BYTE_3 src1_sel:DWORD
                                        ; implicit-def: $vgpr17
	s_and_saveexec_b64 s[40:41], vcc
	s_xor_b64 s[38:39], exec, s[40:41]
	s_cbranch_execz .LBB2_3025
; %bb.3016:                             ;   in Loop: Header=BB2_2572 Depth=3
	v_mov_b32_e32 v17, 0
	v_cmp_ne_u32_e32 vcc, 0, v1
	s_and_saveexec_b64 s[48:49], vcc
	s_cbranch_execz .LBB2_3024
; %bb.3017:                             ;   in Loop: Header=BB2_2572 Depth=3
	v_bfe_u32 v1, v1, 23, 8
	v_cmp_gt_u32_e64 s[40:41], s44, v1
	v_sub_u32_e32 v8, 0x71, v1
	v_cmp_eq_u32_e32 vcc, 0, v1
	v_cndmask_b32_e64 v8, 0, v8, s[40:41]
	v_mov_b32_e32 v12, 0x70
	v_cndmask_b32_e32 v17, v8, v12, vcc
	v_or_b32_e32 v9, 0x800000, v2
	v_add_u32_e32 v8, 21, v17
	v_cndmask_b32_e32 v2, v9, v2, vcc
	v_lshlrev_b64 v[8:9], v8, -1
	v_add_u32_e32 v12, 20, v17
	v_lshlrev_b64 v[12:13], v12, 1
	v_bfi_b32 v9, v9, 0, 0
	v_bfi_b32 v8, v8, 0, v2
	v_cmp_eq_u64_e64 s[40:41], v[8:9], v[12:13]
	v_lshrrev_b64 v[8:9], v17, v[2:3]
	v_mov_b32_e32 v13, v9
	v_mov_b32_e32 v12, v8
	s_and_saveexec_b64 s[50:51], s[40:41]
; %bb.3018:                             ;   in Loop: Header=BB2_2572 Depth=3
	v_bfe_u32 v2, v8, 21, 1
	v_add_co_u32_e64 v2, s[40:41], v8, v2
	v_add_co_u32_e64 v12, s[40:41], -1, v2
; %bb.3019:                             ;   in Loop: Header=BB2_2572 Depth=3
	s_or_b64 exec, exec, s[50:51]
	v_add_u32_e32 v1, 0xffffff81, v1
	v_mov_b32_e32 v2, 0xffffff82
	v_cndmask_b32_e32 v1, v1, v2, vcc
	v_lshrrev_b32_e32 v2, 23, v8
	v_add3_u32 v17, v17, v1, v2
	v_add_u32_e32 v13, 14, v17
	v_and_b32_e32 v1, 0x1fffff, v12
	v_add_u32_e32 v2, v1, v8
	v_cmp_ne_u32_e32 vcc, 0, v13
                                        ; implicit-def: $vgpr8_vgpr9
                                        ; implicit-def: $vgpr1
	s_and_saveexec_b64 s[40:41], vcc
	s_xor_b64 s[40:41], exec, s[40:41]
; %bb.3020:                             ;   in Loop: Header=BB2_2572 Depth=3
	v_cmp_lt_u64_e32 vcc, s[88:89], v[2:3]
	v_add_u32_e32 v1, 15, v17
	v_cndmask_b32_e64 v8, 0, 1, vcc
	v_cndmask_b32_e32 v1, v13, v1, vcc
	v_lshrrev_b64 v[8:9], v8, v[2:3]
; %bb.3021:                             ;   in Loop: Header=BB2_2572 Depth=3
	s_andn2_saveexec_b64 s[40:41], s[40:41]
; %bb.3022:                             ;   in Loop: Header=BB2_2572 Depth=3
	v_mov_b32_e32 v9, v3
	v_bfe_u32 v1, v2, 23, 1
	v_mov_b32_e32 v8, v2
; %bb.3023:                             ;   in Loop: Header=BB2_2572 Depth=3
	s_or_b64 exec, exec, s[40:41]
	v_lshrrev_b64 v[8:9], 21, v[8:9]
	v_cmp_gt_i32_e32 vcc, 32, v1
	v_cndmask_b32_e32 v9, 0, v9, vcc
	v_cndmask_b32_e32 v8, 3, v8, vcc
	v_cmp_eq_u32_e32 vcc, 0, v1
	v_min_i32_e32 v1, 31, v1
	v_cmp_eq_u64_e64 s[40:41], 0, v[8:9]
	v_lshlrev_b32_e32 v1, 2, v1
	v_and_b32_e32 v1, 0xfc, v1
	v_and_or_b32 v1, v8, 3, v1
	s_and_b64 s[40:41], vcc, s[40:41]
	v_cndmask_b32_e64 v1, v1, 0, s[40:41]
	v_or_b32_e32 v17, v1, v39
.LBB2_3024:                             ;   in Loop: Header=BB2_2572 Depth=3
	s_or_b64 exec, exec, s[48:49]
                                        ; implicit-def: $vgpr39
.LBB2_3025:                             ;   in Loop: Header=BB2_2572 Depth=3
	s_andn2_saveexec_b64 s[40:41], s[38:39]
; %bb.3026:                             ;   in Loop: Header=BB2_2572 Depth=3
	v_or_b32_e32 v17, 0x7b, v39
; %bb.3027:                             ;   in Loop: Header=BB2_2572 Depth=3
	s_or_b64 exec, exec, s[40:41]
                                        ; implicit-def: $vgpr1
.LBB2_3028:                             ;   in Loop: Header=BB2_2572 Depth=3
	s_andn2_saveexec_b64 s[40:41], s[42:43]
	s_cbranch_execz .LBB2_3034
; %bb.3029:                             ;   in Loop: Header=BB2_2572 Depth=3
	v_cmp_ne_u64_e32 vcc, 0, v[2:3]
                                        ; implicit-def: $vgpr17
	s_and_saveexec_b64 s[42:43], vcc
	s_xor_b64 s[42:43], exec, s[42:43]
; %bb.3030:                             ;   in Loop: Header=BB2_2572 Depth=3
	v_or_b32_sdwa v17, v1, s81 dst_sel:DWORD dst_unused:UNUSED_PAD src0_sel:BYTE_3 src1_sel:DWORD
                                        ; implicit-def: $vgpr1
; %bb.3031:                             ;   in Loop: Header=BB2_2572 Depth=3
	s_andn2_saveexec_b64 s[42:43], s[42:43]
; %bb.3032:                             ;   in Loop: Header=BB2_2572 Depth=3
	v_cmp_lt_i32_e32 vcc, -1, v1
	v_cndmask_b32_e32 v17, v0, v49, vcc
; %bb.3033:                             ;   in Loop: Header=BB2_2572 Depth=3
	s_or_b64 exec, exec, s[42:43]
.LBB2_3034:                             ;   in Loop: Header=BB2_2572 Depth=3
	s_or_b64 exec, exec, s[40:41]
	v_lshrrev_b32_e32 v2, 16, v15
	v_cmp_ne_u16_sdwa s[42:43], v2, v3 src0_sel:BYTE_0 src1_sel:DWORD
	v_mov_b32_e32 v1, 0
	s_and_saveexec_b64 s[40:41], s[42:43]
	s_cbranch_execz .LBB2_3042
; %bb.3035:                             ;   in Loop: Header=BB2_2572 Depth=3
	v_cmp_ne_u16_sdwa vcc, v2, s82 src0_sel:BYTE_0 src1_sel:DWORD
	v_bfrev_b32_e32 v1, 1
	s_and_saveexec_b64 s[42:43], vcc
	s_cbranch_execz .LBB2_3041
; %bb.3036:                             ;   in Loop: Header=BB2_2572 Depth=3
	v_and_b32_e32 v1, 0x7c0000, v15
	v_bfe_u32 v8, v15, 16, 2
	v_cmp_ne_u32_e32 vcc, s45, v1
                                        ; implicit-def: $vgpr1
	s_and_saveexec_b64 s[38:39], vcc
	s_xor_b64 s[38:39], exec, s[38:39]
	s_cbranch_execz .LBB2_3038
; %bb.3037:                             ;   in Loop: Header=BB2_2572 Depth=3
	v_ffbh_u32_e32 v1, v8
	v_min_u32_e32 v12, 32, v1
	v_subrev_u32_e32 v1, 29, v12
	v_lshlrev_b64 v[1:2], v1, v[2:3]
	v_bfe_u32 v9, v15, 18, 5
	v_and_b32_e32 v1, 3, v1
	v_cmp_eq_u32_e32 vcc, 0, v9
	v_sub_u32_e32 v2, 30, v12
	v_cndmask_b32_e32 v1, v8, v1, vcc
	v_lshlrev_b32_e32 v8, 8, v15
	v_cndmask_b32_e32 v2, v9, v2, vcc
	v_and_b32_e32 v8, 0x80000000, v8
	v_lshl_add_u32 v2, v2, 23, v8
	v_lshl_or_b32 v1, v1, 21, v2
	v_add_u32_e32 v1, 0x38000000, v1
                                        ; implicit-def: $vgpr8
                                        ; implicit-def: $vgpr2
.LBB2_3038:                             ;   in Loop: Header=BB2_2572 Depth=3
	s_andn2_saveexec_b64 s[38:39], s[38:39]
; %bb.3039:                             ;   in Loop: Header=BB2_2572 Depth=3
	v_cmp_gt_i16_sdwa vcc, sext(v2), v26 src0_sel:BYTE_0 src1_sel:DWORD
	v_cndmask_b32_e32 v1, v27, v6, vcc
	v_cmp_eq_u32_e32 vcc, 0, v8
	v_cndmask_b32_e32 v1, v7, v1, vcc
; %bb.3040:                             ;   in Loop: Header=BB2_2572 Depth=3
	s_or_b64 exec, exec, s[38:39]
.LBB2_3041:                             ;   in Loop: Header=BB2_2572 Depth=3
	s_or_b64 exec, exec, s[42:43]
.LBB2_3042:                             ;   in Loop: Header=BB2_2572 Depth=3
	s_or_b64 exec, exec, s[40:41]
	v_lshrrev_b32_e32 v2, 16, v11
	v_cmp_gt_i16_sdwa s[42:43], v2, s81 src0_sel:BYTE_0 src1_sel:DWORD
	s_mov_b64 s[40:41], 0
	s_and_saveexec_b64 vcc, s[42:43]
	s_xor_b64 s[42:43], exec, vcc
	s_cbranch_execz .LBB2_3117
; %bb.3043:                             ;   in Loop: Header=BB2_2572 Depth=3
	v_cmp_eq_u16_sdwa s[38:39], v2, s82 src0_sel:BYTE_0 src1_sel:DWORD
	s_mov_b64 s[40:41], -1
	s_and_saveexec_b64 vcc, s[38:39]
; %bb.3044:                             ;   in Loop: Header=BB2_2572 Depth=3
	s_xor_b64 s[40:41], exec, -1
; %bb.3045:                             ;   in Loop: Header=BB2_2572 Depth=3
	s_or_b64 exec, exec, vcc
	s_and_b64 s[40:41], s[40:41], exec
	s_or_saveexec_b64 s[42:43], s[42:43]
	v_bfrev_b32_e32 v8, 1
	s_xor_b64 exec, exec, s[42:43]
	s_cbranch_execnz .LBB2_3118
.LBB2_3046:                             ;   in Loop: Header=BB2_2572 Depth=3
	s_or_b64 exec, exec, s[42:43]
	s_and_saveexec_b64 s[38:39], s[40:41]
	s_cbranch_execz .LBB2_3048
.LBB2_3047:                             ;   in Loop: Header=BB2_2572 Depth=3
	v_and_b32_e32 v12, 3, v2
	v_and_b32_e32 v8, 0x7c0000, v11
	v_cmp_eq_u32_e32 vcc, s45, v8
	v_ffbh_u32_e32 v8, v12
	v_min_u32_e32 v39, 32, v8
	v_subrev_u32_e32 v8, 29, v39
	v_bfe_u32 v13, v11, 18, 5
	v_lshlrev_b64 v[8:9], v8, v[2:3]
	v_cmp_eq_u32_e64 s[40:41], 0, v13
	v_sub_u32_e32 v9, 30, v39
	v_cndmask_b32_e64 v9, v13, v9, s[40:41]
	v_lshlrev_b32_e32 v13, 24, v2
	v_and_b32_e32 v8, 3, v8
	v_and_b32_e32 v13, 0x80000000, v13
	v_cndmask_b32_e64 v8, v12, v8, s[40:41]
	v_lshl_add_u32 v9, v9, 23, v13
	v_cmp_gt_i16_sdwa s[42:43], sext(v2), v26 src0_sel:BYTE_0 src1_sel:DWORD
	v_lshl_or_b32 v8, v8, 21, v9
	v_cmp_eq_u32_e64 s[40:41], 0, v12
	v_cndmask_b32_e64 v2, v27, v6, s[42:43]
	v_add_u32_e32 v8, 0x38000000, v8
	v_cndmask_b32_e64 v2, v7, v2, s[40:41]
	v_cndmask_b32_e32 v8, v8, v2, vcc
.LBB2_3048:                             ;   in Loop: Header=BB2_2572 Depth=3
	s_or_b64 exec, exec, s[38:39]
	v_mul_f32_e32 v1, v1, v8
	v_and_b32_e32 v8, 0x7f800000, v1
	v_mov_b32_e32 v9, v3
	v_cmp_ne_u64_e32 vcc, s[62:63], v[8:9]
	v_and_b32_e32 v2, 0x7fffff, v1
                                        ; implicit-def: $vgpr12
	s_and_saveexec_b64 s[40:41], vcc
	s_xor_b64 s[42:43], exec, s[40:41]
	s_cbranch_execz .LBB2_3062
; %bb.3049:                             ;   in Loop: Header=BB2_2572 Depth=3
	v_and_b32_e32 v8, 0x7fffffff, v1
	v_mov_b32_e32 v9, v3
	v_cmp_gt_u64_e32 vcc, s[78:79], v[8:9]
	v_and_b32_sdwa v39, v1, s82 dst_sel:DWORD dst_unused:UNUSED_PAD src0_sel:BYTE_3 src1_sel:DWORD
                                        ; implicit-def: $vgpr12
	s_and_saveexec_b64 s[40:41], vcc
	s_xor_b64 s[38:39], exec, s[40:41]
	s_cbranch_execz .LBB2_3059
; %bb.3050:                             ;   in Loop: Header=BB2_2572 Depth=3
	v_mov_b32_e32 v12, 0
	v_cmp_ne_u32_e32 vcc, 0, v1
	s_and_saveexec_b64 s[48:49], vcc
	s_cbranch_execz .LBB2_3058
; %bb.3051:                             ;   in Loop: Header=BB2_2572 Depth=3
	v_bfe_u32 v1, v1, 23, 8
	v_cmp_gt_u32_e64 s[40:41], s44, v1
	v_sub_u32_e32 v8, 0x71, v1
	v_cmp_eq_u32_e32 vcc, 0, v1
	v_cndmask_b32_e64 v8, 0, v8, s[40:41]
	v_mov_b32_e32 v12, 0x70
	v_cndmask_b32_e32 v43, v8, v12, vcc
	v_or_b32_e32 v9, 0x800000, v2
	v_add_u32_e32 v8, 21, v43
	v_cndmask_b32_e32 v2, v9, v2, vcc
	v_lshlrev_b64 v[8:9], v8, -1
	v_add_u32_e32 v12, 20, v43
	v_lshlrev_b64 v[12:13], v12, 1
	v_bfi_b32 v9, v9, 0, 0
	v_bfi_b32 v8, v8, 0, v2
	v_cmp_eq_u64_e64 s[40:41], v[8:9], v[12:13]
	v_lshrrev_b64 v[8:9], v43, v[2:3]
	v_mov_b32_e32 v13, v9
	v_mov_b32_e32 v12, v8
	s_and_saveexec_b64 s[50:51], s[40:41]
; %bb.3052:                             ;   in Loop: Header=BB2_2572 Depth=3
	v_bfe_u32 v2, v8, 21, 1
	v_add_co_u32_e64 v2, s[40:41], v8, v2
	v_add_co_u32_e64 v12, s[40:41], -1, v2
; %bb.3053:                             ;   in Loop: Header=BB2_2572 Depth=3
	s_or_b64 exec, exec, s[50:51]
	v_add_u32_e32 v1, 0xffffff81, v1
	v_mov_b32_e32 v2, 0xffffff82
	v_cndmask_b32_e32 v1, v1, v2, vcc
	v_lshrrev_b32_e32 v2, 23, v8
	v_add3_u32 v43, v43, v1, v2
	v_add_u32_e32 v13, 14, v43
	v_and_b32_e32 v1, 0x1fffff, v12
	v_add_u32_e32 v2, v1, v8
	v_cmp_ne_u32_e32 vcc, 0, v13
                                        ; implicit-def: $vgpr8_vgpr9
                                        ; implicit-def: $vgpr1
	s_and_saveexec_b64 s[40:41], vcc
	s_xor_b64 s[40:41], exec, s[40:41]
; %bb.3054:                             ;   in Loop: Header=BB2_2572 Depth=3
	v_cmp_lt_u64_e32 vcc, s[88:89], v[2:3]
	v_add_u32_e32 v1, 15, v43
	v_cndmask_b32_e64 v8, 0, 1, vcc
	v_cndmask_b32_e32 v1, v13, v1, vcc
	v_lshrrev_b64 v[8:9], v8, v[2:3]
; %bb.3055:                             ;   in Loop: Header=BB2_2572 Depth=3
	s_andn2_saveexec_b64 s[40:41], s[40:41]
; %bb.3056:                             ;   in Loop: Header=BB2_2572 Depth=3
	v_mov_b32_e32 v9, v3
	v_bfe_u32 v1, v2, 23, 1
	v_mov_b32_e32 v8, v2
; %bb.3057:                             ;   in Loop: Header=BB2_2572 Depth=3
	s_or_b64 exec, exec, s[40:41]
	v_lshrrev_b64 v[8:9], 21, v[8:9]
	v_cmp_gt_i32_e32 vcc, 32, v1
	v_cndmask_b32_e32 v9, 0, v9, vcc
	v_cndmask_b32_e32 v8, 3, v8, vcc
	v_cmp_eq_u32_e32 vcc, 0, v1
	v_min_i32_e32 v1, 31, v1
	v_cmp_eq_u64_e64 s[40:41], 0, v[8:9]
	v_lshlrev_b32_e32 v1, 2, v1
	v_and_b32_e32 v1, 0xfc, v1
	v_and_or_b32 v1, v8, 3, v1
	s_and_b64 s[40:41], vcc, s[40:41]
	v_cndmask_b32_e64 v1, v1, 0, s[40:41]
	v_or_b32_e32 v12, v1, v39
.LBB2_3058:                             ;   in Loop: Header=BB2_2572 Depth=3
	s_or_b64 exec, exec, s[48:49]
                                        ; implicit-def: $vgpr39
.LBB2_3059:                             ;   in Loop: Header=BB2_2572 Depth=3
	s_andn2_saveexec_b64 s[40:41], s[38:39]
; %bb.3060:                             ;   in Loop: Header=BB2_2572 Depth=3
	v_or_b32_e32 v12, 0x7b, v39
; %bb.3061:                             ;   in Loop: Header=BB2_2572 Depth=3
	s_or_b64 exec, exec, s[40:41]
                                        ; implicit-def: $vgpr1
.LBB2_3062:                             ;   in Loop: Header=BB2_2572 Depth=3
	s_andn2_saveexec_b64 s[40:41], s[42:43]
	s_cbranch_execz .LBB2_3068
; %bb.3063:                             ;   in Loop: Header=BB2_2572 Depth=3
	v_cmp_ne_u64_e32 vcc, 0, v[2:3]
                                        ; implicit-def: $vgpr12
	s_and_saveexec_b64 s[42:43], vcc
	s_xor_b64 s[42:43], exec, s[42:43]
; %bb.3064:                             ;   in Loop: Header=BB2_2572 Depth=3
	v_or_b32_sdwa v12, v1, s81 dst_sel:DWORD dst_unused:UNUSED_PAD src0_sel:BYTE_3 src1_sel:DWORD
                                        ; implicit-def: $vgpr1
; %bb.3065:                             ;   in Loop: Header=BB2_2572 Depth=3
	s_andn2_saveexec_b64 s[42:43], s[42:43]
; %bb.3066:                             ;   in Loop: Header=BB2_2572 Depth=3
	v_cmp_lt_i32_e32 vcc, -1, v1
	v_cndmask_b32_e32 v12, v0, v49, vcc
; %bb.3067:                             ;   in Loop: Header=BB2_2572 Depth=3
	s_or_b64 exec, exec, s[42:43]
.LBB2_3068:                             ;   in Loop: Header=BB2_2572 Depth=3
	s_or_b64 exec, exec, s[40:41]
	v_cmp_lt_u64_e32 vcc, s[56:57], v[14:15]
	v_mov_b32_e32 v1, 0
	s_and_saveexec_b64 s[40:41], vcc
	s_cbranch_execz .LBB2_3076
; %bb.3069:                             ;   in Loop: Header=BB2_2572 Depth=3
	v_lshrrev_b32_e32 v2, 24, v15
	v_cmp_ne_u32_e32 vcc, s82, v2
	v_bfrev_b32_e32 v1, 1
	s_and_saveexec_b64 s[42:43], vcc
	s_cbranch_execz .LBB2_3075
; %bb.3070:                             ;   in Loop: Header=BB2_2572 Depth=3
	v_and_b32_e32 v1, 0x7c000000, v15
	v_bfe_u32 v8, v15, 24, 2
	v_cmp_ne_u32_e32 vcc, s83, v1
                                        ; implicit-def: $vgpr1
	s_and_saveexec_b64 s[38:39], vcc
	s_xor_b64 s[38:39], exec, s[38:39]
	s_cbranch_execz .LBB2_3072
; %bb.3071:                             ;   in Loop: Header=BB2_2572 Depth=3
	v_ffbh_u32_e32 v1, v8
	v_min_u32_e32 v13, 32, v1
	v_subrev_u32_e32 v1, 29, v13
	v_lshlrev_b64 v[1:2], v1, v[2:3]
	v_bfe_u32 v9, v15, 26, 5
	v_sub_u32_e32 v2, 30, v13
	v_and_b32_e32 v1, 3, v1
	v_cmp_eq_u32_e32 vcc, 0, v9
	v_cndmask_b32_e32 v2, v9, v2, vcc
	v_cndmask_b32_e32 v1, v8, v1, vcc
	v_and_b32_e32 v8, 0x80000000, v15
	v_lshl_add_u32 v2, v2, 23, v8
	v_lshl_or_b32 v1, v1, 21, v2
	v_add_u32_e32 v1, 0x38000000, v1
                                        ; implicit-def: $vgpr8
                                        ; implicit-def: $vgpr14_vgpr15
.LBB2_3072:                             ;   in Loop: Header=BB2_2572 Depth=3
	s_andn2_saveexec_b64 s[38:39], s[38:39]
; %bb.3073:                             ;   in Loop: Header=BB2_2572 Depth=3
	v_cmp_lt_i64_e32 vcc, -1, v[14:15]
	v_cndmask_b32_e32 v1, v27, v6, vcc
	v_cmp_eq_u32_e32 vcc, 0, v8
	v_cndmask_b32_e32 v1, v7, v1, vcc
; %bb.3074:                             ;   in Loop: Header=BB2_2572 Depth=3
	s_or_b64 exec, exec, s[38:39]
.LBB2_3075:                             ;   in Loop: Header=BB2_2572 Depth=3
	s_or_b64 exec, exec, s[42:43]
.LBB2_3076:                             ;   in Loop: Header=BB2_2572 Depth=3
	s_or_b64 exec, exec, s[40:41]
	v_bfe_u32 v13, v11, 24, 2
	v_and_b32_e32 v8, 0x7c000000, v11
	v_cmp_eq_u32_e32 vcc, s83, v8
	v_ffbh_u32_e32 v8, v13
	v_min_u32_e32 v15, 32, v8
	v_lshrrev_b32_e32 v2, 24, v11
	v_subrev_u32_e32 v8, 29, v15
	v_bfe_u32 v14, v11, 26, 5
	v_lshlrev_b64 v[8:9], v8, v[2:3]
	v_cmp_eq_u32_e64 s[40:41], 0, v14
	v_sub_u32_e32 v9, 30, v15
	v_and_b32_e32 v8, 3, v8
	v_cndmask_b32_e64 v9, v14, v9, s[40:41]
	v_and_b32_e32 v14, 0x80000000, v11
	v_cmp_lt_i64_e64 s[42:43], -1, v[10:11]
	v_cndmask_b32_e64 v8, v13, v8, s[40:41]
	v_lshl_add_u32 v9, v9, 23, v14
	v_lshl_or_b32 v8, v8, 21, v9
	v_cmp_eq_u32_e64 s[40:41], 0, v13
	v_cndmask_b32_e64 v9, v27, v6, s[42:43]
	v_add_u32_e32 v8, 0x38000000, v8
	v_cndmask_b32_e64 v9, v7, v9, s[40:41]
	v_cndmask_b32_e32 v8, v8, v9, vcc
	v_cmp_ne_u32_e32 vcc, s82, v2
	v_cndmask_b32_e32 v2, v53, v8, vcc
	v_cmp_lt_u64_e32 vcc, s[56:57], v[10:11]
	v_mov_b32_e32 v10, v3
	v_cndmask_b32_e32 v2, 0, v2, vcc
	v_mul_f32_e32 v8, v2, v1
	v_and_b32_e32 v9, 0x7f800000, v8
	v_cmp_ne_u64_e32 vcc, s[62:63], v[9:10]
	v_and_b32_e32 v2, 0x7fffff, v8
                                        ; implicit-def: $vgpr1
	s_and_saveexec_b64 s[40:41], vcc
	s_xor_b64 s[42:43], exec, s[40:41]
	s_cbranch_execz .LBB2_3090
; %bb.3077:                             ;   in Loop: Header=BB2_2572 Depth=3
	v_and_b32_e32 v9, 0x7fffffff, v8
	v_mov_b32_e32 v10, v3
	v_cmp_gt_u64_e32 vcc, s[78:79], v[9:10]
	v_and_b32_sdwa v11, v8, s82 dst_sel:DWORD dst_unused:UNUSED_PAD src0_sel:BYTE_3 src1_sel:DWORD
                                        ; implicit-def: $vgpr1
	s_and_saveexec_b64 s[40:41], vcc
	s_xor_b64 s[38:39], exec, s[40:41]
	s_cbranch_execz .LBB2_3087
; %bb.3078:                             ;   in Loop: Header=BB2_2572 Depth=3
	v_mov_b32_e32 v1, 0
	v_cmp_ne_u32_e32 vcc, 0, v8
	s_and_saveexec_b64 s[48:49], vcc
	s_cbranch_execz .LBB2_3086
; %bb.3079:                             ;   in Loop: Header=BB2_2572 Depth=3
	v_bfe_u32 v1, v8, 23, 8
	v_cmp_gt_u32_e64 s[40:41], s44, v1
	v_sub_u32_e32 v8, 0x71, v1
	v_cmp_eq_u32_e32 vcc, 0, v1
	v_cndmask_b32_e64 v8, 0, v8, s[40:41]
	v_mov_b32_e32 v10, 0x70
	v_cndmask_b32_e32 v13, v8, v10, vcc
	v_or_b32_e32 v9, 0x800000, v2
	v_add_u32_e32 v8, 21, v13
	v_cndmask_b32_e32 v2, v9, v2, vcc
	v_lshlrev_b64 v[8:9], v8, -1
	v_add_u32_e32 v10, 20, v13
	v_lshlrev_b64 v[14:15], v10, 1
	v_bfi_b32 v9, v9, 0, 0
	v_bfi_b32 v8, v8, 0, v2
	v_cmp_eq_u64_e64 s[40:41], v[8:9], v[14:15]
	v_lshrrev_b64 v[8:9], v13, v[2:3]
	v_mov_b32_e32 v10, v9
	v_mov_b32_e32 v9, v8
	s_and_saveexec_b64 s[50:51], s[40:41]
; %bb.3080:                             ;   in Loop: Header=BB2_2572 Depth=3
	v_bfe_u32 v2, v8, 21, 1
	v_add_co_u32_e64 v2, s[40:41], v8, v2
	v_add_co_u32_e64 v9, s[40:41], -1, v2
; %bb.3081:                             ;   in Loop: Header=BB2_2572 Depth=3
	s_or_b64 exec, exec, s[50:51]
	v_add_u32_e32 v1, 0xffffff81, v1
	v_mov_b32_e32 v2, 0xffffff82
	v_cndmask_b32_e32 v1, v1, v2, vcc
	v_lshrrev_b32_e32 v2, 23, v8
	v_add3_u32 v13, v13, v1, v2
	v_add_u32_e32 v10, 14, v13
	v_and_b32_e32 v1, 0x1fffff, v9
	v_add_u32_e32 v2, v1, v8
	v_cmp_ne_u32_e32 vcc, 0, v10
                                        ; implicit-def: $vgpr8_vgpr9
                                        ; implicit-def: $vgpr1
	s_and_saveexec_b64 s[40:41], vcc
	s_xor_b64 s[40:41], exec, s[40:41]
; %bb.3082:                             ;   in Loop: Header=BB2_2572 Depth=3
	v_cmp_lt_u64_e32 vcc, s[88:89], v[2:3]
	v_add_u32_e32 v1, 15, v13
	v_cndmask_b32_e64 v8, 0, 1, vcc
	v_cndmask_b32_e32 v1, v10, v1, vcc
	v_lshrrev_b64 v[8:9], v8, v[2:3]
; %bb.3083:                             ;   in Loop: Header=BB2_2572 Depth=3
	s_andn2_saveexec_b64 s[40:41], s[40:41]
; %bb.3084:                             ;   in Loop: Header=BB2_2572 Depth=3
	v_mov_b32_e32 v9, v3
	v_bfe_u32 v1, v2, 23, 1
	v_mov_b32_e32 v8, v2
; %bb.3085:                             ;   in Loop: Header=BB2_2572 Depth=3
	s_or_b64 exec, exec, s[40:41]
	v_lshrrev_b64 v[8:9], 21, v[8:9]
	v_cmp_gt_i32_e32 vcc, 32, v1
	v_cndmask_b32_e32 v9, 0, v9, vcc
	v_cndmask_b32_e32 v8, 3, v8, vcc
	v_cmp_eq_u32_e32 vcc, 0, v1
	v_min_i32_e32 v1, 31, v1
	v_cmp_eq_u64_e64 s[40:41], 0, v[8:9]
	v_lshlrev_b32_e32 v1, 2, v1
	v_and_b32_e32 v1, 0xfc, v1
	v_and_or_b32 v1, v8, 3, v1
	s_and_b64 s[40:41], vcc, s[40:41]
	v_cndmask_b32_e64 v1, v1, 0, s[40:41]
	v_or_b32_e32 v1, v1, v11
.LBB2_3086:                             ;   in Loop: Header=BB2_2572 Depth=3
	s_or_b64 exec, exec, s[48:49]
                                        ; implicit-def: $vgpr11
.LBB2_3087:                             ;   in Loop: Header=BB2_2572 Depth=3
	s_andn2_saveexec_b64 s[40:41], s[38:39]
; %bb.3088:                             ;   in Loop: Header=BB2_2572 Depth=3
	v_or_b32_e32 v1, 0x7b, v11
; %bb.3089:                             ;   in Loop: Header=BB2_2572 Depth=3
	s_or_b64 exec, exec, s[40:41]
                                        ; implicit-def: $vgpr8
.LBB2_3090:                             ;   in Loop: Header=BB2_2572 Depth=3
	s_andn2_saveexec_b64 s[40:41], s[42:43]
	s_cbranch_execz .LBB2_3096
; %bb.3091:                             ;   in Loop: Header=BB2_2572 Depth=3
	v_cmp_ne_u64_e32 vcc, 0, v[2:3]
                                        ; implicit-def: $vgpr1
	s_and_saveexec_b64 s[42:43], vcc
	s_xor_b64 s[42:43], exec, s[42:43]
; %bb.3092:                             ;   in Loop: Header=BB2_2572 Depth=3
	v_or_b32_sdwa v1, v8, s81 dst_sel:DWORD dst_unused:UNUSED_PAD src0_sel:BYTE_3 src1_sel:DWORD
                                        ; implicit-def: $vgpr8
; %bb.3093:                             ;   in Loop: Header=BB2_2572 Depth=3
	s_andn2_saveexec_b64 s[42:43], s[42:43]
; %bb.3094:                             ;   in Loop: Header=BB2_2572 Depth=3
	v_cmp_lt_i32_e32 vcc, -1, v8
	v_cndmask_b32_e32 v1, v0, v49, vcc
; %bb.3095:                             ;   in Loop: Header=BB2_2572 Depth=3
	s_or_b64 exec, exec, s[42:43]
.LBB2_3096:                             ;   in Loop: Header=BB2_2572 Depth=3
	s_or_b64 exec, exec, s[40:41]
	v_lshl_or_b32 v2, v24, 8, v19
	v_lshlrev_b32_e32 v8, 16, v18
	v_lshlrev_b32_e32 v9, 24, v25
	v_or3_b32 v9, v2, v8, v9
	v_lshl_or_b32 v2, v61, 8, v60
	v_lshlrev_b32_e32 v5, 16, v5
	v_lshlrev_b32_e32 v8, 24, v20
	v_or3_b32 v8, v2, v5, v8
	;; [unrolled: 4-line block ×3, first 2 shown]
	v_lshlrev_b32_e32 v1, 24, v1
	v_lshlrev_b32_e32 v2, 16, v12
	v_lshl_or_b32 v5, v17, 8, v16
	v_or3_b32 v11, v5, v2, v1
	s_mov_b64 s[48:49], 0
	s_mov_b64 s[38:39], -1
.LBB2_3097:                             ;   Parent Loop BB2_47 Depth=1
                                        ;     Parent Loop BB2_1943 Depth=2
                                        ;       Parent Loop BB2_2572 Depth=3
                                        ; =>      This Inner Loop Header: Depth=4
	s_cmp_eq_u32 s48, 1
	s_cselect_b64 s[40:41], -1, 0
	v_cndmask_b32_e64 v2, v57, v59, s[40:41]
	v_cndmask_b32_e64 v1, v37, v58, s[40:41]
	global_store_dwordx4 v[1:2], v[8:11], off glc slc
	v_add_co_u32_e32 v1, vcc, 0x400, v1
	s_cmp_eq_u32 s48, 0
	v_addc_co_u32_e32 v2, vcc, 0, v2, vcc
	s_cselect_b64 vcc, -1, 0
	s_and_b64 s[42:43], exec, s[38:39]
	s_mov_b64 s[48:49], 1
	v_cndmask_b32_e64 v58, v58, v1, s[40:41]
	s_mov_b64 s[38:39], 0
	v_cndmask_b32_e64 v59, v59, v2, s[40:41]
	v_cndmask_b32_e32 v57, v57, v2, vcc
	v_cndmask_b32_e32 v37, v37, v1, vcc
	s_mov_b64 vcc, s[42:43]
	s_cbranch_vccnz .LBB2_3097
; %bb.3098:                             ;   in Loop: Header=BB2_2572 Depth=3
	buffer_load_dword v1, off, s[0:3], s33 offset:60 ; 4-byte Folded Reload
	buffer_load_dword v2, off, s[0:3], s33 offset:64 ; 4-byte Folded Reload
	v_sub_u32_e32 v36, v36, v34
	v_sub_u32_e32 v30, v30, v35
	s_waitcnt vmcnt(1)
	v_add_co_u32_e32 v46, vcc, v46, v1
	s_waitcnt vmcnt(0)
	v_addc_co_u32_e32 v47, vcc, v47, v2, vcc
	v_add_co_u32_e32 v55, vcc, v55, v1
	v_addc_co_u32_e32 v56, vcc, v56, v2, vcc
	buffer_load_dword v2, off, s[0:3], s33 offset:56 ; 4-byte Folded Reload
	v_add_u32_e32 v1, 0xfffffc00, v34
	v_add_co_u32_e32 v37, vcc, v37, v1
	s_waitcnt vmcnt(0)
	v_addc_co_u32_e32 v57, vcc, v57, v2, vcc
	v_add_co_u32_e32 v58, vcc, v58, v1
	v_addc_co_u32_e32 v59, vcc, v59, v2, vcc
	v_cmp_gt_i32_e32 vcc, 16, v36
	s_or_b64 s[36:37], vcc, s[36:37]
	s_andn2_b64 exec, exec, s[36:37]
	s_cbranch_execnz .LBB2_2572
	s_branch .LBB2_3119
.LBB2_3099:                             ;   in Loop: Header=BB2_2572 Depth=3
	s_or_saveexec_b64 s[42:43], s[42:43]
	v_bfrev_b32_e32 v2, 1
	s_xor_b64 exec, exec, s[42:43]
	s_cbranch_execz .LBB2_2584
.LBB2_3100:                             ;   in Loop: Header=BB2_2572 Depth=3
	v_cmp_ne_u16_sdwa vcc, v8, v3 src0_sel:BYTE_0 src1_sel:DWORD
	s_andn2_b64 s[40:41], s[40:41], exec
	s_and_b64 vcc, vcc, exec
	v_mov_b32_e32 v2, 0
	s_or_b64 s[40:41], s[40:41], vcc
	s_or_b64 exec, exec, s[42:43]
	s_and_saveexec_b64 s[38:39], s[40:41]
	s_cbranch_execnz .LBB2_2585
	s_branch .LBB2_2586
.LBB2_3101:                             ;   in Loop: Header=BB2_2572 Depth=3
	s_or_saveexec_b64 s[42:43], s[42:43]
	v_bfrev_b32_e32 v5, 1
	s_xor_b64 exec, exec, s[42:43]
	s_cbranch_execz .LBB2_2618
.LBB2_3102:                             ;   in Loop: Header=BB2_2572 Depth=3
	v_cmp_ne_u16_e32 vcc, 0, v2
	s_andn2_b64 s[40:41], s[40:41], exec
	s_and_b64 vcc, vcc, exec
	v_mov_b32_e32 v5, 0
	s_or_b64 s[40:41], s[40:41], vcc
	s_or_b64 exec, exec, s[42:43]
	s_and_saveexec_b64 s[38:39], s[40:41]
	s_cbranch_execnz .LBB2_2619
	s_branch .LBB2_2620
.LBB2_3103:                             ;   in Loop: Header=BB2_2572 Depth=3
	s_or_saveexec_b64 s[42:43], s[42:43]
	v_bfrev_b32_e32 v5, 1
	s_xor_b64 exec, exec, s[42:43]
	s_cbranch_execz .LBB2_2652
.LBB2_3104:                             ;   in Loop: Header=BB2_2572 Depth=3
	v_cmp_ne_u16_sdwa vcc, v2, v3 src0_sel:BYTE_0 src1_sel:DWORD
	s_andn2_b64 s[40:41], s[40:41], exec
	s_and_b64 vcc, vcc, exec
	v_mov_b32_e32 v5, 0
	s_or_b64 s[40:41], s[40:41], vcc
	s_or_b64 exec, exec, s[42:43]
	s_and_saveexec_b64 s[38:39], s[40:41]
	s_cbranch_execnz .LBB2_2653
	s_branch .LBB2_2654
.LBB2_3105:                             ;   in Loop: Header=BB2_2572 Depth=3
	s_or_saveexec_b64 s[42:43], s[42:43]
	v_bfrev_b32_e32 v17, 1
	s_xor_b64 exec, exec, s[42:43]
	s_cbranch_execz .LBB2_2750
.LBB2_3106:                             ;   in Loop: Header=BB2_2572 Depth=3
	v_cmp_ne_u16_e32 vcc, 0, v2
	s_andn2_b64 s[40:41], s[40:41], exec
	s_and_b64 vcc, vcc, exec
	v_mov_b32_e32 v17, 0
	s_or_b64 s[40:41], s[40:41], vcc
	s_or_b64 exec, exec, s[42:43]
	s_and_saveexec_b64 s[38:39], s[40:41]
	s_cbranch_execnz .LBB2_2751
	s_branch .LBB2_2752
.LBB2_3107:                             ;   in Loop: Header=BB2_2572 Depth=3
	s_or_saveexec_b64 s[42:43], s[42:43]
	v_bfrev_b32_e32 v16, 1
	s_xor_b64 exec, exec, s[42:43]
	s_cbranch_execz .LBB2_2784
.LBB2_3108:                             ;   in Loop: Header=BB2_2572 Depth=3
	v_cmp_ne_u16_sdwa vcc, v2, v3 src0_sel:BYTE_0 src1_sel:DWORD
	s_andn2_b64 s[40:41], s[40:41], exec
	s_and_b64 vcc, vcc, exec
	v_mov_b32_e32 v16, 0
	s_or_b64 s[40:41], s[40:41], vcc
	s_or_b64 exec, exec, s[42:43]
	s_and_saveexec_b64 s[38:39], s[40:41]
	s_cbranch_execnz .LBB2_2785
	s_branch .LBB2_2786
.LBB2_3109:                             ;   in Loop: Header=BB2_2572 Depth=3
	s_or_saveexec_b64 s[42:43], s[42:43]
	v_bfrev_b32_e32 v2, 1
	s_xor_b64 exec, exec, s[42:43]
	s_cbranch_execz .LBB2_2846
.LBB2_3110:                             ;   in Loop: Header=BB2_2572 Depth=3
	v_cmp_ne_u16_sdwa vcc, v10, v3 src0_sel:BYTE_0 src1_sel:DWORD
	s_andn2_b64 s[40:41], s[40:41], exec
	s_and_b64 vcc, vcc, exec
	v_mov_b32_e32 v2, 0
	s_or_b64 s[40:41], s[40:41], vcc
	s_or_b64 exec, exec, s[42:43]
	s_and_saveexec_b64 s[38:39], s[40:41]
	s_cbranch_execnz .LBB2_2847
	s_branch .LBB2_2848
.LBB2_3111:                             ;   in Loop: Header=BB2_2572 Depth=3
	s_or_saveexec_b64 s[42:43], s[42:43]
	v_bfrev_b32_e32 v8, 1
	s_xor_b64 exec, exec, s[42:43]
	s_cbranch_execz .LBB2_2880
.LBB2_3112:                             ;   in Loop: Header=BB2_2572 Depth=3
	v_cmp_ne_u16_e32 vcc, 0, v2
	s_andn2_b64 s[40:41], s[40:41], exec
	s_and_b64 vcc, vcc, exec
	v_mov_b32_e32 v8, 0
	s_or_b64 s[40:41], s[40:41], vcc
	s_or_b64 exec, exec, s[42:43]
	s_and_saveexec_b64 s[38:39], s[40:41]
	s_cbranch_execnz .LBB2_2881
	s_branch .LBB2_2882
.LBB2_3113:                             ;   in Loop: Header=BB2_2572 Depth=3
	s_or_saveexec_b64 s[42:43], s[42:43]
	v_bfrev_b32_e32 v8, 1
	s_xor_b64 exec, exec, s[42:43]
	s_cbranch_execz .LBB2_2914
.LBB2_3114:                             ;   in Loop: Header=BB2_2572 Depth=3
	v_cmp_ne_u16_sdwa vcc, v2, v3 src0_sel:BYTE_0 src1_sel:DWORD
	s_andn2_b64 s[40:41], s[40:41], exec
	s_and_b64 vcc, vcc, exec
	v_mov_b32_e32 v8, 0
	s_or_b64 s[40:41], s[40:41], vcc
	s_or_b64 exec, exec, s[42:43]
	s_and_saveexec_b64 s[38:39], s[40:41]
	s_cbranch_execnz .LBB2_2915
	s_branch .LBB2_2916
.LBB2_3115:                             ;   in Loop: Header=BB2_2572 Depth=3
	s_or_saveexec_b64 s[42:43], s[42:43]
	v_bfrev_b32_e32 v9, 1
	s_xor_b64 exec, exec, s[42:43]
	s_cbranch_execz .LBB2_3012
.LBB2_3116:                             ;   in Loop: Header=BB2_2572 Depth=3
	v_cmp_ne_u16_e32 vcc, 0, v2
	s_andn2_b64 s[40:41], s[40:41], exec
	s_and_b64 vcc, vcc, exec
	v_mov_b32_e32 v9, 0
	s_or_b64 s[40:41], s[40:41], vcc
	s_or_b64 exec, exec, s[42:43]
	s_and_saveexec_b64 s[38:39], s[40:41]
	s_cbranch_execnz .LBB2_3013
	s_branch .LBB2_3014
.LBB2_3117:                             ;   in Loop: Header=BB2_2572 Depth=3
	s_or_saveexec_b64 s[42:43], s[42:43]
	v_bfrev_b32_e32 v8, 1
	s_xor_b64 exec, exec, s[42:43]
	s_cbranch_execz .LBB2_3046
.LBB2_3118:                             ;   in Loop: Header=BB2_2572 Depth=3
	v_cmp_ne_u16_sdwa vcc, v2, v3 src0_sel:BYTE_0 src1_sel:DWORD
	s_andn2_b64 s[40:41], s[40:41], exec
	s_and_b64 vcc, vcc, exec
	v_mov_b32_e32 v8, 0
	s_or_b64 s[40:41], s[40:41], vcc
	s_or_b64 exec, exec, s[42:43]
	s_and_saveexec_b64 s[38:39], s[40:41]
	s_cbranch_execnz .LBB2_3047
	s_branch .LBB2_3048
.LBB2_3119:                             ;   in Loop: Header=BB2_1943 Depth=2
	s_or_b64 exec, exec, s[36:37]
	buffer_load_dword v47, off, s[0:3], s33 offset:168 ; 4-byte Folded Reload
	buffer_load_dword v56, off, s[0:3], s33 offset:172 ; 4-byte Folded Reload
	;; [unrolled: 1-line block ×8, first 2 shown]
.LBB2_3120:                             ;   in Loop: Header=BB2_1943 Depth=2
	s_or_b64 exec, exec, s[34:35]
	v_and_b32_e32 v2, 15, v4
	v_cndmask_b32_e64 v25, v31, v2, s[28:29]
	v_mov_b32_e32 v24, 0
	v_cmp_ne_u32_e32 vcc, 0, v25
	s_mov_b64 s[42:43], 0
                                        ; implicit-def: $vgpr40
                                        ; implicit-def: $vgpr1
	s_and_saveexec_b64 s[40:41], vcc
	s_cbranch_execz .LBB2_3122
; %bb.3121:                             ;   in Loop: Header=BB2_1943 Depth=2
	v_sub_u32_e32 v1, v31, v2
	v_cndmask_b32_e64 v1, 0, v1, s[28:29]
	v_cmp_lt_i32_e32 vcc, 0, v30
	s_waitcnt vmcnt(1)
	v_add3_u32 v24, v21, v9, v1
	v_cndmask_b32_e32 v1, 0, v35, vcc
	v_sub_u32_e32 v1, v1, v30
	s_waitcnt vmcnt(0)
	v_lshl_add_u32 v40, v1, 6, v10
	v_ashrrev_i32_e32 v1, 31, v40
	v_lshrrev_b32_e32 v1, 26, v1
	v_add_u32_e32 v1, v40, v1
	v_ashrrev_i32_e32 v1, 6, v1
	s_mov_b64 s[42:43], exec
.LBB2_3122:                             ;   in Loop: Header=BB2_1943 Depth=2
	s_or_b64 exec, exec, s[40:41]
	s_and_b64 s[40:41], s[42:43], exec
.LBB2_3123:                             ;   in Loop: Header=BB2_1943 Depth=2
	s_or_b64 exec, exec, s[30:31]
	s_and_saveexec_b64 s[42:43], s[40:41]
	s_cbranch_execz .LBB2_3494
.LBB2_3124:                             ;   in Loop: Header=BB2_1943 Depth=2
	s_waitcnt vmcnt(2)
	v_ashrrev_i32_e32 v2, 31, v25
	v_lshrrev_b32_e32 v2, 23, v2
	v_add_u32_e32 v2, v25, v2
	v_ashrrev_i32_e32 v52, 9, v2
	s_waitcnt vmcnt(0)
	v_sub_u32_e32 v41, v52, v1
	v_ashrrev_i32_e32 v2, 31, v40
	v_cmp_lt_i32_e32 vcc, 0, v41
	v_lshrrev_b32_e32 v2, 26, v2
	s_and_saveexec_b64 s[40:41], vcc
	s_cbranch_execz .LBB2_3448
; %bb.3125:                             ;   in Loop: Header=BB2_1943 Depth=2
	buffer_store_dword v2, off, s[0:3], s33 offset:248 ; 4-byte Folded Spill
	v_add_u32_e32 v2, v40, v2
	v_and_b32_e32 v2, 0xffffffc0, v2
	v_sub_u32_e32 v2, v40, v2
	v_lshlrev_b32_e32 v1, 9, v1
	v_add3_u32 v14, v24, v2, v1
	buffer_load_dword v1, off, s[0:3], s33 offset:188 ; 4-byte Folded Reload
	buffer_load_dword v2, off, s[0:3], s33 offset:192 ; 4-byte Folded Reload
	v_ashrrev_i32_e32 v15, 31, v14
	s_mov_b64 s[30:31], 0
	s_waitcnt vmcnt(1)
	v_add_co_u32_e32 v8, vcc, v14, v1
	s_waitcnt vmcnt(0)
	v_addc_co_u32_e32 v9, vcc, v15, v2, vcc
	buffer_load_dword v1, off, s[0:3], s33 offset:220 ; 4-byte Folded Reload
	buffer_load_dword v2, off, s[0:3], s33 offset:224 ; 4-byte Folded Reload
	s_trap 2
	s_waitcnt vmcnt(1)
	v_add_co_u32_e32 v10, vcc, v14, v1
	s_waitcnt vmcnt(0)
	v_addc_co_u32_e32 v11, vcc, v15, v2, vcc
	ds_read_b64 v[1:2], v0
	buffer_load_dword v4, off, s[0:3], s33 offset:176 ; 4-byte Folded Reload
	buffer_load_dword v5, off, s[0:3], s33 offset:180 ; 4-byte Folded Reload
	s_waitcnt vmcnt(1)
	v_add_co_u32_e32 v12, vcc, v14, v4
	s_waitcnt vmcnt(0)
	v_addc_co_u32_e32 v13, vcc, v15, v5, vcc
	s_waitcnt lgkmcnt(0)
	v_add_co_u32_e32 v14, vcc, v1, v14
	v_addc_co_u32_e32 v15, vcc, v2, v15, vcc
	s_branch .LBB2_3128
.LBB2_3126:                             ;   in Loop: Header=BB2_3128 Depth=3
	s_or_b64 exec, exec, s[34:35]
.LBB2_3127:                             ;   in Loop: Header=BB2_3128 Depth=3
	s_or_b64 exec, exec, s[28:29]
	v_add_co_u32_e32 v12, vcc, v12, v48
	v_addc_co_u32_e32 v13, vcc, 0, v13, vcc
	v_add_co_u32_e32 v14, vcc, v14, v48
	v_addc_co_u32_e32 v15, vcc, 0, v15, vcc
	flat_store_byte v[8:9], v37 glc slc
	flat_store_byte v[8:9], v30 offset:64 glc slc
	flat_store_byte v[8:9], v20 offset:128 glc slc
	;; [unrolled: 1-line block ×7, first 2 shown]
	flat_store_byte v[10:11], v37 glc slc
	flat_store_byte v[10:11], v30 offset:64 glc slc
	flat_store_byte v[10:11], v20 offset:128 glc slc
	flat_store_byte v[10:11], v18 offset:192 glc slc
	flat_store_byte v[10:11], v19 offset:256 glc slc
	flat_store_byte v[10:11], v21 offset:320 glc slc
	flat_store_byte v[10:11], v31 offset:384 glc slc
	flat_store_byte v[10:11], v1 offset:448 glc slc
	v_add_co_u32_e32 v8, vcc, v8, v48
	v_addc_co_u32_e32 v9, vcc, 0, v9, vcc
	v_sub_u32_e32 v41, v41, v35
	v_cmp_gt_i32_e32 vcc, 1, v41
	s_or_b64 s[30:31], vcc, s[30:31]
	v_add_co_u32_e32 v10, vcc, v10, v48
	v_addc_co_u32_e32 v11, vcc, 0, v11, vcc
	s_andn2_b64 exec, exec, s[30:31]
	s_cbranch_execz .LBB2_3447
.LBB2_3128:                             ;   Parent Loop BB2_47 Depth=1
                                        ;     Parent Loop BB2_1943 Depth=2
                                        ; =>    This Inner Loop Header: Depth=3
	flat_load_sbyte v2, v[12:13] glc slc
	flat_load_sbyte v16, v[12:13] offset:64 glc slc
	flat_load_sbyte v20, v[12:13] offset:128 glc slc
	flat_load_sbyte v18, v[12:13] offset:192 glc slc
	flat_load_sbyte v59, v[12:13] offset:256 glc slc
	flat_load_sbyte v57, v[12:13] offset:320 glc slc
	flat_load_sbyte v55, v[12:13] offset:384 glc slc
	flat_load_sbyte v45, v[12:13] offset:448 glc slc
	flat_load_sbyte v36, v[14:15] glc slc
	flat_load_sbyte v30, v[14:15] offset:64 glc slc
	flat_load_sbyte v19, v[14:15] offset:128 glc slc
	;; [unrolled: 1-line block ×7, first 2 shown]
	v_mov_b32_e32 v1, 0
	v_mov_b32_e32 v4, 0
	s_waitcnt vmcnt(0) lgkmcnt(0)
	v_cmp_ne_u16_e32 vcc, 0, v2
	s_and_saveexec_b64 s[28:29], vcc
	s_cbranch_execz .LBB2_3136
; %bb.3129:                             ;   in Loop: Header=BB2_3128 Depth=3
	v_cmp_ne_u16_e32 vcc, s70, v2
	v_bfrev_b32_e32 v4, 1
	s_and_saveexec_b64 s[34:35], vcc
	s_cbranch_execz .LBB2_3135
; %bb.3130:                             ;   in Loop: Header=BB2_3128 Depth=3
	v_and_b32_e32 v4, 0x7c, v2
	v_and_b32_e32 v5, 3, v2
	v_cmp_ne_u32_e32 vcc, s71, v4
                                        ; implicit-def: $vgpr4
	s_and_saveexec_b64 s[36:37], vcc
	s_xor_b64 s[36:37], exec, s[36:37]
	s_cbranch_execz .LBB2_3132
; %bb.3131:                             ;   in Loop: Header=BB2_3128 Depth=3
	v_ffbh_u32_e32 v17, v5
	v_min_u32_e32 v17, 32, v17
	v_and_b32_e32 v4, 0xff, v2
	v_subrev_u32_e32 v21, 29, v17
	v_bfe_u32 v4, v4, 2, 5
	v_lshlrev_b64 v[42:43], v21, v[2:3]
	v_sub_u32_e32 v17, 30, v17
	v_cmp_eq_u32_e32 vcc, 0, v4
	v_and_b32_e32 v21, 3, v42
	v_cndmask_b32_e32 v4, v4, v17, vcc
	v_and_b32_sdwa v2, sext(v2), s80 dst_sel:DWORD dst_unused:UNUSED_PAD src0_sel:WORD_0 src1_sel:DWORD
	v_cndmask_b32_e32 v5, v5, v21, vcc
	v_lshl_add_u32 v2, v4, 23, v2
	v_lshl_or_b32 v2, v5, 21, v2
	v_add_u32_e32 v4, 0x38000000, v2
                                        ; implicit-def: $vgpr5
.LBB2_3132:                             ;   in Loop: Header=BB2_3128 Depth=3
	s_andn2_saveexec_b64 s[36:37], s[36:37]
; %bb.3133:                             ;   in Loop: Header=BB2_3128 Depth=3
	v_cmp_lt_i16_e32 vcc, -1, v2
	v_cndmask_b32_e32 v2, v27, v6, vcc
	v_cmp_eq_u32_e32 vcc, 0, v5
	v_cndmask_b32_e32 v4, v7, v2, vcc
; %bb.3134:                             ;   in Loop: Header=BB2_3128 Depth=3
	s_or_b64 exec, exec, s[36:37]
.LBB2_3135:                             ;   in Loop: Header=BB2_3128 Depth=3
	s_or_b64 exec, exec, s[34:35]
.LBB2_3136:                             ;   in Loop: Header=BB2_3128 Depth=3
	s_or_b64 exec, exec, s[28:29]
	v_cmp_ne_u16_e32 vcc, 0, v36
	s_and_saveexec_b64 s[28:29], vcc
	s_cbranch_execz .LBB2_3144
; %bb.3137:                             ;   in Loop: Header=BB2_3128 Depth=3
	v_cmp_ne_u16_e32 vcc, s70, v36
	v_bfrev_b32_e32 v1, 1
	s_and_saveexec_b64 s[34:35], vcc
	s_cbranch_execz .LBB2_3143
; %bb.3138:                             ;   in Loop: Header=BB2_3128 Depth=3
	v_and_b32_e32 v1, 0x7c, v36
	v_and_b32_e32 v2, 3, v36
	v_cmp_ne_u32_e32 vcc, s71, v1
                                        ; implicit-def: $vgpr1
	s_and_saveexec_b64 s[36:37], vcc
	s_xor_b64 s[36:37], exec, s[36:37]
	s_cbranch_execz .LBB2_3140
; %bb.3139:                             ;   in Loop: Header=BB2_3128 Depth=3
	v_ffbh_u32_e32 v5, v2
	v_min_u32_e32 v5, 32, v5
	v_and_b32_e32 v1, 0xff, v36
	v_mov_b32_e32 v37, v3
	v_subrev_u32_e32 v17, 29, v5
	v_bfe_u32 v1, v1, 2, 5
	v_lshlrev_b64 v[42:43], v17, v[36:37]
	v_sub_u32_e32 v5, 30, v5
	v_cmp_eq_u32_e32 vcc, 0, v1
	v_and_b32_e32 v17, 3, v42
	v_cndmask_b32_e32 v1, v1, v5, vcc
	v_and_b32_sdwa v5, sext(v36), s80 dst_sel:DWORD dst_unused:UNUSED_PAD src0_sel:WORD_0 src1_sel:DWORD
	v_cndmask_b32_e32 v2, v2, v17, vcc
	v_lshl_add_u32 v1, v1, 23, v5
	v_lshl_or_b32 v1, v2, 21, v1
	v_add_u32_e32 v1, 0x38000000, v1
                                        ; implicit-def: $vgpr2
                                        ; implicit-def: $vgpr36
.LBB2_3140:                             ;   in Loop: Header=BB2_3128 Depth=3
	s_andn2_saveexec_b64 s[36:37], s[36:37]
; %bb.3141:                             ;   in Loop: Header=BB2_3128 Depth=3
	v_cmp_lt_i16_e32 vcc, -1, v36
	v_cndmask_b32_e32 v1, v27, v6, vcc
	v_cmp_eq_u32_e32 vcc, 0, v2
	v_cndmask_b32_e32 v1, v7, v1, vcc
; %bb.3142:                             ;   in Loop: Header=BB2_3128 Depth=3
	s_or_b64 exec, exec, s[36:37]
.LBB2_3143:                             ;   in Loop: Header=BB2_3128 Depth=3
	s_or_b64 exec, exec, s[34:35]
.LBB2_3144:                             ;   in Loop: Header=BB2_3128 Depth=3
	s_or_b64 exec, exec, s[28:29]
	v_mul_f32_e32 v1, v4, v1
	v_and_b32_e32 v4, 0x7f800000, v1
	v_mov_b32_e32 v5, v3
	v_cmp_ne_u64_e32 vcc, s[62:63], v[4:5]
	v_and_b32_e32 v2, 0x7fffff, v1
                                        ; implicit-def: $vgpr37
	s_and_saveexec_b64 s[28:29], vcc
	s_xor_b64 s[34:35], exec, s[28:29]
	s_cbranch_execz .LBB2_3162
; %bb.3145:                             ;   in Loop: Header=BB2_3128 Depth=3
	v_and_b32_e32 v4, 0x7fffffff, v1
	v_mov_b32_e32 v5, v3
	v_cmp_gt_u64_e32 vcc, s[78:79], v[4:5]
	v_and_b32_sdwa v17, v1, s82 dst_sel:DWORD dst_unused:UNUSED_PAD src0_sel:BYTE_3 src1_sel:DWORD
                                        ; implicit-def: $vgpr37
	s_and_saveexec_b64 s[28:29], vcc
	s_xor_b64 s[36:37], exec, s[28:29]
	s_cbranch_execz .LBB2_3159
; %bb.3146:                             ;   in Loop: Header=BB2_3128 Depth=3
	v_cmp_ne_u32_e32 vcc, 0, v1
	v_mov_b32_e32 v37, 0
	s_and_saveexec_b64 s[38:39], vcc
	s_cbranch_execz .LBB2_3158
; %bb.3147:                             ;   in Loop: Header=BB2_3128 Depth=3
	v_bfe_u32 v1, v1, 23, 8
	v_cmp_gt_u32_e64 s[28:29], s44, v1
	v_sub_u32_e32 v4, 0x71, v1
	v_cmp_eq_u32_e32 vcc, 0, v1
	v_cndmask_b32_e64 v4, 0, v4, s[28:29]
	v_mov_b32_e32 v21, 0x70
	v_cndmask_b32_e32 v21, v4, v21, vcc
	v_or_b32_e32 v5, 0x800000, v2
	v_add_u32_e32 v4, 21, v21
	v_cndmask_b32_e32 v2, v5, v2, vcc
	v_lshlrev_b64 v[4:5], v4, -1
	v_add_u32_e32 v31, 20, v21
	v_lshlrev_b64 v[36:37], v31, 1
	v_bfi_b32 v5, v5, 0, 0
	v_bfi_b32 v4, v4, 0, v2
	v_cmp_eq_u64_e64 s[28:29], v[4:5], v[36:37]
	v_lshrrev_b64 v[36:37], v21, v[2:3]
	v_mov_b32_e32 v4, v36
	v_mov_b32_e32 v5, v37
	s_and_saveexec_b64 s[48:49], s[28:29]
; %bb.3148:                             ;   in Loop: Header=BB2_3128 Depth=3
	v_bfe_u32 v2, v36, 21, 1
	v_add_co_u32_e64 v2, s[28:29], v36, v2
	v_add_co_u32_e64 v4, s[28:29], -1, v2
; %bb.3149:                             ;   in Loop: Header=BB2_3128 Depth=3
	s_or_b64 exec, exec, s[48:49]
	v_add_u32_e32 v1, 0xffffff81, v1
	v_mov_b32_e32 v2, 0xffffff82
	v_cndmask_b32_e32 v1, v1, v2, vcc
	v_lshrrev_b32_e32 v2, 23, v36
	v_add3_u32 v21, v21, v1, v2
	v_add_u32_e32 v5, 14, v21
	v_and_b32_e32 v1, 0x1fffff, v4
	v_add_u32_e32 v2, v1, v36
	v_cmp_ne_u32_e32 vcc, 0, v5
                                        ; implicit-def: $vgpr36_vgpr37
                                        ; implicit-def: $vgpr1
	s_and_saveexec_b64 s[28:29], vcc
	s_xor_b64 s[28:29], exec, s[28:29]
; %bb.3150:                             ;   in Loop: Header=BB2_3128 Depth=3
	v_cmp_lt_u64_e32 vcc, s[88:89], v[2:3]
	v_add_u32_e32 v1, 15, v21
	v_cndmask_b32_e64 v4, 0, 1, vcc
	v_cndmask_b32_e32 v1, v5, v1, vcc
	v_lshrrev_b64 v[36:37], v4, v[2:3]
; %bb.3151:                             ;   in Loop: Header=BB2_3128 Depth=3
	s_andn2_saveexec_b64 s[28:29], s[28:29]
; %bb.3152:                             ;   in Loop: Header=BB2_3128 Depth=3
	v_mov_b32_e32 v37, v3
	v_bfe_u32 v1, v2, 23, 1
	v_mov_b32_e32 v36, v2
; %bb.3153:                             ;   in Loop: Header=BB2_3128 Depth=3
	s_or_b64 exec, exec, s[28:29]
	v_lshrrev_b64 v[4:5], 21, v[36:37]
	v_cmp_gt_i32_e32 vcc, 32, v1
	v_cndmask_b32_e32 v37, 0, v5, vcc
	v_cndmask_b32_e32 v36, 3, v4, vcc
	v_cmp_ne_u64_e32 vcc, 0, v[36:37]
	v_cmp_ne_u32_e64 s[28:29], 0, v1
	s_or_b64 s[28:29], s[28:29], vcc
                                        ; implicit-def: $vgpr37
	s_and_saveexec_b64 vcc, s[28:29]
	s_xor_b64 s[28:29], exec, vcc
; %bb.3154:                             ;   in Loop: Header=BB2_3128 Depth=3
	v_min_i32_e32 v1, 31, v1
	v_lshl_or_b32 v1, v1, 2, v17
	v_and_or_b32 v37, v36, 3, v1
                                        ; implicit-def: $vgpr17
; %bb.3155:                             ;   in Loop: Header=BB2_3128 Depth=3
	s_andn2_saveexec_b64 s[28:29], s[28:29]
; %bb.3156:                             ;   in Loop: Header=BB2_3128 Depth=3
	v_mov_b32_e32 v37, v17
; %bb.3157:                             ;   in Loop: Header=BB2_3128 Depth=3
	s_or_b64 exec, exec, s[28:29]
.LBB2_3158:                             ;   in Loop: Header=BB2_3128 Depth=3
	s_or_b64 exec, exec, s[38:39]
                                        ; implicit-def: $vgpr17
.LBB2_3159:                             ;   in Loop: Header=BB2_3128 Depth=3
	s_andn2_saveexec_b64 s[28:29], s[36:37]
; %bb.3160:                             ;   in Loop: Header=BB2_3128 Depth=3
	v_or_b32_e32 v37, 0x7b, v17
; %bb.3161:                             ;   in Loop: Header=BB2_3128 Depth=3
	s_or_b64 exec, exec, s[28:29]
                                        ; implicit-def: $vgpr1
.LBB2_3162:                             ;   in Loop: Header=BB2_3128 Depth=3
	s_andn2_saveexec_b64 s[28:29], s[34:35]
	s_cbranch_execz .LBB2_3168
; %bb.3163:                             ;   in Loop: Header=BB2_3128 Depth=3
	v_cmp_ne_u64_e32 vcc, 0, v[2:3]
                                        ; implicit-def: $vgpr37
	s_and_saveexec_b64 s[34:35], vcc
	s_xor_b64 vcc, exec, s[34:35]
; %bb.3164:                             ;   in Loop: Header=BB2_3128 Depth=3
	v_or_b32_sdwa v37, v1, s81 dst_sel:DWORD dst_unused:UNUSED_PAD src0_sel:BYTE_3 src1_sel:DWORD
                                        ; implicit-def: $vgpr1
; %bb.3165:                             ;   in Loop: Header=BB2_3128 Depth=3
	s_andn2_saveexec_b64 s[34:35], vcc
; %bb.3166:                             ;   in Loop: Header=BB2_3128 Depth=3
	v_cmp_lt_i32_e32 vcc, -1, v1
	v_cndmask_b32_e32 v37, -4, v49, vcc
; %bb.3167:                             ;   in Loop: Header=BB2_3128 Depth=3
	s_or_b64 exec, exec, s[34:35]
.LBB2_3168:                             ;   in Loop: Header=BB2_3128 Depth=3
	s_or_b64 exec, exec, s[28:29]
	v_cmp_ne_u16_e32 vcc, 0, v16
	v_mov_b32_e32 v1, 0
	v_mov_b32_e32 v2, 0
	s_and_saveexec_b64 s[28:29], vcc
	s_cbranch_execz .LBB2_3176
; %bb.3169:                             ;   in Loop: Header=BB2_3128 Depth=3
	v_cmp_ne_u16_e32 vcc, s70, v16
	v_bfrev_b32_e32 v2, 1
	s_and_saveexec_b64 s[34:35], vcc
	s_cbranch_execz .LBB2_3175
; %bb.3170:                             ;   in Loop: Header=BB2_3128 Depth=3
	v_and_b32_e32 v2, 0x7c, v16
	v_and_b32_e32 v4, 3, v16
	v_cmp_ne_u32_e32 vcc, s71, v2
                                        ; implicit-def: $vgpr2
	s_and_saveexec_b64 s[36:37], vcc
	s_xor_b64 s[36:37], exec, s[36:37]
	s_cbranch_execz .LBB2_3172
; %bb.3171:                             ;   in Loop: Header=BB2_3128 Depth=3
	v_ffbh_u32_e32 v5, v4
	v_min_u32_e32 v5, 32, v5
	v_and_b32_e32 v2, 0xff, v16
	v_mov_b32_e32 v17, v3
	v_subrev_u32_e32 v21, 29, v5
	v_bfe_u32 v2, v2, 2, 5
	v_lshlrev_b64 v[42:43], v21, v[16:17]
	v_sub_u32_e32 v5, 30, v5
	v_cmp_eq_u32_e32 vcc, 0, v2
	v_and_b32_e32 v17, 3, v42
	v_cndmask_b32_e32 v2, v2, v5, vcc
	v_and_b32_sdwa v5, sext(v16), s80 dst_sel:DWORD dst_unused:UNUSED_PAD src0_sel:WORD_0 src1_sel:DWORD
	v_cndmask_b32_e32 v4, v4, v17, vcc
	v_lshl_add_u32 v2, v2, 23, v5
	v_lshl_or_b32 v2, v4, 21, v2
	v_add_u32_e32 v2, 0x38000000, v2
                                        ; implicit-def: $vgpr4
                                        ; implicit-def: $vgpr16
.LBB2_3172:                             ;   in Loop: Header=BB2_3128 Depth=3
	s_andn2_saveexec_b64 s[36:37], s[36:37]
; %bb.3173:                             ;   in Loop: Header=BB2_3128 Depth=3
	v_cmp_lt_i16_e32 vcc, -1, v16
	v_cndmask_b32_e32 v2, v27, v6, vcc
	v_cmp_eq_u32_e32 vcc, 0, v4
	v_cndmask_b32_e32 v2, v7, v2, vcc
; %bb.3174:                             ;   in Loop: Header=BB2_3128 Depth=3
	s_or_b64 exec, exec, s[36:37]
.LBB2_3175:                             ;   in Loop: Header=BB2_3128 Depth=3
	s_or_b64 exec, exec, s[34:35]
.LBB2_3176:                             ;   in Loop: Header=BB2_3128 Depth=3
	s_or_b64 exec, exec, s[28:29]
	v_cmp_ne_u16_e32 vcc, 0, v30
	s_and_saveexec_b64 s[28:29], vcc
	s_cbranch_execz .LBB2_3184
; %bb.3177:                             ;   in Loop: Header=BB2_3128 Depth=3
	v_cmp_ne_u16_e32 vcc, s70, v30
	v_bfrev_b32_e32 v1, 1
	s_and_saveexec_b64 s[34:35], vcc
	s_cbranch_execz .LBB2_3183
; %bb.3178:                             ;   in Loop: Header=BB2_3128 Depth=3
	v_and_b32_e32 v1, 0x7c, v30
	v_and_b32_e32 v4, 3, v30
	v_cmp_ne_u32_e32 vcc, s71, v1
                                        ; implicit-def: $vgpr1
	s_and_saveexec_b64 s[36:37], vcc
	s_xor_b64 s[36:37], exec, s[36:37]
	s_cbranch_execz .LBB2_3180
; %bb.3179:                             ;   in Loop: Header=BB2_3128 Depth=3
	v_ffbh_u32_e32 v5, v4
	v_min_u32_e32 v5, 32, v5
	v_and_b32_e32 v1, 0xff, v30
	v_mov_b32_e32 v31, v3
	v_subrev_u32_e32 v16, 29, v5
	v_bfe_u32 v1, v1, 2, 5
	v_lshlrev_b64 v[16:17], v16, v[30:31]
	v_sub_u32_e32 v5, 30, v5
	v_cmp_eq_u32_e32 vcc, 0, v1
	v_and_b32_e32 v16, 3, v16
	v_cndmask_b32_e32 v1, v1, v5, vcc
	v_and_b32_sdwa v5, sext(v30), s80 dst_sel:DWORD dst_unused:UNUSED_PAD src0_sel:WORD_0 src1_sel:DWORD
	v_cndmask_b32_e32 v4, v4, v16, vcc
	v_lshl_add_u32 v1, v1, 23, v5
	v_lshl_or_b32 v1, v4, 21, v1
	v_add_u32_e32 v1, 0x38000000, v1
                                        ; implicit-def: $vgpr4
                                        ; implicit-def: $vgpr30
.LBB2_3180:                             ;   in Loop: Header=BB2_3128 Depth=3
	s_andn2_saveexec_b64 s[36:37], s[36:37]
; %bb.3181:                             ;   in Loop: Header=BB2_3128 Depth=3
	v_cmp_lt_i16_e32 vcc, -1, v30
	v_cndmask_b32_e32 v1, v27, v6, vcc
	v_cmp_eq_u32_e32 vcc, 0, v4
	v_cndmask_b32_e32 v1, v7, v1, vcc
; %bb.3182:                             ;   in Loop: Header=BB2_3128 Depth=3
	s_or_b64 exec, exec, s[36:37]
.LBB2_3183:                             ;   in Loop: Header=BB2_3128 Depth=3
	s_or_b64 exec, exec, s[34:35]
.LBB2_3184:                             ;   in Loop: Header=BB2_3128 Depth=3
	s_or_b64 exec, exec, s[28:29]
	v_mul_f32_e32 v1, v2, v1
	v_and_b32_e32 v4, 0x7f800000, v1
	v_mov_b32_e32 v5, v3
	v_cmp_ne_u64_e32 vcc, s[62:63], v[4:5]
	v_and_b32_e32 v2, 0x7fffff, v1
                                        ; implicit-def: $vgpr30
	s_and_saveexec_b64 s[28:29], vcc
	s_xor_b64 s[34:35], exec, s[28:29]
	s_cbranch_execz .LBB2_3202
; %bb.3185:                             ;   in Loop: Header=BB2_3128 Depth=3
	v_and_b32_e32 v4, 0x7fffffff, v1
	v_mov_b32_e32 v5, v3
	v_cmp_gt_u64_e32 vcc, s[78:79], v[4:5]
	v_and_b32_sdwa v21, v1, s82 dst_sel:DWORD dst_unused:UNUSED_PAD src0_sel:BYTE_3 src1_sel:DWORD
                                        ; implicit-def: $vgpr30
	s_and_saveexec_b64 s[28:29], vcc
	s_xor_b64 s[36:37], exec, s[28:29]
	s_cbranch_execz .LBB2_3199
; %bb.3186:                             ;   in Loop: Header=BB2_3128 Depth=3
	v_cmp_ne_u32_e32 vcc, 0, v1
	v_mov_b32_e32 v30, 0
	s_and_saveexec_b64 s[38:39], vcc
	s_cbranch_execz .LBB2_3198
; %bb.3187:                             ;   in Loop: Header=BB2_3128 Depth=3
	v_bfe_u32 v1, v1, 23, 8
	v_cmp_gt_u32_e64 s[28:29], s44, v1
	v_sub_u32_e32 v4, 0x71, v1
	v_cmp_eq_u32_e32 vcc, 0, v1
	v_cndmask_b32_e64 v4, 0, v4, s[28:29]
	v_mov_b32_e32 v16, 0x70
	v_cndmask_b32_e32 v30, v4, v16, vcc
	v_or_b32_e32 v5, 0x800000, v2
	v_add_u32_e32 v4, 21, v30
	v_cndmask_b32_e32 v2, v5, v2, vcc
	v_lshlrev_b64 v[4:5], v4, -1
	v_add_u32_e32 v16, 20, v30
	v_lshlrev_b64 v[16:17], v16, 1
	v_bfi_b32 v5, v5, 0, 0
	v_bfi_b32 v4, v4, 0, v2
	v_cmp_eq_u64_e64 s[28:29], v[4:5], v[16:17]
	v_lshrrev_b64 v[16:17], v30, v[2:3]
	v_mov_b32_e32 v4, v16
	v_mov_b32_e32 v5, v17
	s_and_saveexec_b64 s[48:49], s[28:29]
; %bb.3188:                             ;   in Loop: Header=BB2_3128 Depth=3
	v_bfe_u32 v2, v16, 21, 1
	v_add_co_u32_e64 v2, s[28:29], v16, v2
	v_add_co_u32_e64 v4, s[28:29], -1, v2
; %bb.3189:                             ;   in Loop: Header=BB2_3128 Depth=3
	s_or_b64 exec, exec, s[48:49]
	v_add_u32_e32 v1, 0xffffff81, v1
	v_mov_b32_e32 v2, 0xffffff82
	v_cndmask_b32_e32 v1, v1, v2, vcc
	v_lshrrev_b32_e32 v2, 23, v16
	v_add3_u32 v30, v30, v1, v2
	v_add_u32_e32 v5, 14, v30
	v_and_b32_e32 v1, 0x1fffff, v4
	v_add_u32_e32 v2, v1, v16
	v_cmp_ne_u32_e32 vcc, 0, v5
                                        ; implicit-def: $vgpr16_vgpr17
                                        ; implicit-def: $vgpr1
	s_and_saveexec_b64 s[28:29], vcc
	s_xor_b64 s[28:29], exec, s[28:29]
; %bb.3190:                             ;   in Loop: Header=BB2_3128 Depth=3
	v_cmp_lt_u64_e32 vcc, s[88:89], v[2:3]
	v_add_u32_e32 v1, 15, v30
	v_cndmask_b32_e64 v4, 0, 1, vcc
	v_lshrrev_b64 v[16:17], v4, v[2:3]
	v_cndmask_b32_e32 v1, v5, v1, vcc
; %bb.3191:                             ;   in Loop: Header=BB2_3128 Depth=3
	s_andn2_saveexec_b64 s[28:29], s[28:29]
; %bb.3192:                             ;   in Loop: Header=BB2_3128 Depth=3
	v_mov_b32_e32 v17, v3
	v_bfe_u32 v1, v2, 23, 1
	v_mov_b32_e32 v16, v2
; %bb.3193:                             ;   in Loop: Header=BB2_3128 Depth=3
	s_or_b64 exec, exec, s[28:29]
	v_lshrrev_b64 v[4:5], 21, v[16:17]
	v_cmp_gt_i32_e32 vcc, 32, v1
	v_cndmask_b32_e32 v17, 0, v5, vcc
	v_cndmask_b32_e32 v16, 3, v4, vcc
	v_cmp_ne_u64_e32 vcc, 0, v[16:17]
	v_cmp_ne_u32_e64 s[28:29], 0, v1
	s_or_b64 s[28:29], s[28:29], vcc
                                        ; implicit-def: $vgpr30
	s_and_saveexec_b64 vcc, s[28:29]
	s_xor_b64 s[28:29], exec, vcc
; %bb.3194:                             ;   in Loop: Header=BB2_3128 Depth=3
	v_min_i32_e32 v1, 31, v1
	v_lshl_or_b32 v1, v1, 2, v21
	v_and_or_b32 v30, v16, 3, v1
                                        ; implicit-def: $vgpr21
; %bb.3195:                             ;   in Loop: Header=BB2_3128 Depth=3
	s_andn2_saveexec_b64 s[28:29], s[28:29]
; %bb.3196:                             ;   in Loop: Header=BB2_3128 Depth=3
	v_mov_b32_e32 v30, v21
; %bb.3197:                             ;   in Loop: Header=BB2_3128 Depth=3
	s_or_b64 exec, exec, s[28:29]
.LBB2_3198:                             ;   in Loop: Header=BB2_3128 Depth=3
	s_or_b64 exec, exec, s[38:39]
                                        ; implicit-def: $vgpr21
.LBB2_3199:                             ;   in Loop: Header=BB2_3128 Depth=3
	s_andn2_saveexec_b64 s[28:29], s[36:37]
; %bb.3200:                             ;   in Loop: Header=BB2_3128 Depth=3
	v_or_b32_e32 v30, 0x7b, v21
; %bb.3201:                             ;   in Loop: Header=BB2_3128 Depth=3
	s_or_b64 exec, exec, s[28:29]
                                        ; implicit-def: $vgpr1
.LBB2_3202:                             ;   in Loop: Header=BB2_3128 Depth=3
	s_andn2_saveexec_b64 s[28:29], s[34:35]
	s_cbranch_execz .LBB2_3208
; %bb.3203:                             ;   in Loop: Header=BB2_3128 Depth=3
	v_cmp_ne_u64_e32 vcc, 0, v[2:3]
                                        ; implicit-def: $vgpr30
	s_and_saveexec_b64 s[34:35], vcc
	s_xor_b64 vcc, exec, s[34:35]
; %bb.3204:                             ;   in Loop: Header=BB2_3128 Depth=3
	v_or_b32_sdwa v30, v1, s81 dst_sel:DWORD dst_unused:UNUSED_PAD src0_sel:BYTE_3 src1_sel:DWORD
                                        ; implicit-def: $vgpr1
; %bb.3205:                             ;   in Loop: Header=BB2_3128 Depth=3
	s_andn2_saveexec_b64 s[34:35], vcc
; %bb.3206:                             ;   in Loop: Header=BB2_3128 Depth=3
	v_cmp_lt_i32_e32 vcc, -1, v1
	v_cndmask_b32_e32 v30, -4, v49, vcc
; %bb.3207:                             ;   in Loop: Header=BB2_3128 Depth=3
	s_or_b64 exec, exec, s[34:35]
.LBB2_3208:                             ;   in Loop: Header=BB2_3128 Depth=3
	s_or_b64 exec, exec, s[28:29]
	v_cmp_ne_u16_e32 vcc, 0, v20
	v_mov_b32_e32 v1, 0
	v_mov_b32_e32 v2, 0
	s_and_saveexec_b64 s[28:29], vcc
	s_cbranch_execz .LBB2_3216
; %bb.3209:                             ;   in Loop: Header=BB2_3128 Depth=3
	v_cmp_ne_u16_e32 vcc, s70, v20
	v_bfrev_b32_e32 v2, 1
	s_and_saveexec_b64 s[34:35], vcc
	s_cbranch_execz .LBB2_3215
; %bb.3210:                             ;   in Loop: Header=BB2_3128 Depth=3
	v_and_b32_e32 v2, 0x7c, v20
	v_and_b32_e32 v4, 3, v20
	v_cmp_ne_u32_e32 vcc, s71, v2
                                        ; implicit-def: $vgpr2
	s_and_saveexec_b64 s[36:37], vcc
	s_xor_b64 s[36:37], exec, s[36:37]
	s_cbranch_execz .LBB2_3212
; %bb.3211:                             ;   in Loop: Header=BB2_3128 Depth=3
	v_ffbh_u32_e32 v5, v4
	v_min_u32_e32 v5, 32, v5
	v_and_b32_e32 v2, 0xff, v20
	v_mov_b32_e32 v21, v3
	v_subrev_u32_e32 v16, 29, v5
	v_bfe_u32 v2, v2, 2, 5
	v_lshlrev_b64 v[16:17], v16, v[20:21]
	v_sub_u32_e32 v5, 30, v5
	v_cmp_eq_u32_e32 vcc, 0, v2
	v_and_b32_e32 v16, 3, v16
	v_cndmask_b32_e32 v2, v2, v5, vcc
	v_and_b32_sdwa v5, sext(v20), s80 dst_sel:DWORD dst_unused:UNUSED_PAD src0_sel:WORD_0 src1_sel:DWORD
	v_cndmask_b32_e32 v4, v4, v16, vcc
	v_lshl_add_u32 v2, v2, 23, v5
	v_lshl_or_b32 v2, v4, 21, v2
	v_add_u32_e32 v2, 0x38000000, v2
                                        ; implicit-def: $vgpr4
                                        ; implicit-def: $vgpr20
.LBB2_3212:                             ;   in Loop: Header=BB2_3128 Depth=3
	s_andn2_saveexec_b64 s[36:37], s[36:37]
; %bb.3213:                             ;   in Loop: Header=BB2_3128 Depth=3
	v_cmp_lt_i16_e32 vcc, -1, v20
	v_cndmask_b32_e32 v2, v27, v6, vcc
	v_cmp_eq_u32_e32 vcc, 0, v4
	v_cndmask_b32_e32 v2, v7, v2, vcc
; %bb.3214:                             ;   in Loop: Header=BB2_3128 Depth=3
	s_or_b64 exec, exec, s[36:37]
.LBB2_3215:                             ;   in Loop: Header=BB2_3128 Depth=3
	s_or_b64 exec, exec, s[34:35]
.LBB2_3216:                             ;   in Loop: Header=BB2_3128 Depth=3
	s_or_b64 exec, exec, s[28:29]
	v_cmp_ne_u16_e32 vcc, 0, v19
	s_and_saveexec_b64 s[28:29], vcc
	s_cbranch_execz .LBB2_3224
; %bb.3217:                             ;   in Loop: Header=BB2_3128 Depth=3
	v_cmp_ne_u16_e32 vcc, s70, v19
	v_bfrev_b32_e32 v1, 1
	s_and_saveexec_b64 s[34:35], vcc
	s_cbranch_execz .LBB2_3223
; %bb.3218:                             ;   in Loop: Header=BB2_3128 Depth=3
	v_and_b32_e32 v1, 0x7c, v19
	v_and_b32_e32 v4, 3, v19
	v_cmp_ne_u32_e32 vcc, s71, v1
                                        ; implicit-def: $vgpr1
	s_and_saveexec_b64 s[36:37], vcc
	s_xor_b64 s[36:37], exec, s[36:37]
	s_cbranch_execz .LBB2_3220
; %bb.3219:                             ;   in Loop: Header=BB2_3128 Depth=3
	v_ffbh_u32_e32 v5, v4
	v_min_u32_e32 v5, 32, v5
	v_and_b32_e32 v1, 0xff, v19
	v_mov_b32_e32 v20, v3
	v_subrev_u32_e32 v16, 29, v5
	v_bfe_u32 v1, v1, 2, 5
	v_lshlrev_b64 v[16:17], v16, v[19:20]
	v_sub_u32_e32 v5, 30, v5
	v_cmp_eq_u32_e32 vcc, 0, v1
	v_and_b32_e32 v16, 3, v16
	v_cndmask_b32_e32 v1, v1, v5, vcc
	v_and_b32_sdwa v5, sext(v19), s80 dst_sel:DWORD dst_unused:UNUSED_PAD src0_sel:WORD_0 src1_sel:DWORD
	v_cndmask_b32_e32 v4, v4, v16, vcc
	v_lshl_add_u32 v1, v1, 23, v5
	v_lshl_or_b32 v1, v4, 21, v1
	v_add_u32_e32 v1, 0x38000000, v1
                                        ; implicit-def: $vgpr4
                                        ; implicit-def: $vgpr19
.LBB2_3220:                             ;   in Loop: Header=BB2_3128 Depth=3
	s_andn2_saveexec_b64 s[36:37], s[36:37]
; %bb.3221:                             ;   in Loop: Header=BB2_3128 Depth=3
	v_cmp_lt_i16_e32 vcc, -1, v19
	v_cndmask_b32_e32 v1, v27, v6, vcc
	v_cmp_eq_u32_e32 vcc, 0, v4
	v_cndmask_b32_e32 v1, v7, v1, vcc
; %bb.3222:                             ;   in Loop: Header=BB2_3128 Depth=3
	s_or_b64 exec, exec, s[36:37]
.LBB2_3223:                             ;   in Loop: Header=BB2_3128 Depth=3
	s_or_b64 exec, exec, s[34:35]
.LBB2_3224:                             ;   in Loop: Header=BB2_3128 Depth=3
	s_or_b64 exec, exec, s[28:29]
	v_mul_f32_e32 v1, v2, v1
	v_and_b32_e32 v4, 0x7f800000, v1
	v_mov_b32_e32 v5, v3
	v_cmp_ne_u64_e32 vcc, s[62:63], v[4:5]
	v_and_b32_e32 v2, 0x7fffff, v1
                                        ; implicit-def: $vgpr20
	s_and_saveexec_b64 s[28:29], vcc
	s_xor_b64 s[34:35], exec, s[28:29]
	s_cbranch_execz .LBB2_3242
; %bb.3225:                             ;   in Loop: Header=BB2_3128 Depth=3
	v_and_b32_e32 v4, 0x7fffffff, v1
	v_mov_b32_e32 v5, v3
	v_cmp_gt_u64_e32 vcc, s[78:79], v[4:5]
	v_and_b32_sdwa v19, v1, s82 dst_sel:DWORD dst_unused:UNUSED_PAD src0_sel:BYTE_3 src1_sel:DWORD
                                        ; implicit-def: $vgpr20
	s_and_saveexec_b64 s[28:29], vcc
	s_xor_b64 s[36:37], exec, s[28:29]
	s_cbranch_execz .LBB2_3239
; %bb.3226:                             ;   in Loop: Header=BB2_3128 Depth=3
	v_cmp_ne_u32_e32 vcc, 0, v1
	v_mov_b32_e32 v20, 0
	s_and_saveexec_b64 s[38:39], vcc
	s_cbranch_execz .LBB2_3238
; %bb.3227:                             ;   in Loop: Header=BB2_3128 Depth=3
	v_bfe_u32 v1, v1, 23, 8
	v_cmp_gt_u32_e64 s[28:29], s44, v1
	v_sub_u32_e32 v4, 0x71, v1
	v_cmp_eq_u32_e32 vcc, 0, v1
	v_cndmask_b32_e64 v4, 0, v4, s[28:29]
	v_mov_b32_e32 v16, 0x70
	v_cndmask_b32_e32 v20, v4, v16, vcc
	v_or_b32_e32 v5, 0x800000, v2
	v_add_u32_e32 v4, 21, v20
	v_cndmask_b32_e32 v2, v5, v2, vcc
	v_lshlrev_b64 v[4:5], v4, -1
	v_add_u32_e32 v16, 20, v20
	v_lshlrev_b64 v[16:17], v16, 1
	v_bfi_b32 v5, v5, 0, 0
	v_bfi_b32 v4, v4, 0, v2
	v_cmp_eq_u64_e64 s[28:29], v[4:5], v[16:17]
	v_lshrrev_b64 v[16:17], v20, v[2:3]
	v_mov_b32_e32 v4, v16
	v_mov_b32_e32 v5, v17
	s_and_saveexec_b64 s[48:49], s[28:29]
; %bb.3228:                             ;   in Loop: Header=BB2_3128 Depth=3
	v_bfe_u32 v2, v16, 21, 1
	v_add_co_u32_e64 v2, s[28:29], v16, v2
	v_add_co_u32_e64 v4, s[28:29], -1, v2
; %bb.3229:                             ;   in Loop: Header=BB2_3128 Depth=3
	s_or_b64 exec, exec, s[48:49]
	v_add_u32_e32 v1, 0xffffff81, v1
	v_mov_b32_e32 v2, 0xffffff82
	v_cndmask_b32_e32 v1, v1, v2, vcc
	v_lshrrev_b32_e32 v2, 23, v16
	v_add3_u32 v20, v20, v1, v2
	v_add_u32_e32 v5, 14, v20
	v_and_b32_e32 v1, 0x1fffff, v4
	v_add_u32_e32 v2, v1, v16
	v_cmp_ne_u32_e32 vcc, 0, v5
                                        ; implicit-def: $vgpr16_vgpr17
                                        ; implicit-def: $vgpr1
	s_and_saveexec_b64 s[28:29], vcc
	s_xor_b64 s[28:29], exec, s[28:29]
; %bb.3230:                             ;   in Loop: Header=BB2_3128 Depth=3
	v_cmp_lt_u64_e32 vcc, s[88:89], v[2:3]
	v_add_u32_e32 v1, 15, v20
	v_cndmask_b32_e64 v4, 0, 1, vcc
	v_lshrrev_b64 v[16:17], v4, v[2:3]
	v_cndmask_b32_e32 v1, v5, v1, vcc
; %bb.3231:                             ;   in Loop: Header=BB2_3128 Depth=3
	s_andn2_saveexec_b64 s[28:29], s[28:29]
; %bb.3232:                             ;   in Loop: Header=BB2_3128 Depth=3
	v_mov_b32_e32 v17, v3
	v_bfe_u32 v1, v2, 23, 1
	v_mov_b32_e32 v16, v2
; %bb.3233:                             ;   in Loop: Header=BB2_3128 Depth=3
	s_or_b64 exec, exec, s[28:29]
	v_lshrrev_b64 v[4:5], 21, v[16:17]
	v_cmp_gt_i32_e32 vcc, 32, v1
	v_cndmask_b32_e32 v17, 0, v5, vcc
	v_cndmask_b32_e32 v16, 3, v4, vcc
	v_cmp_ne_u64_e32 vcc, 0, v[16:17]
	v_cmp_ne_u32_e64 s[28:29], 0, v1
	s_or_b64 s[28:29], s[28:29], vcc
                                        ; implicit-def: $vgpr20
	s_and_saveexec_b64 vcc, s[28:29]
	s_xor_b64 s[28:29], exec, vcc
; %bb.3234:                             ;   in Loop: Header=BB2_3128 Depth=3
	v_min_i32_e32 v1, 31, v1
	v_lshl_or_b32 v1, v1, 2, v19
	v_and_or_b32 v20, v16, 3, v1
                                        ; implicit-def: $vgpr19
; %bb.3235:                             ;   in Loop: Header=BB2_3128 Depth=3
	s_andn2_saveexec_b64 s[28:29], s[28:29]
; %bb.3236:                             ;   in Loop: Header=BB2_3128 Depth=3
	v_mov_b32_e32 v20, v19
; %bb.3237:                             ;   in Loop: Header=BB2_3128 Depth=3
	s_or_b64 exec, exec, s[28:29]
.LBB2_3238:                             ;   in Loop: Header=BB2_3128 Depth=3
	s_or_b64 exec, exec, s[38:39]
                                        ; implicit-def: $vgpr19
.LBB2_3239:                             ;   in Loop: Header=BB2_3128 Depth=3
	s_andn2_saveexec_b64 s[28:29], s[36:37]
; %bb.3240:                             ;   in Loop: Header=BB2_3128 Depth=3
	v_or_b32_e32 v20, 0x7b, v19
; %bb.3241:                             ;   in Loop: Header=BB2_3128 Depth=3
	s_or_b64 exec, exec, s[28:29]
                                        ; implicit-def: $vgpr1
.LBB2_3242:                             ;   in Loop: Header=BB2_3128 Depth=3
	s_andn2_saveexec_b64 s[28:29], s[34:35]
	s_cbranch_execz .LBB2_3248
; %bb.3243:                             ;   in Loop: Header=BB2_3128 Depth=3
	v_cmp_ne_u64_e32 vcc, 0, v[2:3]
                                        ; implicit-def: $vgpr20
	s_and_saveexec_b64 s[34:35], vcc
	s_xor_b64 vcc, exec, s[34:35]
; %bb.3244:                             ;   in Loop: Header=BB2_3128 Depth=3
	v_or_b32_sdwa v20, v1, s81 dst_sel:DWORD dst_unused:UNUSED_PAD src0_sel:BYTE_3 src1_sel:DWORD
                                        ; implicit-def: $vgpr1
; %bb.3245:                             ;   in Loop: Header=BB2_3128 Depth=3
	s_andn2_saveexec_b64 s[34:35], vcc
; %bb.3246:                             ;   in Loop: Header=BB2_3128 Depth=3
	v_cmp_lt_i32_e32 vcc, -1, v1
	v_cndmask_b32_e32 v20, -4, v49, vcc
; %bb.3247:                             ;   in Loop: Header=BB2_3128 Depth=3
	s_or_b64 exec, exec, s[34:35]
.LBB2_3248:                             ;   in Loop: Header=BB2_3128 Depth=3
	s_or_b64 exec, exec, s[28:29]
	v_cmp_ne_u16_e32 vcc, 0, v18
	v_mov_b32_e32 v1, 0
	v_mov_b32_e32 v2, 0
	s_and_saveexec_b64 s[28:29], vcc
	s_cbranch_execz .LBB2_3256
; %bb.3249:                             ;   in Loop: Header=BB2_3128 Depth=3
	v_cmp_ne_u16_e32 vcc, s70, v18
	v_bfrev_b32_e32 v2, 1
	s_and_saveexec_b64 s[34:35], vcc
	s_cbranch_execz .LBB2_3255
; %bb.3250:                             ;   in Loop: Header=BB2_3128 Depth=3
	v_and_b32_e32 v2, 0x7c, v18
	v_and_b32_e32 v4, 3, v18
	v_cmp_ne_u32_e32 vcc, s71, v2
                                        ; implicit-def: $vgpr2
	s_and_saveexec_b64 s[36:37], vcc
	s_xor_b64 s[36:37], exec, s[36:37]
	s_cbranch_execz .LBB2_3252
; %bb.3251:                             ;   in Loop: Header=BB2_3128 Depth=3
	v_ffbh_u32_e32 v5, v4
	v_min_u32_e32 v5, 32, v5
	v_and_b32_e32 v2, 0xff, v18
	v_mov_b32_e32 v19, v3
	v_subrev_u32_e32 v16, 29, v5
	v_bfe_u32 v2, v2, 2, 5
	v_lshlrev_b64 v[16:17], v16, v[18:19]
	v_sub_u32_e32 v5, 30, v5
	v_cmp_eq_u32_e32 vcc, 0, v2
	v_and_b32_e32 v16, 3, v16
	v_cndmask_b32_e32 v2, v2, v5, vcc
	v_and_b32_sdwa v5, sext(v18), s80 dst_sel:DWORD dst_unused:UNUSED_PAD src0_sel:WORD_0 src1_sel:DWORD
	v_cndmask_b32_e32 v4, v4, v16, vcc
	v_lshl_add_u32 v2, v2, 23, v5
	v_lshl_or_b32 v2, v4, 21, v2
	v_add_u32_e32 v2, 0x38000000, v2
                                        ; implicit-def: $vgpr4
                                        ; implicit-def: $vgpr18
.LBB2_3252:                             ;   in Loop: Header=BB2_3128 Depth=3
	s_andn2_saveexec_b64 s[36:37], s[36:37]
; %bb.3253:                             ;   in Loop: Header=BB2_3128 Depth=3
	v_cmp_lt_i16_e32 vcc, -1, v18
	v_cndmask_b32_e32 v2, v27, v6, vcc
	v_cmp_eq_u32_e32 vcc, 0, v4
	v_cndmask_b32_e32 v2, v7, v2, vcc
; %bb.3254:                             ;   in Loop: Header=BB2_3128 Depth=3
	s_or_b64 exec, exec, s[36:37]
.LBB2_3255:                             ;   in Loop: Header=BB2_3128 Depth=3
	s_or_b64 exec, exec, s[34:35]
.LBB2_3256:                             ;   in Loop: Header=BB2_3128 Depth=3
	s_or_b64 exec, exec, s[28:29]
	v_cmp_ne_u16_e32 vcc, 0, v60
	s_and_saveexec_b64 s[28:29], vcc
	s_cbranch_execz .LBB2_3264
; %bb.3257:                             ;   in Loop: Header=BB2_3128 Depth=3
	v_cmp_ne_u16_e32 vcc, s70, v60
	v_bfrev_b32_e32 v1, 1
	s_and_saveexec_b64 s[34:35], vcc
	s_cbranch_execz .LBB2_3263
; %bb.3258:                             ;   in Loop: Header=BB2_3128 Depth=3
	v_and_b32_e32 v1, 0x7c, v60
	v_and_b32_e32 v4, 3, v60
	v_cmp_ne_u32_e32 vcc, s71, v1
                                        ; implicit-def: $vgpr1
	s_and_saveexec_b64 s[36:37], vcc
	s_xor_b64 s[36:37], exec, s[36:37]
	s_cbranch_execz .LBB2_3260
; %bb.3259:                             ;   in Loop: Header=BB2_3128 Depth=3
	v_ffbh_u32_e32 v5, v4
	v_min_u32_e32 v5, 32, v5
	v_and_b32_e32 v1, 0xff, v60
	v_mov_b32_e32 v61, v3
	v_subrev_u32_e32 v16, 29, v5
	v_bfe_u32 v1, v1, 2, 5
	v_lshlrev_b64 v[16:17], v16, v[60:61]
	v_sub_u32_e32 v5, 30, v5
	v_cmp_eq_u32_e32 vcc, 0, v1
	v_and_b32_e32 v16, 3, v16
	v_cndmask_b32_e32 v1, v1, v5, vcc
	v_and_b32_sdwa v5, sext(v60), s80 dst_sel:DWORD dst_unused:UNUSED_PAD src0_sel:WORD_0 src1_sel:DWORD
	v_cndmask_b32_e32 v4, v4, v16, vcc
	v_lshl_add_u32 v1, v1, 23, v5
	v_lshl_or_b32 v1, v4, 21, v1
	v_add_u32_e32 v1, 0x38000000, v1
                                        ; implicit-def: $vgpr4
                                        ; implicit-def: $vgpr60
.LBB2_3260:                             ;   in Loop: Header=BB2_3128 Depth=3
	s_andn2_saveexec_b64 s[36:37], s[36:37]
; %bb.3261:                             ;   in Loop: Header=BB2_3128 Depth=3
	v_cmp_lt_i16_e32 vcc, -1, v60
	v_cndmask_b32_e32 v1, v27, v6, vcc
	v_cmp_eq_u32_e32 vcc, 0, v4
	v_cndmask_b32_e32 v1, v7, v1, vcc
; %bb.3262:                             ;   in Loop: Header=BB2_3128 Depth=3
	s_or_b64 exec, exec, s[36:37]
.LBB2_3263:                             ;   in Loop: Header=BB2_3128 Depth=3
	s_or_b64 exec, exec, s[34:35]
.LBB2_3264:                             ;   in Loop: Header=BB2_3128 Depth=3
	s_or_b64 exec, exec, s[28:29]
	v_mul_f32_e32 v1, v2, v1
	v_and_b32_e32 v4, 0x7f800000, v1
	v_mov_b32_e32 v5, v3
	v_cmp_ne_u64_e32 vcc, s[62:63], v[4:5]
	v_and_b32_e32 v2, 0x7fffff, v1
                                        ; implicit-def: $vgpr18
	s_and_saveexec_b64 s[28:29], vcc
	s_xor_b64 s[34:35], exec, s[28:29]
	s_cbranch_execz .LBB2_3282
; %bb.3265:                             ;   in Loop: Header=BB2_3128 Depth=3
	v_and_b32_e32 v4, 0x7fffffff, v1
	v_mov_b32_e32 v5, v3
	v_cmp_gt_u64_e32 vcc, s[78:79], v[4:5]
	v_and_b32_sdwa v19, v1, s82 dst_sel:DWORD dst_unused:UNUSED_PAD src0_sel:BYTE_3 src1_sel:DWORD
                                        ; implicit-def: $vgpr18
	s_and_saveexec_b64 s[28:29], vcc
	s_xor_b64 s[36:37], exec, s[28:29]
	s_cbranch_execz .LBB2_3279
; %bb.3266:                             ;   in Loop: Header=BB2_3128 Depth=3
	v_cmp_ne_u32_e32 vcc, 0, v1
	v_mov_b32_e32 v18, 0
	s_and_saveexec_b64 s[38:39], vcc
	s_cbranch_execz .LBB2_3278
; %bb.3267:                             ;   in Loop: Header=BB2_3128 Depth=3
	v_bfe_u32 v1, v1, 23, 8
	v_cmp_gt_u32_e64 s[28:29], s44, v1
	v_sub_u32_e32 v4, 0x71, v1
	v_cmp_eq_u32_e32 vcc, 0, v1
	v_cndmask_b32_e64 v4, 0, v4, s[28:29]
	v_mov_b32_e32 v16, 0x70
	v_cndmask_b32_e32 v18, v4, v16, vcc
	v_or_b32_e32 v5, 0x800000, v2
	v_add_u32_e32 v4, 21, v18
	v_cndmask_b32_e32 v2, v5, v2, vcc
	v_lshlrev_b64 v[4:5], v4, -1
	v_add_u32_e32 v16, 20, v18
	v_lshlrev_b64 v[16:17], v16, 1
	v_bfi_b32 v5, v5, 0, 0
	v_bfi_b32 v4, v4, 0, v2
	v_cmp_eq_u64_e64 s[28:29], v[4:5], v[16:17]
	v_lshrrev_b64 v[16:17], v18, v[2:3]
	v_mov_b32_e32 v4, v16
	v_mov_b32_e32 v5, v17
	s_and_saveexec_b64 s[48:49], s[28:29]
; %bb.3268:                             ;   in Loop: Header=BB2_3128 Depth=3
	v_bfe_u32 v2, v16, 21, 1
	v_add_co_u32_e64 v2, s[28:29], v16, v2
	v_add_co_u32_e64 v4, s[28:29], -1, v2
; %bb.3269:                             ;   in Loop: Header=BB2_3128 Depth=3
	s_or_b64 exec, exec, s[48:49]
	v_add_u32_e32 v1, 0xffffff81, v1
	v_mov_b32_e32 v2, 0xffffff82
	v_cndmask_b32_e32 v1, v1, v2, vcc
	v_lshrrev_b32_e32 v2, 23, v16
	v_add3_u32 v18, v18, v1, v2
	v_add_u32_e32 v5, 14, v18
	v_and_b32_e32 v1, 0x1fffff, v4
	v_add_u32_e32 v2, v1, v16
	v_cmp_ne_u32_e32 vcc, 0, v5
                                        ; implicit-def: $vgpr16_vgpr17
                                        ; implicit-def: $vgpr1
	s_and_saveexec_b64 s[28:29], vcc
	s_xor_b64 s[28:29], exec, s[28:29]
; %bb.3270:                             ;   in Loop: Header=BB2_3128 Depth=3
	v_cmp_lt_u64_e32 vcc, s[88:89], v[2:3]
	v_add_u32_e32 v1, 15, v18
	v_cndmask_b32_e64 v4, 0, 1, vcc
	v_lshrrev_b64 v[16:17], v4, v[2:3]
	v_cndmask_b32_e32 v1, v5, v1, vcc
; %bb.3271:                             ;   in Loop: Header=BB2_3128 Depth=3
	s_andn2_saveexec_b64 s[28:29], s[28:29]
; %bb.3272:                             ;   in Loop: Header=BB2_3128 Depth=3
	v_mov_b32_e32 v17, v3
	v_bfe_u32 v1, v2, 23, 1
	v_mov_b32_e32 v16, v2
; %bb.3273:                             ;   in Loop: Header=BB2_3128 Depth=3
	s_or_b64 exec, exec, s[28:29]
	v_lshrrev_b64 v[4:5], 21, v[16:17]
	v_cmp_gt_i32_e32 vcc, 32, v1
	v_cndmask_b32_e32 v17, 0, v5, vcc
	v_cndmask_b32_e32 v16, 3, v4, vcc
	v_cmp_ne_u64_e32 vcc, 0, v[16:17]
	v_cmp_ne_u32_e64 s[28:29], 0, v1
	s_or_b64 s[28:29], s[28:29], vcc
                                        ; implicit-def: $vgpr18
	s_and_saveexec_b64 vcc, s[28:29]
	s_xor_b64 s[28:29], exec, vcc
; %bb.3274:                             ;   in Loop: Header=BB2_3128 Depth=3
	v_min_i32_e32 v1, 31, v1
	v_lshl_or_b32 v1, v1, 2, v19
	v_and_or_b32 v18, v16, 3, v1
                                        ; implicit-def: $vgpr19
; %bb.3275:                             ;   in Loop: Header=BB2_3128 Depth=3
	s_andn2_saveexec_b64 s[28:29], s[28:29]
; %bb.3276:                             ;   in Loop: Header=BB2_3128 Depth=3
	v_mov_b32_e32 v18, v19
; %bb.3277:                             ;   in Loop: Header=BB2_3128 Depth=3
	s_or_b64 exec, exec, s[28:29]
.LBB2_3278:                             ;   in Loop: Header=BB2_3128 Depth=3
	s_or_b64 exec, exec, s[38:39]
                                        ; implicit-def: $vgpr19
.LBB2_3279:                             ;   in Loop: Header=BB2_3128 Depth=3
	s_andn2_saveexec_b64 s[28:29], s[36:37]
; %bb.3280:                             ;   in Loop: Header=BB2_3128 Depth=3
	v_or_b32_e32 v18, 0x7b, v19
; %bb.3281:                             ;   in Loop: Header=BB2_3128 Depth=3
	s_or_b64 exec, exec, s[28:29]
                                        ; implicit-def: $vgpr1
.LBB2_3282:                             ;   in Loop: Header=BB2_3128 Depth=3
	s_andn2_saveexec_b64 s[28:29], s[34:35]
	s_cbranch_execz .LBB2_3288
; %bb.3283:                             ;   in Loop: Header=BB2_3128 Depth=3
	v_cmp_ne_u64_e32 vcc, 0, v[2:3]
                                        ; implicit-def: $vgpr18
	s_and_saveexec_b64 s[34:35], vcc
	s_xor_b64 vcc, exec, s[34:35]
; %bb.3284:                             ;   in Loop: Header=BB2_3128 Depth=3
	v_or_b32_sdwa v18, v1, s81 dst_sel:DWORD dst_unused:UNUSED_PAD src0_sel:BYTE_3 src1_sel:DWORD
                                        ; implicit-def: $vgpr1
; %bb.3285:                             ;   in Loop: Header=BB2_3128 Depth=3
	s_andn2_saveexec_b64 s[34:35], vcc
; %bb.3286:                             ;   in Loop: Header=BB2_3128 Depth=3
	v_cmp_lt_i32_e32 vcc, -1, v1
	v_cndmask_b32_e32 v18, -4, v49, vcc
; %bb.3287:                             ;   in Loop: Header=BB2_3128 Depth=3
	s_or_b64 exec, exec, s[34:35]
.LBB2_3288:                             ;   in Loop: Header=BB2_3128 Depth=3
	s_or_b64 exec, exec, s[28:29]
	v_cmp_ne_u16_e32 vcc, 0, v59
	v_mov_b32_e32 v1, 0
	v_mov_b32_e32 v2, 0
	s_and_saveexec_b64 s[28:29], vcc
	s_cbranch_execz .LBB2_3296
; %bb.3289:                             ;   in Loop: Header=BB2_3128 Depth=3
	v_cmp_ne_u16_e32 vcc, s70, v59
	v_bfrev_b32_e32 v2, 1
	s_and_saveexec_b64 s[34:35], vcc
	s_cbranch_execz .LBB2_3295
; %bb.3290:                             ;   in Loop: Header=BB2_3128 Depth=3
	v_and_b32_e32 v2, 0x7c, v59
	v_and_b32_e32 v4, 3, v59
	v_cmp_ne_u32_e32 vcc, s71, v2
                                        ; implicit-def: $vgpr2
	s_and_saveexec_b64 s[36:37], vcc
	s_xor_b64 s[36:37], exec, s[36:37]
	s_cbranch_execz .LBB2_3292
; %bb.3291:                             ;   in Loop: Header=BB2_3128 Depth=3
	v_ffbh_u32_e32 v5, v4
	v_min_u32_e32 v5, 32, v5
	v_and_b32_e32 v2, 0xff, v59
	v_mov_b32_e32 v60, v3
	v_subrev_u32_e32 v16, 29, v5
	v_bfe_u32 v2, v2, 2, 5
	v_lshlrev_b64 v[16:17], v16, v[59:60]
	v_sub_u32_e32 v5, 30, v5
	v_cmp_eq_u32_e32 vcc, 0, v2
	v_and_b32_e32 v16, 3, v16
	v_cndmask_b32_e32 v2, v2, v5, vcc
	v_and_b32_sdwa v5, sext(v59), s80 dst_sel:DWORD dst_unused:UNUSED_PAD src0_sel:WORD_0 src1_sel:DWORD
	v_cndmask_b32_e32 v4, v4, v16, vcc
	v_lshl_add_u32 v2, v2, 23, v5
	v_lshl_or_b32 v2, v4, 21, v2
	v_add_u32_e32 v2, 0x38000000, v2
                                        ; implicit-def: $vgpr4
                                        ; implicit-def: $vgpr59
.LBB2_3292:                             ;   in Loop: Header=BB2_3128 Depth=3
	s_andn2_saveexec_b64 s[36:37], s[36:37]
; %bb.3293:                             ;   in Loop: Header=BB2_3128 Depth=3
	v_cmp_lt_i16_e32 vcc, -1, v59
	v_cndmask_b32_e32 v2, v27, v6, vcc
	v_cmp_eq_u32_e32 vcc, 0, v4
	v_cndmask_b32_e32 v2, v7, v2, vcc
; %bb.3294:                             ;   in Loop: Header=BB2_3128 Depth=3
	s_or_b64 exec, exec, s[36:37]
.LBB2_3295:                             ;   in Loop: Header=BB2_3128 Depth=3
	s_or_b64 exec, exec, s[34:35]
.LBB2_3296:                             ;   in Loop: Header=BB2_3128 Depth=3
	s_or_b64 exec, exec, s[28:29]
	v_cmp_ne_u16_e32 vcc, 0, v58
	s_and_saveexec_b64 s[28:29], vcc
	s_cbranch_execz .LBB2_3304
; %bb.3297:                             ;   in Loop: Header=BB2_3128 Depth=3
	v_cmp_ne_u16_e32 vcc, s70, v58
	v_bfrev_b32_e32 v1, 1
	s_and_saveexec_b64 s[34:35], vcc
	s_cbranch_execz .LBB2_3303
; %bb.3298:                             ;   in Loop: Header=BB2_3128 Depth=3
	v_and_b32_e32 v1, 0x7c, v58
	v_and_b32_e32 v4, 3, v58
	v_cmp_ne_u32_e32 vcc, s71, v1
                                        ; implicit-def: $vgpr1
	s_and_saveexec_b64 s[36:37], vcc
	s_xor_b64 s[36:37], exec, s[36:37]
	s_cbranch_execz .LBB2_3300
; %bb.3299:                             ;   in Loop: Header=BB2_3128 Depth=3
	v_ffbh_u32_e32 v5, v4
	v_min_u32_e32 v5, 32, v5
	v_and_b32_e32 v1, 0xff, v58
	v_mov_b32_e32 v59, v3
	v_subrev_u32_e32 v16, 29, v5
	v_bfe_u32 v1, v1, 2, 5
	v_lshlrev_b64 v[16:17], v16, v[58:59]
	v_sub_u32_e32 v5, 30, v5
	v_cmp_eq_u32_e32 vcc, 0, v1
	v_and_b32_e32 v16, 3, v16
	v_cndmask_b32_e32 v1, v1, v5, vcc
	v_and_b32_sdwa v5, sext(v58), s80 dst_sel:DWORD dst_unused:UNUSED_PAD src0_sel:WORD_0 src1_sel:DWORD
	v_cndmask_b32_e32 v4, v4, v16, vcc
	v_lshl_add_u32 v1, v1, 23, v5
	v_lshl_or_b32 v1, v4, 21, v1
	v_add_u32_e32 v1, 0x38000000, v1
                                        ; implicit-def: $vgpr4
                                        ; implicit-def: $vgpr58
.LBB2_3300:                             ;   in Loop: Header=BB2_3128 Depth=3
	s_andn2_saveexec_b64 s[36:37], s[36:37]
; %bb.3301:                             ;   in Loop: Header=BB2_3128 Depth=3
	v_cmp_lt_i16_e32 vcc, -1, v58
	v_cndmask_b32_e32 v1, v27, v6, vcc
	v_cmp_eq_u32_e32 vcc, 0, v4
	v_cndmask_b32_e32 v1, v7, v1, vcc
; %bb.3302:                             ;   in Loop: Header=BB2_3128 Depth=3
	s_or_b64 exec, exec, s[36:37]
.LBB2_3303:                             ;   in Loop: Header=BB2_3128 Depth=3
	s_or_b64 exec, exec, s[34:35]
.LBB2_3304:                             ;   in Loop: Header=BB2_3128 Depth=3
	s_or_b64 exec, exec, s[28:29]
	v_mul_f32_e32 v1, v2, v1
	v_and_b32_e32 v4, 0x7f800000, v1
	v_mov_b32_e32 v5, v3
	v_cmp_ne_u64_e32 vcc, s[62:63], v[4:5]
	v_and_b32_e32 v2, 0x7fffff, v1
                                        ; implicit-def: $vgpr19
	s_and_saveexec_b64 s[28:29], vcc
	s_xor_b64 s[34:35], exec, s[28:29]
	s_cbranch_execz .LBB2_3322
; %bb.3305:                             ;   in Loop: Header=BB2_3128 Depth=3
	v_and_b32_e32 v4, 0x7fffffff, v1
	v_mov_b32_e32 v5, v3
	v_cmp_gt_u64_e32 vcc, s[78:79], v[4:5]
	v_and_b32_sdwa v21, v1, s82 dst_sel:DWORD dst_unused:UNUSED_PAD src0_sel:BYTE_3 src1_sel:DWORD
                                        ; implicit-def: $vgpr19
	s_and_saveexec_b64 s[28:29], vcc
	s_xor_b64 s[36:37], exec, s[28:29]
	s_cbranch_execz .LBB2_3319
; %bb.3306:                             ;   in Loop: Header=BB2_3128 Depth=3
	v_cmp_ne_u32_e32 vcc, 0, v1
	v_mov_b32_e32 v19, 0
	s_and_saveexec_b64 s[38:39], vcc
	s_cbranch_execz .LBB2_3318
; %bb.3307:                             ;   in Loop: Header=BB2_3128 Depth=3
	v_bfe_u32 v1, v1, 23, 8
	v_cmp_gt_u32_e64 s[28:29], s44, v1
	v_sub_u32_e32 v4, 0x71, v1
	v_cmp_eq_u32_e32 vcc, 0, v1
	v_cndmask_b32_e64 v4, 0, v4, s[28:29]
	v_mov_b32_e32 v16, 0x70
	v_cndmask_b32_e32 v19, v4, v16, vcc
	v_or_b32_e32 v5, 0x800000, v2
	v_add_u32_e32 v4, 21, v19
	v_cndmask_b32_e32 v2, v5, v2, vcc
	v_lshlrev_b64 v[4:5], v4, -1
	v_add_u32_e32 v16, 20, v19
	v_lshlrev_b64 v[16:17], v16, 1
	v_bfi_b32 v5, v5, 0, 0
	v_bfi_b32 v4, v4, 0, v2
	v_cmp_eq_u64_e64 s[28:29], v[4:5], v[16:17]
	v_lshrrev_b64 v[16:17], v19, v[2:3]
	v_mov_b32_e32 v4, v16
	v_mov_b32_e32 v5, v17
	s_and_saveexec_b64 s[48:49], s[28:29]
; %bb.3308:                             ;   in Loop: Header=BB2_3128 Depth=3
	v_bfe_u32 v2, v16, 21, 1
	v_add_co_u32_e64 v2, s[28:29], v16, v2
	v_add_co_u32_e64 v4, s[28:29], -1, v2
; %bb.3309:                             ;   in Loop: Header=BB2_3128 Depth=3
	s_or_b64 exec, exec, s[48:49]
	v_add_u32_e32 v1, 0xffffff81, v1
	v_mov_b32_e32 v2, 0xffffff82
	v_cndmask_b32_e32 v1, v1, v2, vcc
	v_lshrrev_b32_e32 v2, 23, v16
	v_add3_u32 v19, v19, v1, v2
	v_add_u32_e32 v5, 14, v19
	v_and_b32_e32 v1, 0x1fffff, v4
	v_add_u32_e32 v2, v1, v16
	v_cmp_ne_u32_e32 vcc, 0, v5
                                        ; implicit-def: $vgpr16_vgpr17
                                        ; implicit-def: $vgpr1
	s_and_saveexec_b64 s[28:29], vcc
	s_xor_b64 s[28:29], exec, s[28:29]
; %bb.3310:                             ;   in Loop: Header=BB2_3128 Depth=3
	v_cmp_lt_u64_e32 vcc, s[88:89], v[2:3]
	v_add_u32_e32 v1, 15, v19
	v_cndmask_b32_e64 v4, 0, 1, vcc
	v_lshrrev_b64 v[16:17], v4, v[2:3]
	v_cndmask_b32_e32 v1, v5, v1, vcc
; %bb.3311:                             ;   in Loop: Header=BB2_3128 Depth=3
	s_andn2_saveexec_b64 s[28:29], s[28:29]
; %bb.3312:                             ;   in Loop: Header=BB2_3128 Depth=3
	v_mov_b32_e32 v17, v3
	v_bfe_u32 v1, v2, 23, 1
	v_mov_b32_e32 v16, v2
; %bb.3313:                             ;   in Loop: Header=BB2_3128 Depth=3
	s_or_b64 exec, exec, s[28:29]
	v_lshrrev_b64 v[4:5], 21, v[16:17]
	v_cmp_gt_i32_e32 vcc, 32, v1
	v_cndmask_b32_e32 v17, 0, v5, vcc
	v_cndmask_b32_e32 v16, 3, v4, vcc
	v_cmp_ne_u64_e32 vcc, 0, v[16:17]
	v_cmp_ne_u32_e64 s[28:29], 0, v1
	s_or_b64 s[28:29], s[28:29], vcc
                                        ; implicit-def: $vgpr19
	s_and_saveexec_b64 vcc, s[28:29]
	s_xor_b64 s[28:29], exec, vcc
; %bb.3314:                             ;   in Loop: Header=BB2_3128 Depth=3
	v_min_i32_e32 v1, 31, v1
	v_lshl_or_b32 v1, v1, 2, v21
	v_and_or_b32 v19, v16, 3, v1
                                        ; implicit-def: $vgpr21
; %bb.3315:                             ;   in Loop: Header=BB2_3128 Depth=3
	s_andn2_saveexec_b64 s[28:29], s[28:29]
; %bb.3316:                             ;   in Loop: Header=BB2_3128 Depth=3
	v_mov_b32_e32 v19, v21
; %bb.3317:                             ;   in Loop: Header=BB2_3128 Depth=3
	s_or_b64 exec, exec, s[28:29]
.LBB2_3318:                             ;   in Loop: Header=BB2_3128 Depth=3
	s_or_b64 exec, exec, s[38:39]
                                        ; implicit-def: $vgpr21
.LBB2_3319:                             ;   in Loop: Header=BB2_3128 Depth=3
	s_andn2_saveexec_b64 s[28:29], s[36:37]
; %bb.3320:                             ;   in Loop: Header=BB2_3128 Depth=3
	v_or_b32_e32 v19, 0x7b, v21
; %bb.3321:                             ;   in Loop: Header=BB2_3128 Depth=3
	s_or_b64 exec, exec, s[28:29]
                                        ; implicit-def: $vgpr1
.LBB2_3322:                             ;   in Loop: Header=BB2_3128 Depth=3
	s_andn2_saveexec_b64 s[28:29], s[34:35]
	s_cbranch_execz .LBB2_3328
; %bb.3323:                             ;   in Loop: Header=BB2_3128 Depth=3
	v_cmp_ne_u64_e32 vcc, 0, v[2:3]
                                        ; implicit-def: $vgpr19
	s_and_saveexec_b64 s[34:35], vcc
	s_xor_b64 vcc, exec, s[34:35]
; %bb.3324:                             ;   in Loop: Header=BB2_3128 Depth=3
	v_or_b32_sdwa v19, v1, s81 dst_sel:DWORD dst_unused:UNUSED_PAD src0_sel:BYTE_3 src1_sel:DWORD
                                        ; implicit-def: $vgpr1
; %bb.3325:                             ;   in Loop: Header=BB2_3128 Depth=3
	s_andn2_saveexec_b64 s[34:35], vcc
; %bb.3326:                             ;   in Loop: Header=BB2_3128 Depth=3
	v_cmp_lt_i32_e32 vcc, -1, v1
	v_cndmask_b32_e32 v19, -4, v49, vcc
; %bb.3327:                             ;   in Loop: Header=BB2_3128 Depth=3
	s_or_b64 exec, exec, s[34:35]
.LBB2_3328:                             ;   in Loop: Header=BB2_3128 Depth=3
	s_or_b64 exec, exec, s[28:29]
	v_cmp_ne_u16_e32 vcc, 0, v57
	v_mov_b32_e32 v1, 0
	v_mov_b32_e32 v2, 0
	s_and_saveexec_b64 s[28:29], vcc
	s_cbranch_execz .LBB2_3336
; %bb.3329:                             ;   in Loop: Header=BB2_3128 Depth=3
	v_cmp_ne_u16_e32 vcc, s70, v57
	v_bfrev_b32_e32 v2, 1
	s_and_saveexec_b64 s[34:35], vcc
	s_cbranch_execz .LBB2_3335
; %bb.3330:                             ;   in Loop: Header=BB2_3128 Depth=3
	v_and_b32_e32 v2, 0x7c, v57
	v_and_b32_e32 v4, 3, v57
	v_cmp_ne_u32_e32 vcc, s71, v2
                                        ; implicit-def: $vgpr2
	s_and_saveexec_b64 s[36:37], vcc
	s_xor_b64 s[36:37], exec, s[36:37]
	s_cbranch_execz .LBB2_3332
; %bb.3331:                             ;   in Loop: Header=BB2_3128 Depth=3
	v_ffbh_u32_e32 v5, v4
	v_min_u32_e32 v5, 32, v5
	v_and_b32_e32 v2, 0xff, v57
	v_mov_b32_e32 v58, v3
	v_subrev_u32_e32 v16, 29, v5
	v_bfe_u32 v2, v2, 2, 5
	v_lshlrev_b64 v[16:17], v16, v[57:58]
	v_sub_u32_e32 v5, 30, v5
	v_cmp_eq_u32_e32 vcc, 0, v2
	v_and_b32_e32 v16, 3, v16
	v_cndmask_b32_e32 v2, v2, v5, vcc
	v_and_b32_sdwa v5, sext(v57), s80 dst_sel:DWORD dst_unused:UNUSED_PAD src0_sel:WORD_0 src1_sel:DWORD
	v_cndmask_b32_e32 v4, v4, v16, vcc
	v_lshl_add_u32 v2, v2, 23, v5
	v_lshl_or_b32 v2, v4, 21, v2
	v_add_u32_e32 v2, 0x38000000, v2
                                        ; implicit-def: $vgpr4
                                        ; implicit-def: $vgpr57
.LBB2_3332:                             ;   in Loop: Header=BB2_3128 Depth=3
	s_andn2_saveexec_b64 s[36:37], s[36:37]
; %bb.3333:                             ;   in Loop: Header=BB2_3128 Depth=3
	v_cmp_lt_i16_e32 vcc, -1, v57
	v_cndmask_b32_e32 v2, v27, v6, vcc
	v_cmp_eq_u32_e32 vcc, 0, v4
	v_cndmask_b32_e32 v2, v7, v2, vcc
; %bb.3334:                             ;   in Loop: Header=BB2_3128 Depth=3
	s_or_b64 exec, exec, s[36:37]
.LBB2_3335:                             ;   in Loop: Header=BB2_3128 Depth=3
	s_or_b64 exec, exec, s[34:35]
.LBB2_3336:                             ;   in Loop: Header=BB2_3128 Depth=3
	s_or_b64 exec, exec, s[28:29]
	v_cmp_ne_u16_e32 vcc, 0, v56
	s_and_saveexec_b64 s[28:29], vcc
	s_cbranch_execz .LBB2_3344
; %bb.3337:                             ;   in Loop: Header=BB2_3128 Depth=3
	v_cmp_ne_u16_e32 vcc, s70, v56
	v_bfrev_b32_e32 v1, 1
	s_and_saveexec_b64 s[34:35], vcc
	s_cbranch_execz .LBB2_3343
; %bb.3338:                             ;   in Loop: Header=BB2_3128 Depth=3
	v_and_b32_e32 v1, 0x7c, v56
	v_and_b32_e32 v4, 3, v56
	v_cmp_ne_u32_e32 vcc, s71, v1
                                        ; implicit-def: $vgpr1
	s_and_saveexec_b64 s[36:37], vcc
	s_xor_b64 s[36:37], exec, s[36:37]
	s_cbranch_execz .LBB2_3340
; %bb.3339:                             ;   in Loop: Header=BB2_3128 Depth=3
	v_ffbh_u32_e32 v5, v4
	v_min_u32_e32 v5, 32, v5
	v_and_b32_e32 v1, 0xff, v56
	v_mov_b32_e32 v57, v3
	v_subrev_u32_e32 v16, 29, v5
	v_bfe_u32 v1, v1, 2, 5
	v_lshlrev_b64 v[16:17], v16, v[56:57]
	v_sub_u32_e32 v5, 30, v5
	v_cmp_eq_u32_e32 vcc, 0, v1
	v_and_b32_e32 v16, 3, v16
	v_cndmask_b32_e32 v1, v1, v5, vcc
	v_and_b32_sdwa v5, sext(v56), s80 dst_sel:DWORD dst_unused:UNUSED_PAD src0_sel:WORD_0 src1_sel:DWORD
	v_cndmask_b32_e32 v4, v4, v16, vcc
	v_lshl_add_u32 v1, v1, 23, v5
	v_lshl_or_b32 v1, v4, 21, v1
	v_add_u32_e32 v1, 0x38000000, v1
                                        ; implicit-def: $vgpr4
                                        ; implicit-def: $vgpr56
.LBB2_3340:                             ;   in Loop: Header=BB2_3128 Depth=3
	s_andn2_saveexec_b64 s[36:37], s[36:37]
; %bb.3341:                             ;   in Loop: Header=BB2_3128 Depth=3
	v_cmp_lt_i16_e32 vcc, -1, v56
	v_cndmask_b32_e32 v1, v27, v6, vcc
	v_cmp_eq_u32_e32 vcc, 0, v4
	v_cndmask_b32_e32 v1, v7, v1, vcc
; %bb.3342:                             ;   in Loop: Header=BB2_3128 Depth=3
	s_or_b64 exec, exec, s[36:37]
.LBB2_3343:                             ;   in Loop: Header=BB2_3128 Depth=3
	s_or_b64 exec, exec, s[34:35]
.LBB2_3344:                             ;   in Loop: Header=BB2_3128 Depth=3
	s_or_b64 exec, exec, s[28:29]
	v_mul_f32_e32 v1, v2, v1
	v_and_b32_e32 v4, 0x7f800000, v1
	v_mov_b32_e32 v5, v3
	v_cmp_ne_u64_e32 vcc, s[62:63], v[4:5]
	v_and_b32_e32 v2, 0x7fffff, v1
                                        ; implicit-def: $vgpr21
	s_and_saveexec_b64 s[28:29], vcc
	s_xor_b64 s[34:35], exec, s[28:29]
	s_cbranch_execz .LBB2_3362
; %bb.3345:                             ;   in Loop: Header=BB2_3128 Depth=3
	v_and_b32_e32 v4, 0x7fffffff, v1
	v_mov_b32_e32 v5, v3
	v_cmp_gt_u64_e32 vcc, s[78:79], v[4:5]
	v_and_b32_sdwa v31, v1, s82 dst_sel:DWORD dst_unused:UNUSED_PAD src0_sel:BYTE_3 src1_sel:DWORD
                                        ; implicit-def: $vgpr21
	s_and_saveexec_b64 s[28:29], vcc
	s_xor_b64 s[36:37], exec, s[28:29]
	s_cbranch_execz .LBB2_3359
; %bb.3346:                             ;   in Loop: Header=BB2_3128 Depth=3
	v_cmp_ne_u32_e32 vcc, 0, v1
	v_mov_b32_e32 v21, 0
	s_and_saveexec_b64 s[38:39], vcc
	s_cbranch_execz .LBB2_3358
; %bb.3347:                             ;   in Loop: Header=BB2_3128 Depth=3
	v_bfe_u32 v1, v1, 23, 8
	v_cmp_gt_u32_e64 s[28:29], s44, v1
	v_sub_u32_e32 v4, 0x71, v1
	v_cmp_eq_u32_e32 vcc, 0, v1
	v_cndmask_b32_e64 v4, 0, v4, s[28:29]
	v_mov_b32_e32 v16, 0x70
	v_cndmask_b32_e32 v21, v4, v16, vcc
	v_or_b32_e32 v5, 0x800000, v2
	v_add_u32_e32 v4, 21, v21
	v_cndmask_b32_e32 v2, v5, v2, vcc
	v_lshlrev_b64 v[4:5], v4, -1
	v_add_u32_e32 v16, 20, v21
	v_lshlrev_b64 v[16:17], v16, 1
	v_bfi_b32 v5, v5, 0, 0
	v_bfi_b32 v4, v4, 0, v2
	v_cmp_eq_u64_e64 s[28:29], v[4:5], v[16:17]
	v_lshrrev_b64 v[16:17], v21, v[2:3]
	v_mov_b32_e32 v4, v16
	v_mov_b32_e32 v5, v17
	s_and_saveexec_b64 s[48:49], s[28:29]
; %bb.3348:                             ;   in Loop: Header=BB2_3128 Depth=3
	v_bfe_u32 v2, v16, 21, 1
	v_add_co_u32_e64 v2, s[28:29], v16, v2
	v_add_co_u32_e64 v4, s[28:29], -1, v2
; %bb.3349:                             ;   in Loop: Header=BB2_3128 Depth=3
	s_or_b64 exec, exec, s[48:49]
	v_add_u32_e32 v1, 0xffffff81, v1
	v_mov_b32_e32 v2, 0xffffff82
	v_cndmask_b32_e32 v1, v1, v2, vcc
	v_lshrrev_b32_e32 v2, 23, v16
	v_add3_u32 v21, v21, v1, v2
	v_add_u32_e32 v5, 14, v21
	v_and_b32_e32 v1, 0x1fffff, v4
	v_add_u32_e32 v2, v1, v16
	v_cmp_ne_u32_e32 vcc, 0, v5
                                        ; implicit-def: $vgpr16_vgpr17
                                        ; implicit-def: $vgpr1
	s_and_saveexec_b64 s[28:29], vcc
	s_xor_b64 s[28:29], exec, s[28:29]
; %bb.3350:                             ;   in Loop: Header=BB2_3128 Depth=3
	v_cmp_lt_u64_e32 vcc, s[88:89], v[2:3]
	v_add_u32_e32 v1, 15, v21
	v_cndmask_b32_e64 v4, 0, 1, vcc
	v_lshrrev_b64 v[16:17], v4, v[2:3]
	v_cndmask_b32_e32 v1, v5, v1, vcc
; %bb.3351:                             ;   in Loop: Header=BB2_3128 Depth=3
	s_andn2_saveexec_b64 s[28:29], s[28:29]
; %bb.3352:                             ;   in Loop: Header=BB2_3128 Depth=3
	v_mov_b32_e32 v17, v3
	v_bfe_u32 v1, v2, 23, 1
	v_mov_b32_e32 v16, v2
; %bb.3353:                             ;   in Loop: Header=BB2_3128 Depth=3
	s_or_b64 exec, exec, s[28:29]
	v_lshrrev_b64 v[4:5], 21, v[16:17]
	v_cmp_gt_i32_e32 vcc, 32, v1
	v_cndmask_b32_e32 v17, 0, v5, vcc
	v_cndmask_b32_e32 v16, 3, v4, vcc
	v_cmp_ne_u64_e32 vcc, 0, v[16:17]
	v_cmp_ne_u32_e64 s[28:29], 0, v1
	s_or_b64 s[28:29], s[28:29], vcc
                                        ; implicit-def: $vgpr21
	s_and_saveexec_b64 vcc, s[28:29]
	s_xor_b64 s[28:29], exec, vcc
; %bb.3354:                             ;   in Loop: Header=BB2_3128 Depth=3
	v_min_i32_e32 v1, 31, v1
	v_lshl_or_b32 v1, v1, 2, v31
	v_and_or_b32 v21, v16, 3, v1
                                        ; implicit-def: $vgpr31
; %bb.3355:                             ;   in Loop: Header=BB2_3128 Depth=3
	s_andn2_saveexec_b64 s[28:29], s[28:29]
; %bb.3356:                             ;   in Loop: Header=BB2_3128 Depth=3
	v_mov_b32_e32 v21, v31
; %bb.3357:                             ;   in Loop: Header=BB2_3128 Depth=3
	s_or_b64 exec, exec, s[28:29]
.LBB2_3358:                             ;   in Loop: Header=BB2_3128 Depth=3
	s_or_b64 exec, exec, s[38:39]
                                        ; implicit-def: $vgpr31
.LBB2_3359:                             ;   in Loop: Header=BB2_3128 Depth=3
	s_andn2_saveexec_b64 s[28:29], s[36:37]
; %bb.3360:                             ;   in Loop: Header=BB2_3128 Depth=3
	v_or_b32_e32 v21, 0x7b, v31
; %bb.3361:                             ;   in Loop: Header=BB2_3128 Depth=3
	s_or_b64 exec, exec, s[28:29]
                                        ; implicit-def: $vgpr1
.LBB2_3362:                             ;   in Loop: Header=BB2_3128 Depth=3
	s_andn2_saveexec_b64 s[28:29], s[34:35]
	s_cbranch_execz .LBB2_3368
; %bb.3363:                             ;   in Loop: Header=BB2_3128 Depth=3
	v_cmp_ne_u64_e32 vcc, 0, v[2:3]
                                        ; implicit-def: $vgpr21
	s_and_saveexec_b64 s[34:35], vcc
	s_xor_b64 vcc, exec, s[34:35]
; %bb.3364:                             ;   in Loop: Header=BB2_3128 Depth=3
	v_or_b32_sdwa v21, v1, s81 dst_sel:DWORD dst_unused:UNUSED_PAD src0_sel:BYTE_3 src1_sel:DWORD
                                        ; implicit-def: $vgpr1
; %bb.3365:                             ;   in Loop: Header=BB2_3128 Depth=3
	s_andn2_saveexec_b64 s[34:35], vcc
; %bb.3366:                             ;   in Loop: Header=BB2_3128 Depth=3
	v_cmp_lt_i32_e32 vcc, -1, v1
	v_cndmask_b32_e32 v21, -4, v49, vcc
; %bb.3367:                             ;   in Loop: Header=BB2_3128 Depth=3
	s_or_b64 exec, exec, s[34:35]
.LBB2_3368:                             ;   in Loop: Header=BB2_3128 Depth=3
	s_or_b64 exec, exec, s[28:29]
	v_cmp_ne_u16_e32 vcc, 0, v55
	v_mov_b32_e32 v1, 0
	v_mov_b32_e32 v2, 0
	s_and_saveexec_b64 s[28:29], vcc
	s_cbranch_execz .LBB2_3376
; %bb.3369:                             ;   in Loop: Header=BB2_3128 Depth=3
	v_cmp_ne_u16_e32 vcc, s70, v55
	v_bfrev_b32_e32 v2, 1
	s_and_saveexec_b64 s[34:35], vcc
	s_cbranch_execz .LBB2_3375
; %bb.3370:                             ;   in Loop: Header=BB2_3128 Depth=3
	v_and_b32_e32 v2, 0x7c, v55
	v_and_b32_e32 v4, 3, v55
	v_cmp_ne_u32_e32 vcc, s71, v2
                                        ; implicit-def: $vgpr2
	s_and_saveexec_b64 s[36:37], vcc
	s_xor_b64 s[36:37], exec, s[36:37]
	s_cbranch_execz .LBB2_3372
; %bb.3371:                             ;   in Loop: Header=BB2_3128 Depth=3
	v_ffbh_u32_e32 v5, v4
	v_min_u32_e32 v5, 32, v5
	v_and_b32_e32 v2, 0xff, v55
	v_mov_b32_e32 v56, v3
	v_subrev_u32_e32 v16, 29, v5
	v_bfe_u32 v2, v2, 2, 5
	v_lshlrev_b64 v[16:17], v16, v[55:56]
	v_sub_u32_e32 v5, 30, v5
	v_cmp_eq_u32_e32 vcc, 0, v2
	v_and_b32_e32 v16, 3, v16
	v_cndmask_b32_e32 v2, v2, v5, vcc
	v_and_b32_sdwa v5, sext(v55), s80 dst_sel:DWORD dst_unused:UNUSED_PAD src0_sel:WORD_0 src1_sel:DWORD
	v_cndmask_b32_e32 v4, v4, v16, vcc
	v_lshl_add_u32 v2, v2, 23, v5
	v_lshl_or_b32 v2, v4, 21, v2
	v_add_u32_e32 v2, 0x38000000, v2
                                        ; implicit-def: $vgpr4
                                        ; implicit-def: $vgpr55
.LBB2_3372:                             ;   in Loop: Header=BB2_3128 Depth=3
	s_andn2_saveexec_b64 s[36:37], s[36:37]
; %bb.3373:                             ;   in Loop: Header=BB2_3128 Depth=3
	v_cmp_lt_i16_e32 vcc, -1, v55
	v_cndmask_b32_e32 v2, v27, v6, vcc
	v_cmp_eq_u32_e32 vcc, 0, v4
	v_cndmask_b32_e32 v2, v7, v2, vcc
; %bb.3374:                             ;   in Loop: Header=BB2_3128 Depth=3
	s_or_b64 exec, exec, s[36:37]
.LBB2_3375:                             ;   in Loop: Header=BB2_3128 Depth=3
	s_or_b64 exec, exec, s[34:35]
.LBB2_3376:                             ;   in Loop: Header=BB2_3128 Depth=3
	s_or_b64 exec, exec, s[28:29]
	v_cmp_ne_u16_e32 vcc, 0, v46
	s_and_saveexec_b64 s[28:29], vcc
	s_cbranch_execz .LBB2_3384
; %bb.3377:                             ;   in Loop: Header=BB2_3128 Depth=3
	v_cmp_ne_u16_e32 vcc, s70, v46
	v_bfrev_b32_e32 v1, 1
	s_and_saveexec_b64 s[34:35], vcc
	s_cbranch_execz .LBB2_3383
; %bb.3378:                             ;   in Loop: Header=BB2_3128 Depth=3
	v_and_b32_e32 v1, 0x7c, v46
	v_and_b32_e32 v4, 3, v46
	v_cmp_ne_u32_e32 vcc, s71, v1
                                        ; implicit-def: $vgpr1
	s_and_saveexec_b64 s[36:37], vcc
	s_xor_b64 s[36:37], exec, s[36:37]
	s_cbranch_execz .LBB2_3380
; %bb.3379:                             ;   in Loop: Header=BB2_3128 Depth=3
	v_ffbh_u32_e32 v5, v4
	v_min_u32_e32 v5, 32, v5
	v_and_b32_e32 v1, 0xff, v46
	v_mov_b32_e32 v47, v3
	v_subrev_u32_e32 v16, 29, v5
	v_bfe_u32 v1, v1, 2, 5
	v_lshlrev_b64 v[16:17], v16, v[46:47]
	v_sub_u32_e32 v5, 30, v5
	v_cmp_eq_u32_e32 vcc, 0, v1
	v_and_b32_e32 v16, 3, v16
	v_cndmask_b32_e32 v1, v1, v5, vcc
	v_and_b32_sdwa v5, sext(v46), s80 dst_sel:DWORD dst_unused:UNUSED_PAD src0_sel:WORD_0 src1_sel:DWORD
	v_cndmask_b32_e32 v4, v4, v16, vcc
	v_lshl_add_u32 v1, v1, 23, v5
	v_lshl_or_b32 v1, v4, 21, v1
	v_add_u32_e32 v1, 0x38000000, v1
                                        ; implicit-def: $vgpr4
                                        ; implicit-def: $vgpr46
.LBB2_3380:                             ;   in Loop: Header=BB2_3128 Depth=3
	s_andn2_saveexec_b64 s[36:37], s[36:37]
; %bb.3381:                             ;   in Loop: Header=BB2_3128 Depth=3
	v_cmp_lt_i16_e32 vcc, -1, v46
	v_cndmask_b32_e32 v1, v27, v6, vcc
	v_cmp_eq_u32_e32 vcc, 0, v4
	v_cndmask_b32_e32 v1, v7, v1, vcc
; %bb.3382:                             ;   in Loop: Header=BB2_3128 Depth=3
	s_or_b64 exec, exec, s[36:37]
.LBB2_3383:                             ;   in Loop: Header=BB2_3128 Depth=3
	s_or_b64 exec, exec, s[34:35]
.LBB2_3384:                             ;   in Loop: Header=BB2_3128 Depth=3
	s_or_b64 exec, exec, s[28:29]
	v_mul_f32_e32 v1, v2, v1
	v_and_b32_e32 v4, 0x7f800000, v1
	v_mov_b32_e32 v5, v3
	v_cmp_ne_u64_e32 vcc, s[62:63], v[4:5]
	v_and_b32_e32 v2, 0x7fffff, v1
                                        ; implicit-def: $vgpr31
	s_and_saveexec_b64 s[28:29], vcc
	s_xor_b64 s[34:35], exec, s[28:29]
	s_cbranch_execz .LBB2_3402
; %bb.3385:                             ;   in Loop: Header=BB2_3128 Depth=3
	v_and_b32_e32 v4, 0x7fffffff, v1
	v_mov_b32_e32 v5, v3
	v_cmp_gt_u64_e32 vcc, s[78:79], v[4:5]
	v_and_b32_sdwa v36, v1, s82 dst_sel:DWORD dst_unused:UNUSED_PAD src0_sel:BYTE_3 src1_sel:DWORD
                                        ; implicit-def: $vgpr31
	s_and_saveexec_b64 s[28:29], vcc
	s_xor_b64 s[36:37], exec, s[28:29]
	s_cbranch_execz .LBB2_3399
; %bb.3386:                             ;   in Loop: Header=BB2_3128 Depth=3
	v_cmp_ne_u32_e32 vcc, 0, v1
	v_mov_b32_e32 v31, 0
	s_and_saveexec_b64 s[38:39], vcc
	s_cbranch_execz .LBB2_3398
; %bb.3387:                             ;   in Loop: Header=BB2_3128 Depth=3
	v_bfe_u32 v1, v1, 23, 8
	v_cmp_gt_u32_e64 s[28:29], s44, v1
	v_sub_u32_e32 v4, 0x71, v1
	v_cmp_eq_u32_e32 vcc, 0, v1
	v_cndmask_b32_e64 v4, 0, v4, s[28:29]
	v_mov_b32_e32 v16, 0x70
	v_cndmask_b32_e32 v31, v4, v16, vcc
	v_or_b32_e32 v5, 0x800000, v2
	v_add_u32_e32 v4, 21, v31
	v_cndmask_b32_e32 v2, v5, v2, vcc
	v_lshlrev_b64 v[4:5], v4, -1
	v_add_u32_e32 v16, 20, v31
	v_lshlrev_b64 v[16:17], v16, 1
	v_bfi_b32 v5, v5, 0, 0
	v_bfi_b32 v4, v4, 0, v2
	v_cmp_eq_u64_e64 s[28:29], v[4:5], v[16:17]
	v_lshrrev_b64 v[16:17], v31, v[2:3]
	v_mov_b32_e32 v4, v16
	v_mov_b32_e32 v5, v17
	s_and_saveexec_b64 s[48:49], s[28:29]
; %bb.3388:                             ;   in Loop: Header=BB2_3128 Depth=3
	v_bfe_u32 v2, v16, 21, 1
	v_add_co_u32_e64 v2, s[28:29], v16, v2
	v_add_co_u32_e64 v4, s[28:29], -1, v2
; %bb.3389:                             ;   in Loop: Header=BB2_3128 Depth=3
	s_or_b64 exec, exec, s[48:49]
	v_add_u32_e32 v1, 0xffffff81, v1
	v_mov_b32_e32 v2, 0xffffff82
	v_cndmask_b32_e32 v1, v1, v2, vcc
	v_lshrrev_b32_e32 v2, 23, v16
	v_add3_u32 v31, v31, v1, v2
	v_add_u32_e32 v5, 14, v31
	v_and_b32_e32 v1, 0x1fffff, v4
	v_add_u32_e32 v2, v1, v16
	v_cmp_ne_u32_e32 vcc, 0, v5
                                        ; implicit-def: $vgpr16_vgpr17
                                        ; implicit-def: $vgpr1
	s_and_saveexec_b64 s[28:29], vcc
	s_xor_b64 s[28:29], exec, s[28:29]
; %bb.3390:                             ;   in Loop: Header=BB2_3128 Depth=3
	v_cmp_lt_u64_e32 vcc, s[88:89], v[2:3]
	v_add_u32_e32 v1, 15, v31
	v_cndmask_b32_e64 v4, 0, 1, vcc
	v_lshrrev_b64 v[16:17], v4, v[2:3]
	v_cndmask_b32_e32 v1, v5, v1, vcc
; %bb.3391:                             ;   in Loop: Header=BB2_3128 Depth=3
	s_andn2_saveexec_b64 s[28:29], s[28:29]
; %bb.3392:                             ;   in Loop: Header=BB2_3128 Depth=3
	v_mov_b32_e32 v17, v3
	v_bfe_u32 v1, v2, 23, 1
	v_mov_b32_e32 v16, v2
; %bb.3393:                             ;   in Loop: Header=BB2_3128 Depth=3
	s_or_b64 exec, exec, s[28:29]
	v_lshrrev_b64 v[4:5], 21, v[16:17]
	v_cmp_gt_i32_e32 vcc, 32, v1
	v_cndmask_b32_e32 v17, 0, v5, vcc
	v_cndmask_b32_e32 v16, 3, v4, vcc
	v_cmp_ne_u64_e32 vcc, 0, v[16:17]
	v_cmp_ne_u32_e64 s[28:29], 0, v1
	s_or_b64 s[28:29], s[28:29], vcc
                                        ; implicit-def: $vgpr31
	s_and_saveexec_b64 vcc, s[28:29]
	s_xor_b64 s[28:29], exec, vcc
; %bb.3394:                             ;   in Loop: Header=BB2_3128 Depth=3
	v_min_i32_e32 v1, 31, v1
	v_lshl_or_b32 v1, v1, 2, v36
	v_and_or_b32 v31, v16, 3, v1
                                        ; implicit-def: $vgpr36
; %bb.3395:                             ;   in Loop: Header=BB2_3128 Depth=3
	s_andn2_saveexec_b64 s[28:29], s[28:29]
; %bb.3396:                             ;   in Loop: Header=BB2_3128 Depth=3
	v_mov_b32_e32 v31, v36
; %bb.3397:                             ;   in Loop: Header=BB2_3128 Depth=3
	s_or_b64 exec, exec, s[28:29]
.LBB2_3398:                             ;   in Loop: Header=BB2_3128 Depth=3
	s_or_b64 exec, exec, s[38:39]
                                        ; implicit-def: $vgpr36
.LBB2_3399:                             ;   in Loop: Header=BB2_3128 Depth=3
	s_andn2_saveexec_b64 s[28:29], s[36:37]
; %bb.3400:                             ;   in Loop: Header=BB2_3128 Depth=3
	v_or_b32_e32 v31, 0x7b, v36
; %bb.3401:                             ;   in Loop: Header=BB2_3128 Depth=3
	s_or_b64 exec, exec, s[28:29]
                                        ; implicit-def: $vgpr1
.LBB2_3402:                             ;   in Loop: Header=BB2_3128 Depth=3
	s_andn2_saveexec_b64 s[28:29], s[34:35]
	s_cbranch_execz .LBB2_3408
; %bb.3403:                             ;   in Loop: Header=BB2_3128 Depth=3
	v_cmp_ne_u64_e32 vcc, 0, v[2:3]
                                        ; implicit-def: $vgpr31
	s_and_saveexec_b64 s[34:35], vcc
	s_xor_b64 vcc, exec, s[34:35]
; %bb.3404:                             ;   in Loop: Header=BB2_3128 Depth=3
	v_or_b32_sdwa v31, v1, s81 dst_sel:DWORD dst_unused:UNUSED_PAD src0_sel:BYTE_3 src1_sel:DWORD
                                        ; implicit-def: $vgpr1
; %bb.3405:                             ;   in Loop: Header=BB2_3128 Depth=3
	s_andn2_saveexec_b64 s[34:35], vcc
; %bb.3406:                             ;   in Loop: Header=BB2_3128 Depth=3
	v_cmp_lt_i32_e32 vcc, -1, v1
	v_cndmask_b32_e32 v31, -4, v49, vcc
; %bb.3407:                             ;   in Loop: Header=BB2_3128 Depth=3
	s_or_b64 exec, exec, s[34:35]
.LBB2_3408:                             ;   in Loop: Header=BB2_3128 Depth=3
	s_or_b64 exec, exec, s[28:29]
	v_cmp_ne_u16_e32 vcc, 0, v45
	v_mov_b32_e32 v1, 0
	v_mov_b32_e32 v2, 0
	s_and_saveexec_b64 s[28:29], vcc
	s_cbranch_execz .LBB2_3416
; %bb.3409:                             ;   in Loop: Header=BB2_3128 Depth=3
	v_cmp_ne_u16_e32 vcc, s70, v45
	v_bfrev_b32_e32 v2, 1
	s_and_saveexec_b64 s[34:35], vcc
	s_cbranch_execz .LBB2_3415
; %bb.3410:                             ;   in Loop: Header=BB2_3128 Depth=3
	v_and_b32_e32 v2, 0x7c, v45
	v_and_b32_e32 v4, 3, v45
	v_cmp_ne_u32_e32 vcc, s71, v2
                                        ; implicit-def: $vgpr2
	s_and_saveexec_b64 s[36:37], vcc
	s_xor_b64 s[36:37], exec, s[36:37]
	s_cbranch_execz .LBB2_3412
; %bb.3411:                             ;   in Loop: Header=BB2_3128 Depth=3
	v_ffbh_u32_e32 v5, v4
	v_min_u32_e32 v5, 32, v5
	v_and_b32_e32 v2, 0xff, v45
	v_mov_b32_e32 v46, v3
	v_subrev_u32_e32 v16, 29, v5
	v_bfe_u32 v2, v2, 2, 5
	v_lshlrev_b64 v[16:17], v16, v[45:46]
	v_sub_u32_e32 v5, 30, v5
	v_cmp_eq_u32_e32 vcc, 0, v2
	v_and_b32_e32 v16, 3, v16
	v_cndmask_b32_e32 v2, v2, v5, vcc
	v_and_b32_sdwa v5, sext(v45), s80 dst_sel:DWORD dst_unused:UNUSED_PAD src0_sel:WORD_0 src1_sel:DWORD
	v_cndmask_b32_e32 v4, v4, v16, vcc
	v_lshl_add_u32 v2, v2, 23, v5
	v_lshl_or_b32 v2, v4, 21, v2
	v_add_u32_e32 v2, 0x38000000, v2
                                        ; implicit-def: $vgpr4
                                        ; implicit-def: $vgpr45
.LBB2_3412:                             ;   in Loop: Header=BB2_3128 Depth=3
	s_andn2_saveexec_b64 s[36:37], s[36:37]
; %bb.3413:                             ;   in Loop: Header=BB2_3128 Depth=3
	v_cmp_lt_i16_e32 vcc, -1, v45
	v_cndmask_b32_e32 v2, v27, v6, vcc
	v_cmp_eq_u32_e32 vcc, 0, v4
	v_cndmask_b32_e32 v2, v7, v2, vcc
; %bb.3414:                             ;   in Loop: Header=BB2_3128 Depth=3
	s_or_b64 exec, exec, s[36:37]
.LBB2_3415:                             ;   in Loop: Header=BB2_3128 Depth=3
	s_or_b64 exec, exec, s[34:35]
.LBB2_3416:                             ;   in Loop: Header=BB2_3128 Depth=3
	s_or_b64 exec, exec, s[28:29]
	v_cmp_ne_u16_e32 vcc, 0, v44
	s_and_saveexec_b64 s[28:29], vcc
	s_cbranch_execz .LBB2_3424
; %bb.3417:                             ;   in Loop: Header=BB2_3128 Depth=3
	v_cmp_ne_u16_e32 vcc, s70, v44
	v_bfrev_b32_e32 v1, 1
	s_and_saveexec_b64 s[34:35], vcc
	s_cbranch_execz .LBB2_3423
; %bb.3418:                             ;   in Loop: Header=BB2_3128 Depth=3
	v_and_b32_e32 v1, 0x7c, v44
	v_and_b32_e32 v4, 3, v44
	v_cmp_ne_u32_e32 vcc, s71, v1
                                        ; implicit-def: $vgpr1
	s_and_saveexec_b64 s[36:37], vcc
	s_xor_b64 s[36:37], exec, s[36:37]
	s_cbranch_execz .LBB2_3420
; %bb.3419:                             ;   in Loop: Header=BB2_3128 Depth=3
	v_ffbh_u32_e32 v5, v4
	v_min_u32_e32 v5, 32, v5
	v_and_b32_e32 v1, 0xff, v44
	v_mov_b32_e32 v45, v3
	v_subrev_u32_e32 v16, 29, v5
	v_bfe_u32 v1, v1, 2, 5
	v_lshlrev_b64 v[16:17], v16, v[44:45]
	v_sub_u32_e32 v5, 30, v5
	v_cmp_eq_u32_e32 vcc, 0, v1
	v_and_b32_e32 v16, 3, v16
	v_cndmask_b32_e32 v1, v1, v5, vcc
	v_and_b32_sdwa v5, sext(v44), s80 dst_sel:DWORD dst_unused:UNUSED_PAD src0_sel:WORD_0 src1_sel:DWORD
	v_cndmask_b32_e32 v4, v4, v16, vcc
	v_lshl_add_u32 v1, v1, 23, v5
	v_lshl_or_b32 v1, v4, 21, v1
	v_add_u32_e32 v1, 0x38000000, v1
                                        ; implicit-def: $vgpr4
                                        ; implicit-def: $vgpr44
.LBB2_3420:                             ;   in Loop: Header=BB2_3128 Depth=3
	s_andn2_saveexec_b64 s[36:37], s[36:37]
; %bb.3421:                             ;   in Loop: Header=BB2_3128 Depth=3
	v_cmp_lt_i16_e32 vcc, -1, v44
	v_cndmask_b32_e32 v1, v27, v6, vcc
	v_cmp_eq_u32_e32 vcc, 0, v4
	v_cndmask_b32_e32 v1, v7, v1, vcc
; %bb.3422:                             ;   in Loop: Header=BB2_3128 Depth=3
	s_or_b64 exec, exec, s[36:37]
.LBB2_3423:                             ;   in Loop: Header=BB2_3128 Depth=3
	s_or_b64 exec, exec, s[34:35]
.LBB2_3424:                             ;   in Loop: Header=BB2_3128 Depth=3
	s_or_b64 exec, exec, s[28:29]
	v_mul_f32_e32 v4, v2, v1
	v_and_b32_e32 v1, 0x7f800000, v4
	v_mov_b32_e32 v2, v3
	v_cmp_ne_u64_e32 vcc, s[62:63], v[1:2]
	v_and_b32_e32 v2, 0x7fffff, v4
                                        ; implicit-def: $vgpr1
	s_and_saveexec_b64 s[28:29], vcc
	s_xor_b64 s[34:35], exec, s[28:29]
	s_cbranch_execz .LBB2_3442
; %bb.3425:                             ;   in Loop: Header=BB2_3128 Depth=3
	v_and_b32_e32 v16, 0x7fffffff, v4
	v_mov_b32_e32 v17, v3
	v_cmp_gt_u64_e32 vcc, s[78:79], v[16:17]
	v_and_b32_sdwa v36, v4, s82 dst_sel:DWORD dst_unused:UNUSED_PAD src0_sel:BYTE_3 src1_sel:DWORD
                                        ; implicit-def: $vgpr1
	s_and_saveexec_b64 s[28:29], vcc
	s_xor_b64 s[36:37], exec, s[28:29]
	s_cbranch_execz .LBB2_3439
; %bb.3426:                             ;   in Loop: Header=BB2_3128 Depth=3
	v_cmp_ne_u32_e32 vcc, 0, v4
	v_mov_b32_e32 v1, 0
	s_and_saveexec_b64 s[38:39], vcc
	s_cbranch_execz .LBB2_3438
; %bb.3427:                             ;   in Loop: Header=BB2_3128 Depth=3
	v_bfe_u32 v1, v4, 23, 8
	v_cmp_gt_u32_e64 s[28:29], s44, v1
	v_sub_u32_e32 v4, 0x71, v1
	v_cmp_eq_u32_e32 vcc, 0, v1
	v_cndmask_b32_e64 v4, 0, v4, s[28:29]
	v_mov_b32_e32 v16, 0x70
	v_cndmask_b32_e32 v39, v4, v16, vcc
	v_or_b32_e32 v5, 0x800000, v2
	v_add_u32_e32 v4, 21, v39
	v_cndmask_b32_e32 v2, v5, v2, vcc
	v_lshlrev_b64 v[4:5], v4, -1
	v_add_u32_e32 v16, 20, v39
	v_lshlrev_b64 v[16:17], v16, 1
	v_bfi_b32 v5, v5, 0, 0
	v_bfi_b32 v4, v4, 0, v2
	v_cmp_eq_u64_e64 s[28:29], v[4:5], v[16:17]
	v_lshrrev_b64 v[16:17], v39, v[2:3]
	v_mov_b32_e32 v4, v16
	v_mov_b32_e32 v5, v17
	s_and_saveexec_b64 s[48:49], s[28:29]
; %bb.3428:                             ;   in Loop: Header=BB2_3128 Depth=3
	v_bfe_u32 v2, v16, 21, 1
	v_add_co_u32_e64 v2, s[28:29], v16, v2
	v_add_co_u32_e64 v4, s[28:29], -1, v2
; %bb.3429:                             ;   in Loop: Header=BB2_3128 Depth=3
	s_or_b64 exec, exec, s[48:49]
	v_add_u32_e32 v1, 0xffffff81, v1
	v_mov_b32_e32 v2, 0xffffff82
	v_cndmask_b32_e32 v1, v1, v2, vcc
	v_lshrrev_b32_e32 v2, 23, v16
	v_add3_u32 v5, v39, v1, v2
	v_add_u32_e32 v1, 14, v5
	v_and_b32_e32 v2, 0x1fffff, v4
	v_add_u32_e32 v2, v2, v16
	v_cmp_ne_u32_e32 vcc, 0, v1
                                        ; implicit-def: $vgpr16_vgpr17
                                        ; implicit-def: $vgpr4
	s_and_saveexec_b64 s[28:29], vcc
	s_xor_b64 s[28:29], exec, s[28:29]
; %bb.3430:                             ;   in Loop: Header=BB2_3128 Depth=3
	v_cmp_lt_u64_e32 vcc, s[88:89], v[2:3]
	v_add_u32_e32 v4, 15, v5
	v_cndmask_b32_e32 v4, v1, v4, vcc
	v_cndmask_b32_e64 v1, 0, 1, vcc
	v_lshrrev_b64 v[16:17], v1, v[2:3]
; %bb.3431:                             ;   in Loop: Header=BB2_3128 Depth=3
	s_andn2_saveexec_b64 s[28:29], s[28:29]
; %bb.3432:                             ;   in Loop: Header=BB2_3128 Depth=3
	v_mov_b32_e32 v17, v3
	v_bfe_u32 v4, v2, 23, 1
	v_mov_b32_e32 v16, v2
; %bb.3433:                             ;   in Loop: Header=BB2_3128 Depth=3
	s_or_b64 exec, exec, s[28:29]
	v_lshrrev_b64 v[1:2], 21, v[16:17]
	v_cmp_gt_i32_e32 vcc, 32, v4
	v_cndmask_b32_e32 v17, 0, v2, vcc
	v_cndmask_b32_e32 v16, 3, v1, vcc
	v_cmp_ne_u64_e32 vcc, 0, v[16:17]
	v_cmp_ne_u32_e64 s[28:29], 0, v4
	s_or_b64 s[28:29], s[28:29], vcc
                                        ; implicit-def: $vgpr1
	s_and_saveexec_b64 vcc, s[28:29]
	s_xor_b64 s[28:29], exec, vcc
; %bb.3434:                             ;   in Loop: Header=BB2_3128 Depth=3
	v_min_i32_e32 v1, 31, v4
	v_lshl_or_b32 v1, v1, 2, v36
	v_and_or_b32 v1, v16, 3, v1
                                        ; implicit-def: $vgpr36
; %bb.3435:                             ;   in Loop: Header=BB2_3128 Depth=3
	s_andn2_saveexec_b64 s[28:29], s[28:29]
; %bb.3436:                             ;   in Loop: Header=BB2_3128 Depth=3
	v_mov_b32_e32 v1, v36
; %bb.3437:                             ;   in Loop: Header=BB2_3128 Depth=3
	s_or_b64 exec, exec, s[28:29]
.LBB2_3438:                             ;   in Loop: Header=BB2_3128 Depth=3
	s_or_b64 exec, exec, s[38:39]
                                        ; implicit-def: $vgpr36
.LBB2_3439:                             ;   in Loop: Header=BB2_3128 Depth=3
	s_andn2_saveexec_b64 s[28:29], s[36:37]
; %bb.3440:                             ;   in Loop: Header=BB2_3128 Depth=3
	v_or_b32_e32 v1, 0x7b, v36
; %bb.3441:                             ;   in Loop: Header=BB2_3128 Depth=3
	s_or_b64 exec, exec, s[28:29]
                                        ; implicit-def: $vgpr4
.LBB2_3442:                             ;   in Loop: Header=BB2_3128 Depth=3
	s_andn2_saveexec_b64 s[28:29], s[34:35]
	s_cbranch_execz .LBB2_3127
; %bb.3443:                             ;   in Loop: Header=BB2_3128 Depth=3
	v_cmp_ne_u64_e32 vcc, 0, v[2:3]
                                        ; implicit-def: $vgpr1
	s_and_saveexec_b64 s[34:35], vcc
	s_xor_b64 vcc, exec, s[34:35]
; %bb.3444:                             ;   in Loop: Header=BB2_3128 Depth=3
	v_or_b32_sdwa v1, v4, s81 dst_sel:DWORD dst_unused:UNUSED_PAD src0_sel:BYTE_3 src1_sel:DWORD
                                        ; implicit-def: $vgpr4
; %bb.3445:                             ;   in Loop: Header=BB2_3128 Depth=3
	s_andn2_saveexec_b64 s[34:35], vcc
	s_cbranch_execz .LBB2_3126
; %bb.3446:                             ;   in Loop: Header=BB2_3128 Depth=3
	v_cmp_lt_i32_e32 vcc, -1, v4
	v_cndmask_b32_e32 v1, -4, v49, vcc
	s_branch .LBB2_3126
.LBB2_3447:                             ;   in Loop: Header=BB2_1943 Depth=2
	s_or_b64 exec, exec, s[30:31]
	buffer_load_dword v47, off, s[0:3], s33 offset:168 ; 4-byte Folded Reload
	buffer_load_dword v56, off, s[0:3], s33 offset:172 ; 4-byte Folded Reload
	;; [unrolled: 1-line block ×9, first 2 shown]
.LBB2_3448:                             ;   in Loop: Header=BB2_1943 Depth=2
	s_or_b64 exec, exec, s[40:41]
	v_lshlrev_b32_e32 v1, 9, v52
	v_cmp_ne_u32_e32 vcc, v25, v1
	s_and_b64 exec, exec, vcc
	s_cbranch_execz .LBB2_3494
; %bb.3449:                             ;   in Loop: Header=BB2_1943 Depth=2
	s_waitcnt vmcnt(0)
	v_add_u32_e32 v2, v40, v2
	v_and_b32_e32 v2, 0xffffffc0, v2
	v_sub_u32_e32 v2, v40, v2
	v_lshlrev_b32_e32 v4, 6, v41
	v_sub_u32_e32 v2, v2, v4
	v_add_u32_e32 v1, v1, v2
	v_sub_u32_e32 v18, v25, v1
	v_cmp_lt_i32_e32 vcc, 0, v18
	s_and_b64 exec, exec, vcc
	s_cbranch_execz .LBB2_3494
; %bb.3450:                             ;   in Loop: Header=BB2_1943 Depth=2
	s_trap 2
	ds_read_b128 v[8:11], v0
	v_add_u32_e32 v1, v1, v24
	v_ashrrev_i32_e32 v2, 31, v1
	s_mov_b64 s[30:31], 0
	s_waitcnt lgkmcnt(0)
	v_add_co_u32_e32 v8, vcc, v8, v1
	v_addc_co_u32_e32 v9, vcc, v9, v2, vcc
	v_add_co_u32_e32 v10, vcc, v10, v1
	v_addc_co_u32_e32 v11, vcc, v11, v2, vcc
	v_mov_b32_e32 v13, v9
	v_mov_b32_e32 v15, v11
	;; [unrolled: 1-line block ×4, first 2 shown]
.LBB2_3451:                             ;   Parent Loop BB2_47 Depth=1
                                        ;     Parent Loop BB2_1943 Depth=2
                                        ; =>    This Loop Header: Depth=3
                                        ;         Child Loop BB2_3492 Depth 4
	flat_load_sbyte v2, v[12:13] glc slc
	flat_load_sbyte v16, v[14:15] glc slc
	v_mov_b32_e32 v1, 0
	v_mov_b32_e32 v4, 0
	s_waitcnt vmcnt(0) lgkmcnt(0)
	v_cmp_ne_u16_e32 vcc, 0, v2
	s_and_saveexec_b64 s[28:29], vcc
	s_cbranch_execz .LBB2_3459
; %bb.3452:                             ;   in Loop: Header=BB2_3451 Depth=3
	v_cmp_ne_u16_e32 vcc, s70, v2
	v_bfrev_b32_e32 v4, 1
	s_and_saveexec_b64 s[40:41], vcc
	s_cbranch_execz .LBB2_3458
; %bb.3453:                             ;   in Loop: Header=BB2_3451 Depth=3
	v_and_b32_e32 v4, 0x7c, v2
	v_and_b32_e32 v5, 3, v2
	v_cmp_ne_u32_e32 vcc, s71, v4
                                        ; implicit-def: $vgpr4
	s_and_saveexec_b64 s[34:35], vcc
	s_xor_b64 s[34:35], exec, s[34:35]
	s_cbranch_execz .LBB2_3455
; %bb.3454:                             ;   in Loop: Header=BB2_3451 Depth=3
	v_ffbh_u32_e32 v17, v5
	v_min_u32_e32 v17, 32, v17
	v_and_b32_e32 v4, 0xff, v2
	v_subrev_u32_e32 v19, 29, v17
	v_bfe_u32 v4, v4, 2, 5
	v_lshlrev_b64 v[19:20], v19, v[2:3]
	v_sub_u32_e32 v17, 30, v17
	v_cmp_eq_u32_e32 vcc, 0, v4
	v_and_b32_e32 v19, 3, v19
	v_cndmask_b32_e32 v4, v4, v17, vcc
	v_and_b32_sdwa v2, sext(v2), s80 dst_sel:DWORD dst_unused:UNUSED_PAD src0_sel:WORD_0 src1_sel:DWORD
	v_cndmask_b32_e32 v5, v5, v19, vcc
	v_lshl_add_u32 v2, v4, 23, v2
	v_lshl_or_b32 v2, v5, 21, v2
	v_add_u32_e32 v4, 0x38000000, v2
                                        ; implicit-def: $vgpr5
.LBB2_3455:                             ;   in Loop: Header=BB2_3451 Depth=3
	s_andn2_saveexec_b64 s[34:35], s[34:35]
; %bb.3456:                             ;   in Loop: Header=BB2_3451 Depth=3
	v_cmp_lt_i16_e32 vcc, -1, v2
	v_cndmask_b32_e32 v2, v27, v6, vcc
	v_cmp_eq_u32_e32 vcc, 0, v5
	v_cndmask_b32_e32 v4, v7, v2, vcc
; %bb.3457:                             ;   in Loop: Header=BB2_3451 Depth=3
	s_or_b64 exec, exec, s[34:35]
.LBB2_3458:                             ;   in Loop: Header=BB2_3451 Depth=3
	s_or_b64 exec, exec, s[40:41]
.LBB2_3459:                             ;   in Loop: Header=BB2_3451 Depth=3
	s_or_b64 exec, exec, s[28:29]
	v_cmp_ne_u16_e32 vcc, 0, v16
	s_and_saveexec_b64 s[28:29], vcc
	s_cbranch_execz .LBB2_3467
; %bb.3460:                             ;   in Loop: Header=BB2_3451 Depth=3
	v_cmp_ne_u16_e32 vcc, s70, v16
	v_bfrev_b32_e32 v1, 1
	s_and_saveexec_b64 s[40:41], vcc
	s_cbranch_execz .LBB2_3466
; %bb.3461:                             ;   in Loop: Header=BB2_3451 Depth=3
	v_and_b32_e32 v1, 0x7c, v16
	v_and_b32_e32 v2, 3, v16
	v_cmp_ne_u32_e32 vcc, s71, v1
                                        ; implicit-def: $vgpr1
	s_and_saveexec_b64 s[34:35], vcc
	s_xor_b64 s[34:35], exec, s[34:35]
	s_cbranch_execz .LBB2_3463
; %bb.3462:                             ;   in Loop: Header=BB2_3451 Depth=3
	v_ffbh_u32_e32 v19, v2
	v_min_u32_e32 v19, 32, v19
	v_and_b32_e32 v1, 0xff, v16
	v_mov_b32_e32 v17, v3
	v_subrev_u32_e32 v20, 29, v19
	v_bfe_u32 v1, v1, 2, 5
	v_and_b32_sdwa v5, sext(v16), s80 dst_sel:DWORD dst_unused:UNUSED_PAD src0_sel:WORD_0 src1_sel:DWORD
	v_lshlrev_b64 v[16:17], v20, v[16:17]
	v_sub_u32_e32 v17, 30, v19
	v_cmp_eq_u32_e32 vcc, 0, v1
	v_and_b32_e32 v16, 3, v16
	v_cndmask_b32_e32 v1, v1, v17, vcc
	v_cndmask_b32_e32 v2, v2, v16, vcc
	v_lshl_add_u32 v1, v1, 23, v5
	v_lshl_or_b32 v1, v2, 21, v1
	v_add_u32_e32 v1, 0x38000000, v1
                                        ; implicit-def: $vgpr16
                                        ; implicit-def: $vgpr2
.LBB2_3463:                             ;   in Loop: Header=BB2_3451 Depth=3
	s_andn2_saveexec_b64 s[34:35], s[34:35]
; %bb.3464:                             ;   in Loop: Header=BB2_3451 Depth=3
	v_cmp_lt_i16_e32 vcc, -1, v16
	v_cndmask_b32_e32 v1, v27, v6, vcc
	v_cmp_eq_u32_e32 vcc, 0, v2
	v_cndmask_b32_e32 v1, v7, v1, vcc
; %bb.3465:                             ;   in Loop: Header=BB2_3451 Depth=3
	s_or_b64 exec, exec, s[34:35]
.LBB2_3466:                             ;   in Loop: Header=BB2_3451 Depth=3
	s_or_b64 exec, exec, s[40:41]
.LBB2_3467:                             ;   in Loop: Header=BB2_3451 Depth=3
	s_or_b64 exec, exec, s[28:29]
	v_mul_f32_e32 v1, v4, v1
	v_and_b32_e32 v4, 0x7f800000, v1
	v_mov_b32_e32 v5, v3
	v_cmp_ne_u64_e32 vcc, s[62:63], v[4:5]
	v_and_b32_e32 v2, 0x7fffff, v1
                                        ; implicit-def: $vgpr4
	s_and_saveexec_b64 s[28:29], vcc
	s_xor_b64 s[40:41], exec, s[28:29]
	s_cbranch_execz .LBB2_3485
; %bb.3468:                             ;   in Loop: Header=BB2_3451 Depth=3
	v_and_b32_e32 v4, 0x7fffffff, v1
	v_mov_b32_e32 v5, v3
	v_cmp_gt_u64_e32 vcc, s[78:79], v[4:5]
	v_and_b32_sdwa v19, v1, s82 dst_sel:DWORD dst_unused:UNUSED_PAD src0_sel:BYTE_3 src1_sel:DWORD
                                        ; implicit-def: $vgpr4
	s_and_saveexec_b64 s[28:29], vcc
	s_xor_b64 s[34:35], exec, s[28:29]
	s_cbranch_execz .LBB2_3482
; %bb.3469:                             ;   in Loop: Header=BB2_3451 Depth=3
	v_cmp_ne_u32_e32 vcc, 0, v1
	v_mov_b32_e32 v4, 0
	s_and_saveexec_b64 s[36:37], vcc
	s_cbranch_execz .LBB2_3481
; %bb.3470:                             ;   in Loop: Header=BB2_3451 Depth=3
	v_bfe_u32 v1, v1, 23, 8
	v_cmp_gt_u32_e64 s[28:29], s44, v1
	v_sub_u32_e32 v4, 0x71, v1
	v_cmp_eq_u32_e32 vcc, 0, v1
	v_cndmask_b32_e64 v4, 0, v4, s[28:29]
	v_mov_b32_e32 v16, 0x70
	v_cndmask_b32_e32 v20, v4, v16, vcc
	v_or_b32_e32 v5, 0x800000, v2
	v_add_u32_e32 v4, 21, v20
	v_cndmask_b32_e32 v2, v5, v2, vcc
	v_lshlrev_b64 v[4:5], v4, -1
	v_add_u32_e32 v16, 20, v20
	v_lshlrev_b64 v[16:17], v16, 1
	v_bfi_b32 v5, v5, 0, 0
	v_bfi_b32 v4, v4, 0, v2
	v_cmp_eq_u64_e64 s[28:29], v[4:5], v[16:17]
	v_lshrrev_b64 v[16:17], v20, v[2:3]
	v_mov_b32_e32 v4, v16
	v_mov_b32_e32 v5, v17
	s_and_saveexec_b64 s[38:39], s[28:29]
; %bb.3471:                             ;   in Loop: Header=BB2_3451 Depth=3
	v_bfe_u32 v2, v16, 21, 1
	v_add_co_u32_e64 v2, s[28:29], v16, v2
	v_add_co_u32_e64 v4, s[28:29], -1, v2
; %bb.3472:                             ;   in Loop: Header=BB2_3451 Depth=3
	s_or_b64 exec, exec, s[38:39]
	v_add_u32_e32 v1, 0xffffff81, v1
	v_mov_b32_e32 v2, 0xffffff82
	v_cndmask_b32_e32 v1, v1, v2, vcc
	v_lshrrev_b32_e32 v2, 23, v16
	v_add3_u32 v20, v20, v1, v2
	v_add_u32_e32 v5, 14, v20
	v_and_b32_e32 v1, 0x1fffff, v4
	v_add_u32_e32 v2, v1, v16
	v_cmp_ne_u32_e32 vcc, 0, v5
                                        ; implicit-def: $vgpr16_vgpr17
                                        ; implicit-def: $vgpr1
	s_and_saveexec_b64 s[28:29], vcc
	s_xor_b64 s[28:29], exec, s[28:29]
; %bb.3473:                             ;   in Loop: Header=BB2_3451 Depth=3
	v_cmp_lt_u64_e32 vcc, s[88:89], v[2:3]
	v_add_u32_e32 v1, 15, v20
	v_cndmask_b32_e64 v4, 0, 1, vcc
	v_cndmask_b32_e32 v1, v5, v1, vcc
	v_lshrrev_b64 v[16:17], v4, v[2:3]
; %bb.3474:                             ;   in Loop: Header=BB2_3451 Depth=3
	s_andn2_saveexec_b64 s[28:29], s[28:29]
; %bb.3475:                             ;   in Loop: Header=BB2_3451 Depth=3
	v_mov_b32_e32 v17, v3
	v_bfe_u32 v1, v2, 23, 1
	v_mov_b32_e32 v16, v2
; %bb.3476:                             ;   in Loop: Header=BB2_3451 Depth=3
	s_or_b64 exec, exec, s[28:29]
	v_lshrrev_b64 v[4:5], 21, v[16:17]
	v_cmp_gt_i32_e32 vcc, 32, v1
	v_cndmask_b32_e32 v17, 0, v5, vcc
	v_cndmask_b32_e32 v16, 3, v4, vcc
	v_cmp_ne_u64_e32 vcc, 0, v[16:17]
	v_cmp_ne_u32_e64 s[28:29], 0, v1
	s_or_b64 s[28:29], s[28:29], vcc
                                        ; implicit-def: $vgpr4
	s_and_saveexec_b64 vcc, s[28:29]
	s_xor_b64 s[28:29], exec, vcc
; %bb.3477:                             ;   in Loop: Header=BB2_3451 Depth=3
	v_min_i32_e32 v1, 31, v1
	v_lshl_or_b32 v1, v1, 2, v19
	v_and_or_b32 v4, v16, 3, v1
                                        ; implicit-def: $vgpr19
; %bb.3478:                             ;   in Loop: Header=BB2_3451 Depth=3
	s_andn2_saveexec_b64 s[28:29], s[28:29]
; %bb.3479:                             ;   in Loop: Header=BB2_3451 Depth=3
	v_mov_b32_e32 v4, v19
; %bb.3480:                             ;   in Loop: Header=BB2_3451 Depth=3
	s_or_b64 exec, exec, s[28:29]
.LBB2_3481:                             ;   in Loop: Header=BB2_3451 Depth=3
	s_or_b64 exec, exec, s[36:37]
                                        ; implicit-def: $vgpr19
.LBB2_3482:                             ;   in Loop: Header=BB2_3451 Depth=3
	s_andn2_saveexec_b64 s[28:29], s[34:35]
; %bb.3483:                             ;   in Loop: Header=BB2_3451 Depth=3
	v_or_b32_e32 v4, 0x7b, v19
; %bb.3484:                             ;   in Loop: Header=BB2_3451 Depth=3
	s_or_b64 exec, exec, s[28:29]
                                        ; implicit-def: $vgpr1
.LBB2_3485:                             ;   in Loop: Header=BB2_3451 Depth=3
	s_andn2_saveexec_b64 s[28:29], s[40:41]
	s_cbranch_execz .LBB2_3491
; %bb.3486:                             ;   in Loop: Header=BB2_3451 Depth=3
	v_cmp_ne_u64_e32 vcc, 0, v[2:3]
                                        ; implicit-def: $vgpr4
	s_and_saveexec_b64 s[40:41], vcc
	s_xor_b64 s[40:41], exec, s[40:41]
; %bb.3487:                             ;   in Loop: Header=BB2_3451 Depth=3
	v_or_b32_sdwa v4, v1, s81 dst_sel:DWORD dst_unused:UNUSED_PAD src0_sel:BYTE_3 src1_sel:DWORD
                                        ; implicit-def: $vgpr1
; %bb.3488:                             ;   in Loop: Header=BB2_3451 Depth=3
	s_andn2_saveexec_b64 s[40:41], s[40:41]
; %bb.3489:                             ;   in Loop: Header=BB2_3451 Depth=3
	v_cmp_lt_i32_e32 vcc, -1, v1
	v_cndmask_b32_e32 v4, -4, v49, vcc
; %bb.3490:                             ;   in Loop: Header=BB2_3451 Depth=3
	s_or_b64 exec, exec, s[40:41]
.LBB2_3491:                             ;   in Loop: Header=BB2_3451 Depth=3
	s_or_b64 exec, exec, s[28:29]
	s_mov_b64 s[36:37], 0
	s_mov_b64 s[34:35], -1
.LBB2_3492:                             ;   Parent Loop BB2_47 Depth=1
                                        ;     Parent Loop BB2_1943 Depth=2
                                        ;       Parent Loop BB2_3451 Depth=3
                                        ; =>      This Inner Loop Header: Depth=4
	s_cmp_eq_u32 s36, 1
	s_cselect_b64 vcc, -1, 0
	v_cndmask_b32_e32 v2, v9, v11, vcc
	v_cndmask_b32_e32 v1, v8, v10, vcc
	flat_store_byte v[1:2], v4 glc slc
	v_add_co_u32_e64 v1, s[28:29], 64, v1
	s_cmp_eq_u32 s36, 0
	v_addc_co_u32_e64 v2, s[28:29], 0, v2, s[28:29]
	s_cselect_b64 s[28:29], -1, 0
	s_and_b64 s[40:41], exec, s[34:35]
	s_mov_b64 s[36:37], 1
	s_mov_b64 s[34:35], 0
	v_cndmask_b32_e32 v11, v11, v2, vcc
	v_cndmask_b32_e32 v10, v10, v1, vcc
	v_cndmask_b32_e64 v9, v9, v2, s[28:29]
	v_cndmask_b32_e64 v8, v8, v1, s[28:29]
	s_mov_b64 vcc, s[40:41]
	s_cbranch_vccnz .LBB2_3492
; %bb.3493:                             ;   in Loop: Header=BB2_3451 Depth=3
	buffer_load_dword v1, off, s[0:3], s33 offset:108 ; 4-byte Folded Reload
	buffer_load_dword v2, off, s[0:3], s33 offset:112 ; 4-byte Folded Reload
	v_sub_u32_e32 v18, v18, v46
	s_waitcnt vmcnt(0)
	v_add_co_u32_e32 v12, vcc, v12, v1
	v_addc_co_u32_e32 v13, vcc, v13, v2, vcc
	v_add_co_u32_e32 v14, vcc, v14, v1
	buffer_load_dword v1, off, s[0:3], s33 offset:100 ; 4-byte Folded Reload
	v_addc_co_u32_e32 v15, vcc, v15, v2, vcc
	buffer_load_dword v2, off, s[0:3], s33 offset:104 ; 4-byte Folded Reload
	s_waitcnt vmcnt(0)
	v_add_co_u32_e32 v8, vcc, v8, v1
	v_addc_co_u32_e32 v9, vcc, v9, v2, vcc
	v_cmp_gt_i32_e32 vcc, 1, v18
	s_or_b64 s[30:31], vcc, s[30:31]
	v_add_co_u32_e32 v10, vcc, v10, v1
	v_addc_co_u32_e32 v11, vcc, v11, v2, vcc
	s_andn2_b64 exec, exec, s[30:31]
	s_cbranch_execnz .LBB2_3451
.LBB2_3494:                             ;   in Loop: Header=BB2_1943 Depth=2
	s_or_b64 exec, exec, s[42:43]
	s_mov_b64 s[28:29], 0
.LBB2_3495:                             ;   in Loop: Header=BB2_1943 Depth=2
	s_and_b64 vcc, exec, s[28:29]
	s_cbranch_vccz .LBB2_4972
; %bb.3496:                             ;   in Loop: Header=BB2_1943 Depth=2
	s_mov_b64 s[28:29], -1
	s_and_saveexec_b64 s[40:41], s[22:23]
	s_cbranch_execz .LBB2_3498
; %bb.3497:                             ;   in Loop: Header=BB2_1943 Depth=2
	s_waitcnt vmcnt(0)
	ds_read_b32 v1, v0 offset:720
	s_waitcnt lgkmcnt(0)
	v_and_b32_e32 v1, 15, v1
	v_cmp_eq_u32_e32 vcc, 0, v1
	s_orn2_b64 s[28:29], vcc, exec
.LBB2_3498:                             ;   in Loop: Header=BB2_1943 Depth=2
	s_or_b64 exec, exec, s[40:41]
	s_and_saveexec_b64 s[40:41], s[18:19]
	s_cbranch_execz .LBB2_3500
; %bb.3499:                             ;   in Loop: Header=BB2_1943 Depth=2
	s_waitcnt vmcnt(0)
	ds_read_b32 v1, v0 offset:784
	s_waitcnt lgkmcnt(0)
	v_and_b32_e32 v1, 15, v1
	v_cmp_eq_u32_e32 vcc, 0, v1
	s_and_b64 s[42:43], s[28:29], vcc
	s_andn2_b64 s[28:29], s[28:29], exec
	s_and_b64 s[42:43], s[42:43], exec
	s_or_b64 s[28:29], s[28:29], s[42:43]
.LBB2_3500:                             ;   in Loop: Header=BB2_1943 Depth=2
	s_or_b64 exec, exec, s[40:41]
	s_xor_b64 s[28:29], s[28:29], -1
	s_waitcnt vmcnt(0)
	v_cndmask_b32_e64 v1, 0, 1, s[28:29]
	v_cmp_ne_u32_e32 vcc, 0, v1
	buffer_load_dword v1, off, s[0:3], s33 offset:116 ; 4-byte Folded Reload
	s_mov_b64 s[42:43], -1
	v_mov_b32_e32 v24, 0
	v_mov_b32_e32 v25, v44
	;; [unrolled: 1-line block ×3, first 2 shown]
	s_cbranch_vccz .LBB2_3502
; %bb.3501:                             ;   in Loop: Header=BB2_1943 Depth=2
	s_and_saveexec_b64 s[40:41], s[42:43]
	s_cbranch_execnz .LBB2_4603
	s_branch .LBB2_4971
.LBB2_3502:                             ;   in Loop: Header=BB2_1943 Depth=2
	buffer_load_dword v1, off, s[0:3], s33 offset:144 ; 4-byte Folded Reload
	s_waitcnt vmcnt(0)
	v_sub_u32_e32 v4, v44, v1
	v_ashrrev_i32_e32 v1, 31, v44
	v_lshrrev_b32_e32 v1, 22, v1
	v_add_u32_e32 v1, v44, v1
	v_ashrrev_i32_e32 v2, 10, v1
	v_and_b32_e32 v5, 0xfffffc00, v1
	buffer_load_dword v1, off, s[0:3], s33 offset:164 ; 4-byte Folded Reload
	v_sub_u32_e32 v21, v44, v5
	v_cmp_lt_i32_e32 vcc, 15, v21
	s_waitcnt vmcnt(0)
	v_addc_co_u32_e64 v20, s[28:29], v2, v1, vcc
	v_cmp_lt_i32_e64 s[28:29], 15, v4
	s_and_saveexec_b64 s[30:31], s[28:29]
	s_cbranch_execz .LBB2_4050
; %bb.3503:                             ;   in Loop: Header=BB2_1943 Depth=2
	s_trap 2
	ds_read_b64 v[1:2], v0
	buffer_load_dword v8, off, s[0:3], s33 offset:176 ; 4-byte Folded Reload
	buffer_load_dword v9, off, s[0:3], s33 offset:180 ; 4-byte Folded Reload
	;; [unrolled: 1-line block ×3, first 2 shown]
	s_mov_b64 s[34:35], 0
	s_waitcnt vmcnt(0)
	v_add_co_u32_e64 v44, s[28:29], v8, v10
	buffer_load_dword v8, off, s[0:3], s33 offset:216 ; 4-byte Folded Reload
	s_waitcnt vmcnt(0)
	v_addc_co_u32_e64 v45, s[28:29], v9, v8, s[28:29]
	s_waitcnt lgkmcnt(0)
	v_add_co_u32_e64 v46, s[28:29], v1, v10
	v_addc_co_u32_e64 v47, s[28:29], v2, v8, s[28:29]
	buffer_load_dword v1, off, s[0:3], s33 offset:188 ; 4-byte Folded Reload
	buffer_load_dword v2, off, s[0:3], s33 offset:192 ; 4-byte Folded Reload
	s_waitcnt vmcnt(1)
	v_add_co_u32_e64 v55, s[28:29], v1, v10
	s_waitcnt vmcnt(0)
	v_addc_co_u32_e64 v56, s[28:29], v2, v8, s[28:29]
	s_branch .LBB2_3506
.LBB2_3504:                             ;   in Loop: Header=BB2_3506 Depth=3
	s_or_b64 exec, exec, s[42:43]
.LBB2_3505:                             ;   in Loop: Header=BB2_3506 Depth=3
	s_or_b64 exec, exec, s[40:41]
	v_lshl_or_b32 v2, v24, 8, v19
	v_lshlrev_b32_e32 v8, 16, v18
	v_lshlrev_b32_e32 v9, 24, v25
	v_or3_b32 v9, v2, v8, v9
	v_lshl_or_b32 v2, v31, 8, v30
	v_lshlrev_b32_e32 v8, 16, v36
	v_lshlrev_b32_e32 v10, 24, v37
	v_add_co_u32_e64 v44, s[28:29], v44, v34
	v_or3_b32 v8, v2, v8, v10
	v_lshl_or_b32 v2, v40, 8, v52
	v_lshlrev_b32_e32 v10, 16, v41
	v_lshlrev_b32_e32 v11, 24, v42
	v_addc_co_u32_e64 v45, s[28:29], 0, v45, s[28:29]
	v_or3_b32 v10, v2, v10, v11
	v_lshlrev_b32_e32 v1, 24, v1
	v_lshlrev_b32_e32 v2, 16, v12
	v_lshl_or_b32 v11, v17, 8, v16
	v_add_co_u32_e64 v46, s[28:29], v46, v34
	v_or3_b32 v11, v11, v2, v1
	v_addc_co_u32_e64 v47, s[28:29], 0, v47, s[28:29]
	global_store_dwordx4 v[55:56], v[8:11], off glc slc
	v_add_co_u32_e64 v55, s[28:29], v55, v34
	v_addc_co_u32_e64 v56, s[28:29], 0, v56, s[28:29]
	v_sub_u32_e32 v4, v4, v34
	v_cmp_gt_i32_e64 s[28:29], 16, v4
	s_or_b64 s[34:35], s[28:29], s[34:35]
	v_sub_u32_e32 v20, v20, v35
	s_andn2_b64 exec, exec, s[34:35]
	s_cbranch_execz .LBB2_4049
.LBB2_3506:                             ;   Parent Loop BB2_47 Depth=1
                                        ;     Parent Loop BB2_1943 Depth=2
                                        ; =>    This Inner Loop Header: Depth=3
	global_load_dwordx4 v[12:15], v[44:45], off glc slc
	global_load_dwordx4 v[8:11], v[46:47], off glc slc
	v_mov_b32_e32 v1, 0
	s_waitcnt vmcnt(1)
	v_cmp_ne_u16_sdwa s[28:29], v12, v3 src0_sel:BYTE_0 src1_sel:DWORD
	s_and_saveexec_b64 s[40:41], s[28:29]
	s_cbranch_execz .LBB2_3514
; %bb.3507:                             ;   in Loop: Header=BB2_3506 Depth=3
	v_cmp_ne_u16_sdwa s[28:29], sext(v12), s70 src0_sel:BYTE_0 src1_sel:DWORD
	v_bfrev_b32_e32 v1, 1
	s_and_saveexec_b64 s[42:43], s[28:29]
	s_cbranch_execz .LBB2_3513
; %bb.3508:                             ;   in Loop: Header=BB2_3506 Depth=3
	v_and_b32_e32 v1, 0x7c, v12
	v_and_b32_e32 v2, 3, v12
	v_cmp_ne_u32_e64 s[28:29], s71, v1
                                        ; implicit-def: $vgpr1
	s_and_saveexec_b64 s[36:37], s[28:29]
	s_xor_b64 s[36:37], exec, s[36:37]
	s_cbranch_execz .LBB2_3510
; %bb.3509:                             ;   in Loop: Header=BB2_3506 Depth=3
	v_ffbh_u32_e32 v16, v2
	v_min_u32_e32 v18, 32, v16
	v_subrev_u32_e32 v16, 29, v18
	v_lshlrev_b64 v[16:17], v16, v[12:13]
	v_bfe_u32 v1, v12, 2, 5
	v_and_b32_e32 v16, 3, v16
	v_cmp_eq_u32_e64 s[28:29], 0, v1
	v_sub_u32_e32 v17, 30, v18
	v_cndmask_b32_e64 v2, v2, v16, s[28:29]
	v_lshlrev_b32_e32 v16, 24, v12
	v_cndmask_b32_e64 v1, v1, v17, s[28:29]
	v_and_b32_e32 v16, 0x80000000, v16
	v_lshl_add_u32 v1, v1, 23, v16
	v_lshl_or_b32 v1, v2, 21, v1
	v_add_u32_e32 v1, 0x38000000, v1
                                        ; implicit-def: $vgpr2
.LBB2_3510:                             ;   in Loop: Header=BB2_3506 Depth=3
	s_andn2_saveexec_b64 s[36:37], s[36:37]
; %bb.3511:                             ;   in Loop: Header=BB2_3506 Depth=3
	v_cmp_gt_i16_sdwa s[28:29], sext(v12), v26 src0_sel:BYTE_0 src1_sel:DWORD
	v_cndmask_b32_e64 v1, v27, v6, s[28:29]
	v_cmp_eq_u32_e64 s[28:29], 0, v2
	v_cndmask_b32_e64 v1, v7, v1, s[28:29]
; %bb.3512:                             ;   in Loop: Header=BB2_3506 Depth=3
	s_or_b64 exec, exec, s[36:37]
.LBB2_3513:                             ;   in Loop: Header=BB2_3506 Depth=3
	s_or_b64 exec, exec, s[42:43]
.LBB2_3514:                             ;   in Loop: Header=BB2_3506 Depth=3
	s_or_b64 exec, exec, s[40:41]
	s_waitcnt vmcnt(0)
	v_cmp_gt_i16_sdwa s[40:41], v8, s81 src0_sel:BYTE_0 src1_sel:DWORD
	s_mov_b64 s[28:29], 0
	s_and_saveexec_b64 s[42:43], s[40:41]
	s_xor_b64 s[40:41], exec, s[42:43]
	s_cbranch_execz .LBB2_4029
; %bb.3515:                             ;   in Loop: Header=BB2_3506 Depth=3
	v_cmp_eq_u16_sdwa s[36:37], v8, s82 src0_sel:BYTE_0 src1_sel:DWORD
	s_mov_b64 s[28:29], -1
	s_and_saveexec_b64 s[42:43], s[36:37]
; %bb.3516:                             ;   in Loop: Header=BB2_3506 Depth=3
	s_xor_b64 s[28:29], exec, -1
; %bb.3517:                             ;   in Loop: Header=BB2_3506 Depth=3
	s_or_b64 exec, exec, s[42:43]
	s_and_b64 s[28:29], s[28:29], exec
	s_or_saveexec_b64 s[40:41], s[40:41]
	v_bfrev_b32_e32 v2, 1
	s_xor_b64 exec, exec, s[40:41]
	s_cbranch_execnz .LBB2_4030
.LBB2_3518:                             ;   in Loop: Header=BB2_3506 Depth=3
	s_or_b64 exec, exec, s[40:41]
	s_and_saveexec_b64 s[36:37], s[28:29]
	s_cbranch_execz .LBB2_3520
.LBB2_3519:                             ;   in Loop: Header=BB2_3506 Depth=3
	v_and_b32_e32 v2, 3, v8
	v_and_b32_e32 v16, 0x7c, v8
	v_cmp_eq_u32_e64 s[28:29], s71, v16
	v_ffbh_u32_e32 v16, v2
	v_min_u32_e32 v19, 32, v16
	v_subrev_u32_e32 v16, 29, v19
	v_bfe_u32 v18, v8, 2, 5
	v_lshlrev_b64 v[16:17], v16, v[8:9]
	v_cmp_eq_u32_e64 s[40:41], 0, v18
	v_sub_u32_e32 v17, 30, v19
	v_cndmask_b32_e64 v17, v18, v17, s[40:41]
	v_lshlrev_b32_e32 v18, 24, v8
	v_and_b32_e32 v16, 3, v16
	v_and_b32_e32 v18, 0x80000000, v18
	v_cndmask_b32_e64 v16, v2, v16, s[40:41]
	v_lshl_add_u32 v17, v17, 23, v18
	v_cmp_gt_i16_sdwa s[42:43], sext(v8), v26 src0_sel:BYTE_0 src1_sel:DWORD
	v_lshl_or_b32 v16, v16, 21, v17
	v_cmp_eq_u32_e64 s[40:41], 0, v2
	v_cndmask_b32_e64 v2, v27, v6, s[42:43]
	v_add_u32_e32 v16, 0x38000000, v16
	v_cndmask_b32_e64 v2, v7, v2, s[40:41]
	v_cndmask_b32_e64 v2, v16, v2, s[28:29]
.LBB2_3520:                             ;   in Loop: Header=BB2_3506 Depth=3
	s_or_b64 exec, exec, s[36:37]
	v_mul_f32_e32 v1, v1, v2
	v_and_b32_e32 v16, 0x7f800000, v1
	v_mov_b32_e32 v17, v3
	v_cmp_ne_u64_e64 s[28:29], s[62:63], v[16:17]
	v_and_b32_e32 v2, 0x7fffff, v1
                                        ; implicit-def: $vgpr30
	s_and_saveexec_b64 s[40:41], s[28:29]
	s_xor_b64 s[42:43], exec, s[40:41]
	s_cbranch_execz .LBB2_3534
; %bb.3521:                             ;   in Loop: Header=BB2_3506 Depth=3
	v_and_b32_e32 v16, 0x7fffffff, v1
	v_mov_b32_e32 v17, v3
	v_cmp_gt_u64_e64 s[28:29], s[78:79], v[16:17]
	v_and_b32_sdwa v19, v1, s82 dst_sel:DWORD dst_unused:UNUSED_PAD src0_sel:BYTE_3 src1_sel:DWORD
                                        ; implicit-def: $vgpr30
	s_and_saveexec_b64 s[40:41], s[28:29]
	s_xor_b64 s[36:37], exec, s[40:41]
	s_cbranch_execz .LBB2_3531
; %bb.3522:                             ;   in Loop: Header=BB2_3506 Depth=3
	v_mov_b32_e32 v30, 0
	v_cmp_ne_u32_e64 s[28:29], 0, v1
	s_and_saveexec_b64 s[38:39], s[28:29]
	s_cbranch_execz .LBB2_3530
; %bb.3523:                             ;   in Loop: Header=BB2_3506 Depth=3
	v_bfe_u32 v1, v1, 23, 8
	v_cmp_gt_u32_e64 s[40:41], s44, v1
	v_sub_u32_e32 v16, 0x71, v1
	v_cmp_eq_u32_e64 s[28:29], 0, v1
	v_cndmask_b32_e64 v16, 0, v16, s[40:41]
	v_mov_b32_e32 v18, 0x70
	v_cndmask_b32_e64 v24, v16, v18, s[28:29]
	v_or_b32_e32 v17, 0x800000, v2
	v_add_u32_e32 v16, 21, v24
	v_cndmask_b32_e64 v2, v17, v2, s[28:29]
	v_lshlrev_b64 v[16:17], v16, -1
	v_add_u32_e32 v18, 20, v24
	v_lshlrev_b64 v[30:31], v18, 1
	v_bfi_b32 v17, v17, 0, 0
	v_bfi_b32 v16, v16, 0, v2
	v_cmp_eq_u64_e64 s[40:41], v[16:17], v[30:31]
	v_lshrrev_b64 v[16:17], v24, v[2:3]
	v_mov_b32_e32 v18, v17
	v_mov_b32_e32 v17, v16
	s_and_saveexec_b64 s[48:49], s[40:41]
; %bb.3524:                             ;   in Loop: Header=BB2_3506 Depth=3
	v_bfe_u32 v2, v16, 21, 1
	v_add_co_u32_e64 v2, s[40:41], v16, v2
	v_add_co_u32_e64 v17, s[40:41], -1, v2
; %bb.3525:                             ;   in Loop: Header=BB2_3506 Depth=3
	s_or_b64 exec, exec, s[48:49]
	v_add_u32_e32 v1, 0xffffff81, v1
	v_mov_b32_e32 v2, 0xffffff82
	v_cndmask_b32_e64 v1, v1, v2, s[28:29]
	v_lshrrev_b32_e32 v2, 23, v16
	v_add3_u32 v24, v24, v1, v2
	v_add_u32_e32 v18, 14, v24
	v_and_b32_e32 v1, 0x1fffff, v17
	v_add_u32_e32 v2, v1, v16
	v_cmp_ne_u32_e64 s[28:29], 0, v18
                                        ; implicit-def: $vgpr16_vgpr17
                                        ; implicit-def: $vgpr1
	s_and_saveexec_b64 s[40:41], s[28:29]
	s_xor_b64 s[40:41], exec, s[40:41]
; %bb.3526:                             ;   in Loop: Header=BB2_3506 Depth=3
	v_cmp_lt_u64_e64 s[28:29], s[88:89], v[2:3]
	v_add_u32_e32 v1, 15, v24
	v_cndmask_b32_e64 v16, 0, 1, s[28:29]
	v_cndmask_b32_e64 v1, v18, v1, s[28:29]
	v_lshrrev_b64 v[16:17], v16, v[2:3]
; %bb.3527:                             ;   in Loop: Header=BB2_3506 Depth=3
	s_andn2_saveexec_b64 s[28:29], s[40:41]
; %bb.3528:                             ;   in Loop: Header=BB2_3506 Depth=3
	v_mov_b32_e32 v17, v3
	v_bfe_u32 v1, v2, 23, 1
	v_mov_b32_e32 v16, v2
; %bb.3529:                             ;   in Loop: Header=BB2_3506 Depth=3
	s_or_b64 exec, exec, s[28:29]
	v_lshrrev_b64 v[16:17], 21, v[16:17]
	v_cmp_gt_i32_e64 s[28:29], 32, v1
	v_cndmask_b32_e64 v17, 0, v17, s[28:29]
	v_cndmask_b32_e64 v16, 3, v16, s[28:29]
	v_cmp_eq_u32_e64 s[28:29], 0, v1
	v_min_i32_e32 v1, 31, v1
	v_cmp_eq_u64_e64 s[40:41], 0, v[16:17]
	v_lshlrev_b32_e32 v1, 2, v1
	v_and_b32_e32 v1, 0xfc, v1
	v_and_or_b32 v1, v16, 3, v1
	s_and_b64 s[28:29], s[28:29], s[40:41]
	v_cndmask_b32_e64 v1, v1, 0, s[28:29]
	v_or_b32_e32 v30, v1, v19
.LBB2_3530:                             ;   in Loop: Header=BB2_3506 Depth=3
	s_or_b64 exec, exec, s[38:39]
                                        ; implicit-def: $vgpr19
.LBB2_3531:                             ;   in Loop: Header=BB2_3506 Depth=3
	s_andn2_saveexec_b64 s[28:29], s[36:37]
; %bb.3532:                             ;   in Loop: Header=BB2_3506 Depth=3
	v_or_b32_e32 v30, 0x7b, v19
; %bb.3533:                             ;   in Loop: Header=BB2_3506 Depth=3
	s_or_b64 exec, exec, s[28:29]
                                        ; implicit-def: $vgpr1
.LBB2_3534:                             ;   in Loop: Header=BB2_3506 Depth=3
	s_andn2_saveexec_b64 s[40:41], s[42:43]
	s_cbranch_execz .LBB2_3540
; %bb.3535:                             ;   in Loop: Header=BB2_3506 Depth=3
	v_cmp_ne_u64_e64 s[28:29], 0, v[2:3]
                                        ; implicit-def: $vgpr30
	s_and_saveexec_b64 s[42:43], s[28:29]
	s_xor_b64 s[28:29], exec, s[42:43]
; %bb.3536:                             ;   in Loop: Header=BB2_3506 Depth=3
	v_or_b32_sdwa v30, v1, s81 dst_sel:DWORD dst_unused:UNUSED_PAD src0_sel:BYTE_3 src1_sel:DWORD
                                        ; implicit-def: $vgpr1
; %bb.3537:                             ;   in Loop: Header=BB2_3506 Depth=3
	s_andn2_saveexec_b64 s[42:43], s[28:29]
; %bb.3538:                             ;   in Loop: Header=BB2_3506 Depth=3
	v_cmp_lt_i32_e64 s[28:29], -1, v1
	v_cndmask_b32_e64 v30, v0, v49, s[28:29]
; %bb.3539:                             ;   in Loop: Header=BB2_3506 Depth=3
	s_or_b64 exec, exec, s[42:43]
.LBB2_3540:                             ;   in Loop: Header=BB2_3506 Depth=3
	s_or_b64 exec, exec, s[40:41]
	v_lshrrev_b16_e32 v2, 8, v12
	v_cmp_ne_u16_e64 s[28:29], 0, v2
	v_mov_b32_e32 v1, 0
	s_and_saveexec_b64 s[40:41], s[28:29]
	s_cbranch_execz .LBB2_3548
; %bb.3541:                             ;   in Loop: Header=BB2_3506 Depth=3
	v_cmp_ne_u16_e64 s[28:29], s82, v2
	v_bfrev_b32_e32 v1, 1
	s_and_saveexec_b64 s[42:43], s[28:29]
	s_cbranch_execz .LBB2_3547
; %bb.3542:                             ;   in Loop: Header=BB2_3506 Depth=3
	v_and_b32_e32 v1, 0x7c, v2
	v_and_b32_e32 v16, 3, v2
	v_cmp_ne_u32_e64 s[28:29], s71, v1
                                        ; implicit-def: $vgpr1
	s_and_saveexec_b64 s[36:37], s[28:29]
	s_xor_b64 s[36:37], exec, s[36:37]
	s_cbranch_execz .LBB2_3544
; %bb.3543:                             ;   in Loop: Header=BB2_3506 Depth=3
	v_ffbh_u32_e32 v1, v16
	v_min_u32_e32 v18, 32, v1
	v_subrev_u32_e32 v1, 29, v18
	v_bfe_u32 v17, v2, 2, 5
	v_lshlrev_b64 v[1:2], v1, v[2:3]
	v_cmp_eq_u32_e64 s[28:29], 0, v17
	v_and_b32_e32 v1, 3, v1
	v_sub_u32_e32 v2, 30, v18
	v_cndmask_b32_e64 v1, v16, v1, s[28:29]
	v_lshlrev_b32_e32 v16, 16, v12
	v_cndmask_b32_e64 v2, v17, v2, s[28:29]
	v_and_b32_e32 v16, 0x80000000, v16
	v_lshl_add_u32 v2, v2, 23, v16
	v_lshl_or_b32 v1, v1, 21, v2
	v_add_u32_e32 v1, 0x38000000, v1
                                        ; implicit-def: $vgpr16
.LBB2_3544:                             ;   in Loop: Header=BB2_3506 Depth=3
	s_andn2_saveexec_b64 s[36:37], s[36:37]
; %bb.3545:                             ;   in Loop: Header=BB2_3506 Depth=3
	v_cmp_lt_i16_e64 s[28:29], -1, v12
	v_cndmask_b32_e64 v1, v27, v6, s[28:29]
	v_cmp_eq_u32_e64 s[28:29], 0, v16
	v_cndmask_b32_e64 v1, v7, v1, s[28:29]
; %bb.3546:                             ;   in Loop: Header=BB2_3506 Depth=3
	s_or_b64 exec, exec, s[36:37]
.LBB2_3547:                             ;   in Loop: Header=BB2_3506 Depth=3
	s_or_b64 exec, exec, s[42:43]
.LBB2_3548:                             ;   in Loop: Header=BB2_3506 Depth=3
	s_or_b64 exec, exec, s[40:41]
	v_lshrrev_b16_e32 v2, 8, v8
	v_cmp_lt_i16_e64 s[28:29], s81, v2
	s_mov_b64 s[40:41], 0
	s_and_saveexec_b64 s[42:43], s[28:29]
	s_xor_b64 s[42:43], exec, s[42:43]
	s_cbranch_execz .LBB2_4031
; %bb.3549:                             ;   in Loop: Header=BB2_3506 Depth=3
	v_cmp_eq_u16_e64 s[28:29], s82, v2
	s_mov_b64 s[40:41], -1
	s_and_saveexec_b64 s[36:37], s[28:29]
; %bb.3550:                             ;   in Loop: Header=BB2_3506 Depth=3
	s_xor_b64 s[40:41], exec, -1
; %bb.3551:                             ;   in Loop: Header=BB2_3506 Depth=3
	s_or_b64 exec, exec, s[36:37]
	s_and_b64 s[40:41], s[40:41], exec
	s_or_saveexec_b64 s[42:43], s[42:43]
	v_bfrev_b32_e32 v16, 1
	s_xor_b64 exec, exec, s[42:43]
	s_cbranch_execnz .LBB2_4032
.LBB2_3552:                             ;   in Loop: Header=BB2_3506 Depth=3
	s_or_b64 exec, exec, s[42:43]
	s_and_saveexec_b64 s[36:37], s[40:41]
	s_cbranch_execz .LBB2_3554
.LBB2_3553:                             ;   in Loop: Header=BB2_3506 Depth=3
	v_and_b32_e32 v18, 3, v2
	v_and_b32_e32 v16, 0x7c, v2
	v_cmp_eq_u32_e64 s[28:29], s71, v16
	v_ffbh_u32_e32 v16, v18
	v_min_u32_e32 v24, 32, v16
	v_subrev_u32_e32 v16, 29, v24
	v_bfe_u32 v19, v2, 2, 5
	v_lshlrev_b64 v[16:17], v16, v[2:3]
	v_cmp_eq_u32_e64 s[40:41], 0, v19
	v_sub_u32_e32 v17, 30, v24
	v_lshlrev_b32_e32 v2, 24, v2
	v_and_b32_e32 v16, 3, v16
	v_cndmask_b32_e64 v17, v19, v17, s[40:41]
	v_and_b32_e32 v2, 0x80000000, v2
	v_cndmask_b32_e64 v16, v18, v16, s[40:41]
	v_lshl_add_u32 v2, v17, 23, v2
	v_cmp_lt_i16_e64 s[42:43], -1, v8
	v_lshl_or_b32 v2, v16, 21, v2
	v_cmp_eq_u32_e64 s[40:41], 0, v18
	v_cndmask_b32_e64 v16, v27, v6, s[42:43]
	v_add_u32_e32 v2, 0x38000000, v2
	v_cndmask_b32_e64 v16, v7, v16, s[40:41]
	v_cndmask_b32_e64 v16, v2, v16, s[28:29]
.LBB2_3554:                             ;   in Loop: Header=BB2_3506 Depth=3
	s_or_b64 exec, exec, s[36:37]
	v_mul_f32_e32 v1, v1, v16
	v_and_b32_e32 v16, 0x7f800000, v1
	v_mov_b32_e32 v17, v3
	v_cmp_ne_u64_e64 s[28:29], s[62:63], v[16:17]
	v_and_b32_e32 v2, 0x7fffff, v1
                                        ; implicit-def: $vgpr31
	s_and_saveexec_b64 s[40:41], s[28:29]
	s_xor_b64 s[42:43], exec, s[40:41]
	s_cbranch_execz .LBB2_3568
; %bb.3555:                             ;   in Loop: Header=BB2_3506 Depth=3
	v_and_b32_e32 v16, 0x7fffffff, v1
	v_mov_b32_e32 v17, v3
	v_cmp_gt_u64_e64 s[28:29], s[78:79], v[16:17]
	v_and_b32_sdwa v19, v1, s82 dst_sel:DWORD dst_unused:UNUSED_PAD src0_sel:BYTE_3 src1_sel:DWORD
                                        ; implicit-def: $vgpr31
	s_and_saveexec_b64 s[40:41], s[28:29]
	s_xor_b64 s[36:37], exec, s[40:41]
	s_cbranch_execz .LBB2_3565
; %bb.3556:                             ;   in Loop: Header=BB2_3506 Depth=3
	v_mov_b32_e32 v31, 0
	v_cmp_ne_u32_e64 s[28:29], 0, v1
	s_and_saveexec_b64 s[38:39], s[28:29]
	s_cbranch_execz .LBB2_3564
; %bb.3557:                             ;   in Loop: Header=BB2_3506 Depth=3
	v_bfe_u32 v1, v1, 23, 8
	v_cmp_gt_u32_e64 s[40:41], s44, v1
	v_sub_u32_e32 v16, 0x71, v1
	v_cmp_eq_u32_e64 s[28:29], 0, v1
	v_cndmask_b32_e64 v16, 0, v16, s[40:41]
	v_mov_b32_e32 v18, 0x70
	v_cndmask_b32_e64 v24, v16, v18, s[28:29]
	v_or_b32_e32 v17, 0x800000, v2
	v_add_u32_e32 v16, 21, v24
	v_cndmask_b32_e64 v2, v17, v2, s[28:29]
	v_lshlrev_b64 v[16:17], v16, -1
	v_add_u32_e32 v18, 20, v24
	v_lshlrev_b64 v[36:37], v18, 1
	v_bfi_b32 v17, v17, 0, 0
	v_bfi_b32 v16, v16, 0, v2
	v_cmp_eq_u64_e64 s[40:41], v[16:17], v[36:37]
	v_lshrrev_b64 v[16:17], v24, v[2:3]
	v_mov_b32_e32 v18, v17
	v_mov_b32_e32 v17, v16
	s_and_saveexec_b64 s[48:49], s[40:41]
; %bb.3558:                             ;   in Loop: Header=BB2_3506 Depth=3
	v_bfe_u32 v2, v16, 21, 1
	v_add_co_u32_e64 v2, s[40:41], v16, v2
	v_add_co_u32_e64 v17, s[40:41], -1, v2
; %bb.3559:                             ;   in Loop: Header=BB2_3506 Depth=3
	s_or_b64 exec, exec, s[48:49]
	v_add_u32_e32 v1, 0xffffff81, v1
	v_mov_b32_e32 v2, 0xffffff82
	v_cndmask_b32_e64 v1, v1, v2, s[28:29]
	v_lshrrev_b32_e32 v2, 23, v16
	v_add3_u32 v24, v24, v1, v2
	v_add_u32_e32 v18, 14, v24
	v_and_b32_e32 v1, 0x1fffff, v17
	v_add_u32_e32 v2, v1, v16
	v_cmp_ne_u32_e64 s[28:29], 0, v18
                                        ; implicit-def: $vgpr16_vgpr17
                                        ; implicit-def: $vgpr1
	s_and_saveexec_b64 s[40:41], s[28:29]
	s_xor_b64 s[40:41], exec, s[40:41]
; %bb.3560:                             ;   in Loop: Header=BB2_3506 Depth=3
	v_cmp_lt_u64_e64 s[28:29], s[88:89], v[2:3]
	v_add_u32_e32 v1, 15, v24
	v_cndmask_b32_e64 v16, 0, 1, s[28:29]
	v_cndmask_b32_e64 v1, v18, v1, s[28:29]
	v_lshrrev_b64 v[16:17], v16, v[2:3]
; %bb.3561:                             ;   in Loop: Header=BB2_3506 Depth=3
	s_andn2_saveexec_b64 s[28:29], s[40:41]
; %bb.3562:                             ;   in Loop: Header=BB2_3506 Depth=3
	v_mov_b32_e32 v17, v3
	v_bfe_u32 v1, v2, 23, 1
	v_mov_b32_e32 v16, v2
; %bb.3563:                             ;   in Loop: Header=BB2_3506 Depth=3
	s_or_b64 exec, exec, s[28:29]
	v_lshrrev_b64 v[16:17], 21, v[16:17]
	v_cmp_gt_i32_e64 s[28:29], 32, v1
	v_cndmask_b32_e64 v17, 0, v17, s[28:29]
	v_cndmask_b32_e64 v16, 3, v16, s[28:29]
	v_cmp_eq_u32_e64 s[28:29], 0, v1
	v_min_i32_e32 v1, 31, v1
	v_cmp_eq_u64_e64 s[40:41], 0, v[16:17]
	v_lshlrev_b32_e32 v1, 2, v1
	v_and_b32_e32 v1, 0xfc, v1
	v_and_or_b32 v1, v16, 3, v1
	s_and_b64 s[28:29], s[28:29], s[40:41]
	v_cndmask_b32_e64 v1, v1, 0, s[28:29]
	v_or_b32_e32 v31, v1, v19
.LBB2_3564:                             ;   in Loop: Header=BB2_3506 Depth=3
	s_or_b64 exec, exec, s[38:39]
                                        ; implicit-def: $vgpr19
.LBB2_3565:                             ;   in Loop: Header=BB2_3506 Depth=3
	s_andn2_saveexec_b64 s[28:29], s[36:37]
; %bb.3566:                             ;   in Loop: Header=BB2_3506 Depth=3
	v_or_b32_e32 v31, 0x7b, v19
; %bb.3567:                             ;   in Loop: Header=BB2_3506 Depth=3
	s_or_b64 exec, exec, s[28:29]
                                        ; implicit-def: $vgpr1
.LBB2_3568:                             ;   in Loop: Header=BB2_3506 Depth=3
	s_andn2_saveexec_b64 s[40:41], s[42:43]
	s_cbranch_execz .LBB2_3574
; %bb.3569:                             ;   in Loop: Header=BB2_3506 Depth=3
	v_cmp_ne_u64_e64 s[28:29], 0, v[2:3]
                                        ; implicit-def: $vgpr31
	s_and_saveexec_b64 s[42:43], s[28:29]
	s_xor_b64 s[28:29], exec, s[42:43]
; %bb.3570:                             ;   in Loop: Header=BB2_3506 Depth=3
	v_or_b32_sdwa v31, v1, s81 dst_sel:DWORD dst_unused:UNUSED_PAD src0_sel:BYTE_3 src1_sel:DWORD
                                        ; implicit-def: $vgpr1
; %bb.3571:                             ;   in Loop: Header=BB2_3506 Depth=3
	s_andn2_saveexec_b64 s[42:43], s[28:29]
; %bb.3572:                             ;   in Loop: Header=BB2_3506 Depth=3
	v_cmp_lt_i32_e64 s[28:29], -1, v1
	v_cndmask_b32_e64 v31, v0, v49, s[28:29]
; %bb.3573:                             ;   in Loop: Header=BB2_3506 Depth=3
	s_or_b64 exec, exec, s[42:43]
.LBB2_3574:                             ;   in Loop: Header=BB2_3506 Depth=3
	s_or_b64 exec, exec, s[40:41]
	v_lshrrev_b32_e32 v2, 16, v12
	v_cmp_ne_u16_sdwa s[28:29], v2, v3 src0_sel:BYTE_0 src1_sel:DWORD
	v_mov_b32_e32 v1, 0
	s_and_saveexec_b64 s[40:41], s[28:29]
	s_cbranch_execz .LBB2_3582
; %bb.3575:                             ;   in Loop: Header=BB2_3506 Depth=3
	v_cmp_ne_u16_sdwa s[28:29], v2, s82 src0_sel:BYTE_0 src1_sel:DWORD
	v_bfrev_b32_e32 v1, 1
	s_and_saveexec_b64 s[42:43], s[28:29]
	s_cbranch_execz .LBB2_3581
; %bb.3576:                             ;   in Loop: Header=BB2_3506 Depth=3
	v_and_b32_e32 v1, 0x7c0000, v12
	v_bfe_u32 v16, v12, 16, 2
	v_cmp_ne_u32_e64 s[28:29], s45, v1
                                        ; implicit-def: $vgpr1
	s_and_saveexec_b64 s[36:37], s[28:29]
	s_xor_b64 s[36:37], exec, s[36:37]
	s_cbranch_execz .LBB2_3578
; %bb.3577:                             ;   in Loop: Header=BB2_3506 Depth=3
	v_ffbh_u32_e32 v1, v16
	v_min_u32_e32 v18, 32, v1
	v_subrev_u32_e32 v1, 29, v18
	v_lshlrev_b64 v[1:2], v1, v[2:3]
	v_bfe_u32 v17, v12, 18, 5
	v_and_b32_e32 v1, 3, v1
	v_cmp_eq_u32_e64 s[28:29], 0, v17
	v_sub_u32_e32 v2, 30, v18
	v_cndmask_b32_e64 v1, v16, v1, s[28:29]
	v_lshlrev_b32_e32 v16, 8, v12
	v_cndmask_b32_e64 v2, v17, v2, s[28:29]
	v_and_b32_e32 v16, 0x80000000, v16
	v_lshl_add_u32 v2, v2, 23, v16
	v_lshl_or_b32 v1, v1, 21, v2
	v_add_u32_e32 v1, 0x38000000, v1
                                        ; implicit-def: $vgpr16
                                        ; implicit-def: $vgpr2
.LBB2_3578:                             ;   in Loop: Header=BB2_3506 Depth=3
	s_andn2_saveexec_b64 s[36:37], s[36:37]
; %bb.3579:                             ;   in Loop: Header=BB2_3506 Depth=3
	v_cmp_gt_i16_sdwa s[28:29], sext(v2), v26 src0_sel:BYTE_0 src1_sel:DWORD
	v_cndmask_b32_e64 v1, v27, v6, s[28:29]
	v_cmp_eq_u32_e64 s[28:29], 0, v16
	v_cndmask_b32_e64 v1, v7, v1, s[28:29]
; %bb.3580:                             ;   in Loop: Header=BB2_3506 Depth=3
	s_or_b64 exec, exec, s[36:37]
.LBB2_3581:                             ;   in Loop: Header=BB2_3506 Depth=3
	s_or_b64 exec, exec, s[42:43]
.LBB2_3582:                             ;   in Loop: Header=BB2_3506 Depth=3
	s_or_b64 exec, exec, s[40:41]
	v_lshrrev_b32_e32 v2, 16, v8
	v_cmp_gt_i16_sdwa s[40:41], v2, s81 src0_sel:BYTE_0 src1_sel:DWORD
	s_mov_b64 s[28:29], 0
	s_and_saveexec_b64 s[42:43], s[40:41]
	s_xor_b64 s[40:41], exec, s[42:43]
	s_cbranch_execz .LBB2_4033
; %bb.3583:                             ;   in Loop: Header=BB2_3506 Depth=3
	v_cmp_eq_u16_sdwa s[36:37], v2, s82 src0_sel:BYTE_0 src1_sel:DWORD
	s_mov_b64 s[28:29], -1
	s_and_saveexec_b64 s[42:43], s[36:37]
; %bb.3584:                             ;   in Loop: Header=BB2_3506 Depth=3
	s_xor_b64 s[28:29], exec, -1
; %bb.3585:                             ;   in Loop: Header=BB2_3506 Depth=3
	s_or_b64 exec, exec, s[42:43]
	s_and_b64 s[28:29], s[28:29], exec
	s_or_saveexec_b64 s[40:41], s[40:41]
	v_bfrev_b32_e32 v16, 1
	s_xor_b64 exec, exec, s[40:41]
	s_cbranch_execnz .LBB2_4034
.LBB2_3586:                             ;   in Loop: Header=BB2_3506 Depth=3
	s_or_b64 exec, exec, s[40:41]
	s_and_saveexec_b64 s[36:37], s[28:29]
	s_cbranch_execz .LBB2_3588
.LBB2_3587:                             ;   in Loop: Header=BB2_3506 Depth=3
	v_and_b32_e32 v18, 3, v2
	v_and_b32_e32 v16, 0x7c0000, v8
	v_cmp_eq_u32_e64 s[28:29], s45, v16
	v_ffbh_u32_e32 v16, v18
	v_min_u32_e32 v24, 32, v16
	v_subrev_u32_e32 v16, 29, v24
	v_bfe_u32 v19, v8, 18, 5
	v_lshlrev_b64 v[16:17], v16, v[2:3]
	v_cmp_eq_u32_e64 s[40:41], 0, v19
	v_sub_u32_e32 v17, 30, v24
	v_cndmask_b32_e64 v17, v19, v17, s[40:41]
	v_lshlrev_b32_e32 v19, 24, v2
	v_and_b32_e32 v16, 3, v16
	v_and_b32_e32 v19, 0x80000000, v19
	v_cndmask_b32_e64 v16, v18, v16, s[40:41]
	v_lshl_add_u32 v17, v17, 23, v19
	v_cmp_gt_i16_sdwa s[42:43], sext(v2), v26 src0_sel:BYTE_0 src1_sel:DWORD
	v_lshl_or_b32 v16, v16, 21, v17
	v_cmp_eq_u32_e64 s[40:41], 0, v18
	v_cndmask_b32_e64 v2, v27, v6, s[42:43]
	v_add_u32_e32 v16, 0x38000000, v16
	v_cndmask_b32_e64 v2, v7, v2, s[40:41]
	v_cndmask_b32_e64 v16, v16, v2, s[28:29]
.LBB2_3588:                             ;   in Loop: Header=BB2_3506 Depth=3
	s_or_b64 exec, exec, s[36:37]
	v_mul_f32_e32 v1, v1, v16
	v_and_b32_e32 v16, 0x7f800000, v1
	v_mov_b32_e32 v17, v3
	v_cmp_ne_u64_e64 s[28:29], s[62:63], v[16:17]
	v_and_b32_e32 v2, 0x7fffff, v1
                                        ; implicit-def: $vgpr36
	s_and_saveexec_b64 s[40:41], s[28:29]
	s_xor_b64 s[42:43], exec, s[40:41]
	s_cbranch_execz .LBB2_3602
; %bb.3589:                             ;   in Loop: Header=BB2_3506 Depth=3
	v_and_b32_e32 v16, 0x7fffffff, v1
	v_mov_b32_e32 v17, v3
	v_cmp_gt_u64_e64 s[28:29], s[78:79], v[16:17]
	v_and_b32_sdwa v19, v1, s82 dst_sel:DWORD dst_unused:UNUSED_PAD src0_sel:BYTE_3 src1_sel:DWORD
                                        ; implicit-def: $vgpr36
	s_and_saveexec_b64 s[40:41], s[28:29]
	s_xor_b64 s[36:37], exec, s[40:41]
	s_cbranch_execz .LBB2_3599
; %bb.3590:                             ;   in Loop: Header=BB2_3506 Depth=3
	v_mov_b32_e32 v36, 0
	v_cmp_ne_u32_e64 s[28:29], 0, v1
	s_and_saveexec_b64 s[38:39], s[28:29]
	s_cbranch_execz .LBB2_3598
; %bb.3591:                             ;   in Loop: Header=BB2_3506 Depth=3
	v_bfe_u32 v1, v1, 23, 8
	v_cmp_gt_u32_e64 s[40:41], s44, v1
	v_sub_u32_e32 v16, 0x71, v1
	v_cmp_eq_u32_e64 s[28:29], 0, v1
	v_cndmask_b32_e64 v16, 0, v16, s[40:41]
	v_mov_b32_e32 v18, 0x70
	v_cndmask_b32_e64 v24, v16, v18, s[28:29]
	v_or_b32_e32 v17, 0x800000, v2
	v_add_u32_e32 v16, 21, v24
	v_cndmask_b32_e64 v2, v17, v2, s[28:29]
	v_lshlrev_b64 v[16:17], v16, -1
	v_add_u32_e32 v18, 20, v24
	v_lshlrev_b64 v[36:37], v18, 1
	v_bfi_b32 v17, v17, 0, 0
	v_bfi_b32 v16, v16, 0, v2
	v_cmp_eq_u64_e64 s[40:41], v[16:17], v[36:37]
	v_lshrrev_b64 v[16:17], v24, v[2:3]
	v_mov_b32_e32 v18, v17
	v_mov_b32_e32 v17, v16
	s_and_saveexec_b64 s[48:49], s[40:41]
; %bb.3592:                             ;   in Loop: Header=BB2_3506 Depth=3
	v_bfe_u32 v2, v16, 21, 1
	v_add_co_u32_e64 v2, s[40:41], v16, v2
	v_add_co_u32_e64 v17, s[40:41], -1, v2
; %bb.3593:                             ;   in Loop: Header=BB2_3506 Depth=3
	s_or_b64 exec, exec, s[48:49]
	v_add_u32_e32 v1, 0xffffff81, v1
	v_mov_b32_e32 v2, 0xffffff82
	v_cndmask_b32_e64 v1, v1, v2, s[28:29]
	v_lshrrev_b32_e32 v2, 23, v16
	v_add3_u32 v24, v24, v1, v2
	v_add_u32_e32 v18, 14, v24
	v_and_b32_e32 v1, 0x1fffff, v17
	v_add_u32_e32 v2, v1, v16
	v_cmp_ne_u32_e64 s[28:29], 0, v18
                                        ; implicit-def: $vgpr16_vgpr17
                                        ; implicit-def: $vgpr1
	s_and_saveexec_b64 s[40:41], s[28:29]
	s_xor_b64 s[40:41], exec, s[40:41]
; %bb.3594:                             ;   in Loop: Header=BB2_3506 Depth=3
	v_cmp_lt_u64_e64 s[28:29], s[88:89], v[2:3]
	v_add_u32_e32 v1, 15, v24
	v_cndmask_b32_e64 v16, 0, 1, s[28:29]
	v_cndmask_b32_e64 v1, v18, v1, s[28:29]
	v_lshrrev_b64 v[16:17], v16, v[2:3]
; %bb.3595:                             ;   in Loop: Header=BB2_3506 Depth=3
	s_andn2_saveexec_b64 s[28:29], s[40:41]
; %bb.3596:                             ;   in Loop: Header=BB2_3506 Depth=3
	v_mov_b32_e32 v17, v3
	v_bfe_u32 v1, v2, 23, 1
	v_mov_b32_e32 v16, v2
; %bb.3597:                             ;   in Loop: Header=BB2_3506 Depth=3
	s_or_b64 exec, exec, s[28:29]
	v_lshrrev_b64 v[16:17], 21, v[16:17]
	v_cmp_gt_i32_e64 s[28:29], 32, v1
	v_cndmask_b32_e64 v17, 0, v17, s[28:29]
	v_cndmask_b32_e64 v16, 3, v16, s[28:29]
	v_cmp_eq_u32_e64 s[28:29], 0, v1
	v_min_i32_e32 v1, 31, v1
	v_cmp_eq_u64_e64 s[40:41], 0, v[16:17]
	v_lshlrev_b32_e32 v1, 2, v1
	v_and_b32_e32 v1, 0xfc, v1
	v_and_or_b32 v1, v16, 3, v1
	s_and_b64 s[28:29], s[28:29], s[40:41]
	v_cndmask_b32_e64 v1, v1, 0, s[28:29]
	v_or_b32_e32 v36, v1, v19
.LBB2_3598:                             ;   in Loop: Header=BB2_3506 Depth=3
	s_or_b64 exec, exec, s[38:39]
                                        ; implicit-def: $vgpr19
.LBB2_3599:                             ;   in Loop: Header=BB2_3506 Depth=3
	s_andn2_saveexec_b64 s[28:29], s[36:37]
; %bb.3600:                             ;   in Loop: Header=BB2_3506 Depth=3
	v_or_b32_e32 v36, 0x7b, v19
; %bb.3601:                             ;   in Loop: Header=BB2_3506 Depth=3
	s_or_b64 exec, exec, s[28:29]
                                        ; implicit-def: $vgpr1
.LBB2_3602:                             ;   in Loop: Header=BB2_3506 Depth=3
	s_andn2_saveexec_b64 s[40:41], s[42:43]
	s_cbranch_execz .LBB2_3608
; %bb.3603:                             ;   in Loop: Header=BB2_3506 Depth=3
	v_cmp_ne_u64_e64 s[28:29], 0, v[2:3]
                                        ; implicit-def: $vgpr36
	s_and_saveexec_b64 s[42:43], s[28:29]
	s_xor_b64 s[28:29], exec, s[42:43]
; %bb.3604:                             ;   in Loop: Header=BB2_3506 Depth=3
	v_or_b32_sdwa v36, v1, s81 dst_sel:DWORD dst_unused:UNUSED_PAD src0_sel:BYTE_3 src1_sel:DWORD
                                        ; implicit-def: $vgpr1
; %bb.3605:                             ;   in Loop: Header=BB2_3506 Depth=3
	s_andn2_saveexec_b64 s[42:43], s[28:29]
; %bb.3606:                             ;   in Loop: Header=BB2_3506 Depth=3
	v_cmp_lt_i32_e64 s[28:29], -1, v1
	v_cndmask_b32_e64 v36, v0, v49, s[28:29]
; %bb.3607:                             ;   in Loop: Header=BB2_3506 Depth=3
	s_or_b64 exec, exec, s[42:43]
.LBB2_3608:                             ;   in Loop: Header=BB2_3506 Depth=3
	s_or_b64 exec, exec, s[40:41]
	v_cmp_lt_u32_e64 s[28:29], s57, v12
	v_mov_b32_e32 v1, 0
	s_and_saveexec_b64 s[40:41], s[28:29]
	s_cbranch_execz .LBB2_3616
; %bb.3609:                             ;   in Loop: Header=BB2_3506 Depth=3
	v_lshrrev_b32_e32 v2, 24, v12
	v_cmp_ne_u32_e64 s[28:29], s82, v2
	v_bfrev_b32_e32 v1, 1
	s_and_saveexec_b64 s[42:43], s[28:29]
	s_cbranch_execz .LBB2_3615
; %bb.3610:                             ;   in Loop: Header=BB2_3506 Depth=3
	v_and_b32_e32 v1, 0x7c000000, v12
	v_bfe_u32 v16, v12, 24, 2
	v_cmp_ne_u32_e64 s[28:29], s83, v1
                                        ; implicit-def: $vgpr1
	s_and_saveexec_b64 s[36:37], s[28:29]
	s_xor_b64 s[36:37], exec, s[36:37]
	s_cbranch_execz .LBB2_3612
; %bb.3611:                             ;   in Loop: Header=BB2_3506 Depth=3
	v_ffbh_u32_e32 v1, v16
	v_min_u32_e32 v18, 32, v1
	v_subrev_u32_e32 v1, 29, v18
	v_lshlrev_b64 v[1:2], v1, v[2:3]
	v_bfe_u32 v17, v12, 26, 5
	v_sub_u32_e32 v2, 30, v18
	v_and_b32_e32 v1, 3, v1
	v_cmp_eq_u32_e64 s[28:29], 0, v17
	v_cndmask_b32_e64 v2, v17, v2, s[28:29]
	v_cndmask_b32_e64 v1, v16, v1, s[28:29]
	v_and_b32_e32 v16, 0x80000000, v12
	v_lshl_add_u32 v2, v2, 23, v16
	v_lshl_or_b32 v1, v1, 21, v2
	v_add_u32_e32 v1, 0x38000000, v1
                                        ; implicit-def: $vgpr16
.LBB2_3612:                             ;   in Loop: Header=BB2_3506 Depth=3
	s_andn2_saveexec_b64 s[36:37], s[36:37]
; %bb.3613:                             ;   in Loop: Header=BB2_3506 Depth=3
	v_cmp_lt_i32_e64 s[28:29], -1, v12
	v_cndmask_b32_e64 v1, v27, v6, s[28:29]
	v_cmp_eq_u32_e64 s[28:29], 0, v16
	v_cndmask_b32_e64 v1, v7, v1, s[28:29]
; %bb.3614:                             ;   in Loop: Header=BB2_3506 Depth=3
	s_or_b64 exec, exec, s[36:37]
.LBB2_3615:                             ;   in Loop: Header=BB2_3506 Depth=3
	s_or_b64 exec, exec, s[42:43]
.LBB2_3616:                             ;   in Loop: Header=BB2_3506 Depth=3
	s_or_b64 exec, exec, s[40:41]
	v_bfe_u32 v18, v8, 24, 2
	v_and_b32_e32 v16, 0x7c000000, v8
	v_cmp_eq_u32_e64 s[28:29], s83, v16
	v_ffbh_u32_e32 v16, v18
	v_min_u32_e32 v24, 32, v16
	v_lshrrev_b32_e32 v2, 24, v8
	v_subrev_u32_e32 v16, 29, v24
	v_bfe_u32 v19, v8, 26, 5
	v_lshlrev_b64 v[16:17], v16, v[2:3]
	v_cmp_eq_u32_e64 s[40:41], 0, v19
	v_sub_u32_e32 v17, 30, v24
	v_and_b32_e32 v16, 3, v16
	v_cndmask_b32_e64 v17, v19, v17, s[40:41]
	v_and_b32_e32 v19, 0x80000000, v8
	v_cndmask_b32_e64 v16, v18, v16, s[40:41]
	v_lshl_add_u32 v17, v17, 23, v19
	v_cmp_lt_i32_e64 s[42:43], -1, v8
	v_lshl_or_b32 v16, v16, 21, v17
	v_cmp_eq_u32_e64 s[40:41], 0, v18
	v_cndmask_b32_e64 v17, v27, v6, s[42:43]
	v_add_u32_e32 v16, 0x38000000, v16
	v_cndmask_b32_e64 v17, v7, v17, s[40:41]
	v_cndmask_b32_e64 v16, v16, v17, s[28:29]
	v_cmp_ne_u32_e64 s[28:29], s82, v2
	v_cndmask_b32_e64 v2, v53, v16, s[28:29]
	v_cmp_lt_u32_e64 s[28:29], s57, v8
	v_cndmask_b32_e64 v2, 0, v2, s[28:29]
	v_mul_f32_e32 v1, v2, v1
	v_and_b32_e32 v16, 0x7f800000, v1
	v_mov_b32_e32 v17, v3
	v_cmp_ne_u64_e64 s[28:29], s[62:63], v[16:17]
	v_and_b32_e32 v2, 0x7fffff, v1
                                        ; implicit-def: $vgpr37
	s_and_saveexec_b64 s[40:41], s[28:29]
	s_xor_b64 s[42:43], exec, s[40:41]
	s_cbranch_execz .LBB2_3630
; %bb.3617:                             ;   in Loop: Header=BB2_3506 Depth=3
	v_and_b32_e32 v16, 0x7fffffff, v1
	v_mov_b32_e32 v17, v3
	v_cmp_gt_u64_e64 s[28:29], s[78:79], v[16:17]
	v_and_b32_sdwa v19, v1, s82 dst_sel:DWORD dst_unused:UNUSED_PAD src0_sel:BYTE_3 src1_sel:DWORD
                                        ; implicit-def: $vgpr37
	s_and_saveexec_b64 s[40:41], s[28:29]
	s_xor_b64 s[36:37], exec, s[40:41]
	s_cbranch_execz .LBB2_3627
; %bb.3618:                             ;   in Loop: Header=BB2_3506 Depth=3
	v_mov_b32_e32 v37, 0
	v_cmp_ne_u32_e64 s[28:29], 0, v1
	s_and_saveexec_b64 s[38:39], s[28:29]
	s_cbranch_execz .LBB2_3626
; %bb.3619:                             ;   in Loop: Header=BB2_3506 Depth=3
	v_bfe_u32 v1, v1, 23, 8
	v_cmp_gt_u32_e64 s[40:41], s44, v1
	v_sub_u32_e32 v16, 0x71, v1
	v_cmp_eq_u32_e64 s[28:29], 0, v1
	v_cndmask_b32_e64 v16, 0, v16, s[40:41]
	v_mov_b32_e32 v18, 0x70
	v_cndmask_b32_e64 v24, v16, v18, s[28:29]
	v_or_b32_e32 v17, 0x800000, v2
	v_add_u32_e32 v16, 21, v24
	v_cndmask_b32_e64 v2, v17, v2, s[28:29]
	v_lshlrev_b64 v[16:17], v16, -1
	v_add_u32_e32 v18, 20, v24
	v_lshlrev_b64 v[39:40], v18, 1
	v_bfi_b32 v17, v17, 0, 0
	v_bfi_b32 v16, v16, 0, v2
	v_cmp_eq_u64_e64 s[40:41], v[16:17], v[39:40]
	v_lshrrev_b64 v[16:17], v24, v[2:3]
	v_mov_b32_e32 v18, v17
	v_mov_b32_e32 v17, v16
	s_and_saveexec_b64 s[48:49], s[40:41]
; %bb.3620:                             ;   in Loop: Header=BB2_3506 Depth=3
	v_bfe_u32 v2, v16, 21, 1
	v_add_co_u32_e64 v2, s[40:41], v16, v2
	v_add_co_u32_e64 v17, s[40:41], -1, v2
; %bb.3621:                             ;   in Loop: Header=BB2_3506 Depth=3
	s_or_b64 exec, exec, s[48:49]
	v_add_u32_e32 v1, 0xffffff81, v1
	v_mov_b32_e32 v2, 0xffffff82
	v_cndmask_b32_e64 v1, v1, v2, s[28:29]
	v_lshrrev_b32_e32 v2, 23, v16
	v_add3_u32 v24, v24, v1, v2
	v_add_u32_e32 v18, 14, v24
	v_and_b32_e32 v1, 0x1fffff, v17
	v_add_u32_e32 v2, v1, v16
	v_cmp_ne_u32_e64 s[28:29], 0, v18
                                        ; implicit-def: $vgpr16_vgpr17
                                        ; implicit-def: $vgpr1
	s_and_saveexec_b64 s[40:41], s[28:29]
	s_xor_b64 s[40:41], exec, s[40:41]
; %bb.3622:                             ;   in Loop: Header=BB2_3506 Depth=3
	v_cmp_lt_u64_e64 s[28:29], s[88:89], v[2:3]
	v_add_u32_e32 v1, 15, v24
	v_cndmask_b32_e64 v16, 0, 1, s[28:29]
	v_cndmask_b32_e64 v1, v18, v1, s[28:29]
	v_lshrrev_b64 v[16:17], v16, v[2:3]
; %bb.3623:                             ;   in Loop: Header=BB2_3506 Depth=3
	s_andn2_saveexec_b64 s[28:29], s[40:41]
; %bb.3624:                             ;   in Loop: Header=BB2_3506 Depth=3
	v_mov_b32_e32 v17, v3
	v_bfe_u32 v1, v2, 23, 1
	v_mov_b32_e32 v16, v2
; %bb.3625:                             ;   in Loop: Header=BB2_3506 Depth=3
	s_or_b64 exec, exec, s[28:29]
	v_lshrrev_b64 v[16:17], 21, v[16:17]
	v_cmp_gt_i32_e64 s[28:29], 32, v1
	v_cndmask_b32_e64 v17, 0, v17, s[28:29]
	v_cndmask_b32_e64 v16, 3, v16, s[28:29]
	v_cmp_eq_u32_e64 s[28:29], 0, v1
	v_min_i32_e32 v1, 31, v1
	v_cmp_eq_u64_e64 s[40:41], 0, v[16:17]
	v_lshlrev_b32_e32 v1, 2, v1
	v_and_b32_e32 v1, 0xfc, v1
	v_and_or_b32 v1, v16, 3, v1
	s_and_b64 s[28:29], s[28:29], s[40:41]
	v_cndmask_b32_e64 v1, v1, 0, s[28:29]
	v_or_b32_e32 v37, v1, v19
.LBB2_3626:                             ;   in Loop: Header=BB2_3506 Depth=3
	s_or_b64 exec, exec, s[38:39]
                                        ; implicit-def: $vgpr19
.LBB2_3627:                             ;   in Loop: Header=BB2_3506 Depth=3
	s_andn2_saveexec_b64 s[28:29], s[36:37]
; %bb.3628:                             ;   in Loop: Header=BB2_3506 Depth=3
	v_or_b32_e32 v37, 0x7b, v19
; %bb.3629:                             ;   in Loop: Header=BB2_3506 Depth=3
	s_or_b64 exec, exec, s[28:29]
                                        ; implicit-def: $vgpr1
.LBB2_3630:                             ;   in Loop: Header=BB2_3506 Depth=3
	s_andn2_saveexec_b64 s[40:41], s[42:43]
	s_cbranch_execz .LBB2_3636
; %bb.3631:                             ;   in Loop: Header=BB2_3506 Depth=3
	v_cmp_ne_u64_e64 s[28:29], 0, v[2:3]
                                        ; implicit-def: $vgpr37
	s_and_saveexec_b64 s[42:43], s[28:29]
	s_xor_b64 s[28:29], exec, s[42:43]
; %bb.3632:                             ;   in Loop: Header=BB2_3506 Depth=3
	v_or_b32_sdwa v37, v1, s81 dst_sel:DWORD dst_unused:UNUSED_PAD src0_sel:BYTE_3 src1_sel:DWORD
                                        ; implicit-def: $vgpr1
; %bb.3633:                             ;   in Loop: Header=BB2_3506 Depth=3
	s_andn2_saveexec_b64 s[42:43], s[28:29]
; %bb.3634:                             ;   in Loop: Header=BB2_3506 Depth=3
	v_cmp_lt_i32_e64 s[28:29], -1, v1
	v_cndmask_b32_e64 v37, v0, v49, s[28:29]
; %bb.3635:                             ;   in Loop: Header=BB2_3506 Depth=3
	s_or_b64 exec, exec, s[42:43]
.LBB2_3636:                             ;   in Loop: Header=BB2_3506 Depth=3
	s_or_b64 exec, exec, s[40:41]
	v_mov_b32_e32 v2, v13
	v_cmp_ne_u16_sdwa s[28:29], v13, v3 src0_sel:BYTE_0 src1_sel:DWORD
	v_mov_b32_e32 v1, 0
	s_and_saveexec_b64 s[40:41], s[28:29]
	s_cbranch_execz .LBB2_3644
; %bb.3637:                             ;   in Loop: Header=BB2_3506 Depth=3
	v_cmp_ne_u16_sdwa s[28:29], v13, s82 src0_sel:BYTE_0 src1_sel:DWORD
	v_bfrev_b32_e32 v1, 1
	s_and_saveexec_b64 s[42:43], s[28:29]
	s_cbranch_execz .LBB2_3643
; %bb.3638:                             ;   in Loop: Header=BB2_3506 Depth=3
	v_and_b32_e32 v1, 0x7c, v13
	v_and_b32_e32 v16, 3, v13
	v_cmp_ne_u32_e64 s[28:29], s71, v1
                                        ; implicit-def: $vgpr1
	s_and_saveexec_b64 s[36:37], s[28:29]
	s_xor_b64 s[36:37], exec, s[36:37]
	s_cbranch_execz .LBB2_3640
; %bb.3639:                             ;   in Loop: Header=BB2_3506 Depth=3
	v_ffbh_u32_e32 v17, v16
	v_min_u32_e32 v19, 32, v17
	v_subrev_u32_e32 v17, 29, v19
	v_lshlrev_b64 v[17:18], v17, v[2:3]
	v_bfe_u32 v1, v13, 2, 5
	v_and_b32_e32 v17, 3, v17
	v_cmp_eq_u32_e64 s[28:29], 0, v1
	v_sub_u32_e32 v18, 30, v19
	v_cndmask_b32_e64 v16, v16, v17, s[28:29]
	v_lshlrev_b32_e32 v17, 24, v13
	v_cndmask_b32_e64 v1, v1, v18, s[28:29]
	v_and_b32_e32 v17, 0x80000000, v17
	v_lshl_add_u32 v1, v1, 23, v17
	v_lshl_or_b32 v1, v16, 21, v1
	v_add_u32_e32 v1, 0x38000000, v1
                                        ; implicit-def: $vgpr16
.LBB2_3640:                             ;   in Loop: Header=BB2_3506 Depth=3
	s_andn2_saveexec_b64 s[36:37], s[36:37]
; %bb.3641:                             ;   in Loop: Header=BB2_3506 Depth=3
	v_cmp_gt_i16_sdwa s[28:29], sext(v13), v26 src0_sel:BYTE_0 src1_sel:DWORD
	v_cndmask_b32_e64 v1, v27, v6, s[28:29]
	v_cmp_eq_u32_e64 s[28:29], 0, v16
	v_cndmask_b32_e64 v1, v7, v1, s[28:29]
; %bb.3642:                             ;   in Loop: Header=BB2_3506 Depth=3
	s_or_b64 exec, exec, s[36:37]
.LBB2_3643:                             ;   in Loop: Header=BB2_3506 Depth=3
	s_or_b64 exec, exec, s[42:43]
.LBB2_3644:                             ;   in Loop: Header=BB2_3506 Depth=3
	s_or_b64 exec, exec, s[40:41]
	v_cmp_gt_i16_sdwa s[40:41], v9, s81 src0_sel:BYTE_0 src1_sel:DWORD
	s_mov_b64 s[28:29], 0
	s_and_saveexec_b64 s[42:43], s[40:41]
	s_xor_b64 s[40:41], exec, s[42:43]
	s_cbranch_execz .LBB2_3648
; %bb.3645:                             ;   in Loop: Header=BB2_3506 Depth=3
	v_cmp_eq_u16_sdwa s[36:37], v9, s82 src0_sel:BYTE_0 src1_sel:DWORD
	s_mov_b64 s[28:29], -1
	s_and_saveexec_b64 s[42:43], s[36:37]
; %bb.3646:                             ;   in Loop: Header=BB2_3506 Depth=3
	s_xor_b64 s[28:29], exec, -1
; %bb.3647:                             ;   in Loop: Header=BB2_3506 Depth=3
	s_or_b64 exec, exec, s[42:43]
	s_and_b64 s[28:29], s[28:29], exec
.LBB2_3648:                             ;   in Loop: Header=BB2_3506 Depth=3
	s_or_saveexec_b64 s[40:41], s[40:41]
	v_bfrev_b32_e32 v18, 1
	s_xor_b64 exec, exec, s[40:41]
; %bb.3649:                             ;   in Loop: Header=BB2_3506 Depth=3
	v_cmp_ne_u16_sdwa s[42:43], v9, v3 src0_sel:BYTE_0 src1_sel:DWORD
	s_andn2_b64 s[28:29], s[28:29], exec
	s_and_b64 s[42:43], s[42:43], exec
	v_mov_b32_e32 v18, 0
	s_or_b64 s[28:29], s[28:29], s[42:43]
; %bb.3650:                             ;   in Loop: Header=BB2_3506 Depth=3
	s_or_b64 exec, exec, s[40:41]
	v_mov_b32_e32 v16, v9
	v_mov_b32_e32 v17, v3
	s_and_saveexec_b64 s[36:37], s[28:29]
	s_cbranch_execz .LBB2_3652
; %bb.3651:                             ;   in Loop: Header=BB2_3506 Depth=3
	v_and_b32_e32 v19, 3, v9
	v_and_b32_e32 v18, 0x7c, v9
	v_cmp_eq_u32_e64 s[28:29], s71, v18
	v_ffbh_u32_e32 v18, v19
	v_min_u32_e32 v25, 32, v18
	v_subrev_u32_e32 v18, 29, v25
	v_bfe_u32 v24, v9, 2, 5
	v_lshlrev_b64 v[17:18], v18, v[16:17]
	v_cmp_eq_u32_e64 s[40:41], 0, v24
	v_sub_u32_e32 v18, 30, v25
	v_cndmask_b32_e64 v18, v24, v18, s[40:41]
	v_lshlrev_b32_e32 v24, 24, v9
	v_and_b32_e32 v17, 3, v17
	v_and_b32_e32 v24, 0x80000000, v24
	v_cndmask_b32_e64 v17, v19, v17, s[40:41]
	v_lshl_add_u32 v18, v18, 23, v24
	v_cmp_gt_i16_sdwa s[42:43], sext(v9), v26 src0_sel:BYTE_0 src1_sel:DWORD
	v_lshl_or_b32 v17, v17, 21, v18
	v_cmp_eq_u32_e64 s[40:41], 0, v19
	v_cndmask_b32_e64 v18, v27, v6, s[42:43]
	v_add_u32_e32 v17, 0x38000000, v17
	v_cndmask_b32_e64 v18, v7, v18, s[40:41]
	v_cndmask_b32_e64 v18, v17, v18, s[28:29]
.LBB2_3652:                             ;   in Loop: Header=BB2_3506 Depth=3
	s_or_b64 exec, exec, s[36:37]
	v_mul_f32_e32 v1, v1, v18
	v_and_b32_e32 v18, 0x7f800000, v1
	v_mov_b32_e32 v19, v3
	v_cmp_ne_u64_e64 s[28:29], s[62:63], v[18:19]
	v_and_b32_e32 v17, 0x7fffff, v1
	v_mov_b32_e32 v18, v3
                                        ; implicit-def: $vgpr19
	s_and_saveexec_b64 s[40:41], s[28:29]
	s_xor_b64 s[42:43], exec, s[40:41]
	s_cbranch_execz .LBB2_3666
; %bb.3653:                             ;   in Loop: Header=BB2_3506 Depth=3
	v_and_b32_e32 v24, 0x7fffffff, v1
	v_mov_b32_e32 v25, v3
	v_cmp_gt_u64_e64 s[28:29], s[78:79], v[24:25]
	v_and_b32_sdwa v24, v1, s82 dst_sel:DWORD dst_unused:UNUSED_PAD src0_sel:BYTE_3 src1_sel:DWORD
                                        ; implicit-def: $vgpr19
	s_and_saveexec_b64 s[40:41], s[28:29]
	s_xor_b64 s[36:37], exec, s[40:41]
	s_cbranch_execz .LBB2_3663
; %bb.3654:                             ;   in Loop: Header=BB2_3506 Depth=3
	v_mov_b32_e32 v19, 0
	v_cmp_ne_u32_e64 s[28:29], 0, v1
	s_and_saveexec_b64 s[38:39], s[28:29]
	s_cbranch_execz .LBB2_3662
; %bb.3655:                             ;   in Loop: Header=BB2_3506 Depth=3
	v_bfe_u32 v1, v1, 23, 8
	v_cmp_gt_u32_e64 s[40:41], s44, v1
	v_sub_u32_e32 v19, 0x71, v1
	v_cmp_eq_u32_e64 s[28:29], 0, v1
	v_cndmask_b32_e64 v19, 0, v19, s[40:41]
	v_mov_b32_e32 v25, 0x70
	v_cndmask_b32_e64 v25, v19, v25, s[28:29]
	v_or_b32_e32 v39, 0x800000, v17
	v_add_u32_e32 v19, 21, v25
	v_cndmask_b32_e64 v17, v39, v17, s[28:29]
	v_lshlrev_b64 v[39:40], v19, -1
	v_add_u32_e32 v19, 20, v25
	v_bfi_b32 v39, v39, 0, v17
	v_lshlrev_b64 v[41:42], v19, 1
	v_lshrrev_b64 v[17:18], v25, v[17:18]
	v_bfi_b32 v40, v40, 0, 0
	v_cmp_eq_u64_e64 s[40:41], v[39:40], v[41:42]
	v_mov_b32_e32 v19, v18
	v_mov_b32_e32 v18, v17
	s_and_saveexec_b64 s[48:49], s[40:41]
; %bb.3656:                             ;   in Loop: Header=BB2_3506 Depth=3
	v_bfe_u32 v18, v17, 21, 1
	v_add_co_u32_e64 v18, s[40:41], v17, v18
	v_add_co_u32_e64 v18, s[40:41], -1, v18
; %bb.3657:                             ;   in Loop: Header=BB2_3506 Depth=3
	s_or_b64 exec, exec, s[48:49]
	v_add_u32_e32 v1, 0xffffff81, v1
	v_mov_b32_e32 v19, 0xffffff82
	v_cndmask_b32_e64 v1, v1, v19, s[28:29]
	v_lshrrev_b32_e32 v19, 23, v17
	v_add3_u32 v25, v25, v1, v19
	v_add_u32_e32 v19, 14, v25
	v_and_b32_e32 v1, 0x1fffff, v18
	v_add_u32_e32 v17, v1, v17
	v_mov_b32_e32 v18, v3
	v_cmp_ne_u32_e64 s[28:29], 0, v19
                                        ; implicit-def: $vgpr1
	s_and_saveexec_b64 s[40:41], s[28:29]
	s_xor_b64 s[40:41], exec, s[40:41]
; %bb.3658:                             ;   in Loop: Header=BB2_3506 Depth=3
	v_cmp_lt_u64_e64 s[28:29], s[88:89], v[17:18]
	v_add_u32_e32 v1, 15, v25
	v_cndmask_b32_e64 v1, v19, v1, s[28:29]
	v_cndmask_b32_e64 v19, 0, 1, s[28:29]
	v_lshrrev_b64 v[17:18], v19, v[17:18]
; %bb.3659:                             ;   in Loop: Header=BB2_3506 Depth=3
	s_andn2_saveexec_b64 s[28:29], s[40:41]
; %bb.3660:                             ;   in Loop: Header=BB2_3506 Depth=3
	v_bfe_u32 v1, v17, 23, 1
; %bb.3661:                             ;   in Loop: Header=BB2_3506 Depth=3
	s_or_b64 exec, exec, s[28:29]
	v_lshrrev_b64 v[17:18], 21, v[17:18]
	v_cmp_gt_i32_e64 s[28:29], 32, v1
	v_cndmask_b32_e64 v18, 0, v18, s[28:29]
	v_cndmask_b32_e64 v17, 3, v17, s[28:29]
	v_cmp_eq_u32_e64 s[28:29], 0, v1
	v_min_i32_e32 v1, 31, v1
	v_cmp_eq_u64_e64 s[40:41], 0, v[17:18]
	v_lshlrev_b32_e32 v1, 2, v1
	v_and_b32_e32 v1, 0xfc, v1
	v_and_or_b32 v1, v17, 3, v1
	s_and_b64 s[28:29], s[28:29], s[40:41]
	v_cndmask_b32_e64 v1, v1, 0, s[28:29]
	v_or_b32_e32 v19, v1, v24
.LBB2_3662:                             ;   in Loop: Header=BB2_3506 Depth=3
	s_or_b64 exec, exec, s[38:39]
                                        ; implicit-def: $vgpr24
.LBB2_3663:                             ;   in Loop: Header=BB2_3506 Depth=3
	s_andn2_saveexec_b64 s[28:29], s[36:37]
; %bb.3664:                             ;   in Loop: Header=BB2_3506 Depth=3
	v_or_b32_e32 v19, 0x7b, v24
; %bb.3665:                             ;   in Loop: Header=BB2_3506 Depth=3
	s_or_b64 exec, exec, s[28:29]
                                        ; implicit-def: $vgpr1
                                        ; implicit-def: $vgpr17_vgpr18
.LBB2_3666:                             ;   in Loop: Header=BB2_3506 Depth=3
	s_andn2_saveexec_b64 s[40:41], s[42:43]
	s_cbranch_execz .LBB2_3672
; %bb.3667:                             ;   in Loop: Header=BB2_3506 Depth=3
	v_cmp_ne_u64_e64 s[28:29], 0, v[17:18]
                                        ; implicit-def: $vgpr19
	s_and_saveexec_b64 s[42:43], s[28:29]
	s_xor_b64 s[28:29], exec, s[42:43]
; %bb.3668:                             ;   in Loop: Header=BB2_3506 Depth=3
	v_or_b32_sdwa v19, v1, s81 dst_sel:DWORD dst_unused:UNUSED_PAD src0_sel:BYTE_3 src1_sel:DWORD
                                        ; implicit-def: $vgpr1
; %bb.3669:                             ;   in Loop: Header=BB2_3506 Depth=3
	s_andn2_saveexec_b64 s[42:43], s[28:29]
; %bb.3670:                             ;   in Loop: Header=BB2_3506 Depth=3
	v_cmp_lt_i32_e64 s[28:29], -1, v1
	v_cndmask_b32_e64 v19, v0, v49, s[28:29]
; %bb.3671:                             ;   in Loop: Header=BB2_3506 Depth=3
	s_or_b64 exec, exec, s[42:43]
.LBB2_3672:                             ;   in Loop: Header=BB2_3506 Depth=3
	s_or_b64 exec, exec, s[40:41]
	v_lshrrev_b16_e32 v17, 8, v2
	v_cmp_ne_u16_e64 s[28:29], 0, v17
	v_mov_b32_e32 v1, 0
	s_and_saveexec_b64 s[40:41], s[28:29]
	s_cbranch_execz .LBB2_3680
; %bb.3673:                             ;   in Loop: Header=BB2_3506 Depth=3
	v_cmp_ne_u16_e64 s[28:29], s82, v17
	v_bfrev_b32_e32 v1, 1
	s_and_saveexec_b64 s[42:43], s[28:29]
	s_cbranch_execz .LBB2_3679
; %bb.3674:                             ;   in Loop: Header=BB2_3506 Depth=3
	v_and_b32_e32 v1, 0x7c, v17
	v_and_b32_e32 v24, 3, v17
	v_cmp_ne_u32_e64 s[28:29], s71, v1
                                        ; implicit-def: $vgpr1
	s_and_saveexec_b64 s[36:37], s[28:29]
	s_xor_b64 s[36:37], exec, s[36:37]
	s_cbranch_execz .LBB2_3676
; %bb.3675:                             ;   in Loop: Header=BB2_3506 Depth=3
	v_ffbh_u32_e32 v25, v24
	v_min_u32_e32 v25, 32, v25
	v_mov_b32_e32 v18, v3
	v_subrev_u32_e32 v39, 29, v25
	v_bfe_u32 v1, v17, 2, 5
	v_lshlrev_b64 v[17:18], v39, v[17:18]
	v_sub_u32_e32 v18, 30, v25
	v_cmp_eq_u32_e64 s[28:29], 0, v1
	v_lshlrev_b32_e32 v2, 16, v2
	v_and_b32_e32 v17, 3, v17
	v_cndmask_b32_e64 v1, v1, v18, s[28:29]
	v_and_b32_e32 v2, 0x80000000, v2
	v_cndmask_b32_e64 v17, v24, v17, s[28:29]
	v_lshl_add_u32 v1, v1, 23, v2
	v_lshl_or_b32 v1, v17, 21, v1
	v_add_u32_e32 v1, 0x38000000, v1
                                        ; implicit-def: $vgpr24
.LBB2_3676:                             ;   in Loop: Header=BB2_3506 Depth=3
	s_andn2_saveexec_b64 s[36:37], s[36:37]
; %bb.3677:                             ;   in Loop: Header=BB2_3506 Depth=3
	v_cmp_lt_i16_e64 s[28:29], -1, v2
	v_cndmask_b32_e64 v1, v27, v6, s[28:29]
	v_cmp_eq_u32_e64 s[28:29], 0, v24
	v_cndmask_b32_e64 v1, v7, v1, s[28:29]
; %bb.3678:                             ;   in Loop: Header=BB2_3506 Depth=3
	s_or_b64 exec, exec, s[36:37]
.LBB2_3679:                             ;   in Loop: Header=BB2_3506 Depth=3
	s_or_b64 exec, exec, s[42:43]
.LBB2_3680:                             ;   in Loop: Header=BB2_3506 Depth=3
	s_or_b64 exec, exec, s[40:41]
	v_lshrrev_b16_e32 v2, 8, v16
	v_cmp_lt_i16_e64 s[28:29], s81, v2
	s_mov_b64 s[40:41], 0
	s_and_saveexec_b64 s[42:43], s[28:29]
	s_xor_b64 s[42:43], exec, s[42:43]
	s_cbranch_execz .LBB2_4035
; %bb.3681:                             ;   in Loop: Header=BB2_3506 Depth=3
	v_cmp_eq_u16_e64 s[28:29], s82, v2
	s_mov_b64 s[40:41], -1
	s_and_saveexec_b64 s[36:37], s[28:29]
; %bb.3682:                             ;   in Loop: Header=BB2_3506 Depth=3
	s_xor_b64 s[40:41], exec, -1
; %bb.3683:                             ;   in Loop: Header=BB2_3506 Depth=3
	s_or_b64 exec, exec, s[36:37]
	s_and_b64 s[40:41], s[40:41], exec
	s_or_saveexec_b64 s[42:43], s[42:43]
	v_bfrev_b32_e32 v17, 1
	s_xor_b64 exec, exec, s[42:43]
	s_cbranch_execnz .LBB2_4036
.LBB2_3684:                             ;   in Loop: Header=BB2_3506 Depth=3
	s_or_b64 exec, exec, s[42:43]
	s_and_saveexec_b64 s[36:37], s[40:41]
	s_cbranch_execz .LBB2_3686
.LBB2_3685:                             ;   in Loop: Header=BB2_3506 Depth=3
	v_and_b32_e32 v24, 3, v2
	v_and_b32_e32 v17, 0x7c, v2
	v_cmp_eq_u32_e64 s[28:29], s71, v17
	v_ffbh_u32_e32 v17, v24
	v_min_u32_e32 v39, 32, v17
	v_subrev_u32_e32 v17, 29, v39
	v_bfe_u32 v25, v2, 2, 5
	v_lshlrev_b64 v[17:18], v17, v[2:3]
	v_cmp_eq_u32_e64 s[40:41], 0, v25
	v_sub_u32_e32 v18, 30, v39
	v_lshlrev_b32_e32 v2, 24, v2
	v_and_b32_e32 v17, 3, v17
	v_cndmask_b32_e64 v18, v25, v18, s[40:41]
	v_and_b32_e32 v2, 0x80000000, v2
	v_cndmask_b32_e64 v17, v24, v17, s[40:41]
	v_lshl_add_u32 v2, v18, 23, v2
	v_cmp_lt_i16_e64 s[42:43], -1, v16
	v_lshl_or_b32 v2, v17, 21, v2
	v_cmp_eq_u32_e64 s[40:41], 0, v24
	v_cndmask_b32_e64 v16, v27, v6, s[42:43]
	v_add_u32_e32 v2, 0x38000000, v2
	v_cndmask_b32_e64 v16, v7, v16, s[40:41]
	v_cndmask_b32_e64 v17, v2, v16, s[28:29]
.LBB2_3686:                             ;   in Loop: Header=BB2_3506 Depth=3
	s_or_b64 exec, exec, s[36:37]
	v_mul_f32_e32 v1, v1, v17
	v_and_b32_e32 v16, 0x7f800000, v1
	v_mov_b32_e32 v17, v3
	v_cmp_ne_u64_e64 s[28:29], s[62:63], v[16:17]
	v_and_b32_e32 v2, 0x7fffff, v1
                                        ; implicit-def: $vgpr24
	s_and_saveexec_b64 s[40:41], s[28:29]
	s_xor_b64 s[42:43], exec, s[40:41]
	s_cbranch_execz .LBB2_3700
; %bb.3687:                             ;   in Loop: Header=BB2_3506 Depth=3
	v_and_b32_e32 v16, 0x7fffffff, v1
	v_mov_b32_e32 v17, v3
	v_cmp_gt_u64_e64 s[28:29], s[78:79], v[16:17]
	v_and_b32_sdwa v25, v1, s82 dst_sel:DWORD dst_unused:UNUSED_PAD src0_sel:BYTE_3 src1_sel:DWORD
                                        ; implicit-def: $vgpr24
	s_and_saveexec_b64 s[40:41], s[28:29]
	s_xor_b64 s[36:37], exec, s[40:41]
	s_cbranch_execz .LBB2_3697
; %bb.3688:                             ;   in Loop: Header=BB2_3506 Depth=3
	v_mov_b32_e32 v24, 0
	v_cmp_ne_u32_e64 s[28:29], 0, v1
	s_and_saveexec_b64 s[38:39], s[28:29]
	s_cbranch_execz .LBB2_3696
; %bb.3689:                             ;   in Loop: Header=BB2_3506 Depth=3
	v_bfe_u32 v1, v1, 23, 8
	v_cmp_gt_u32_e64 s[40:41], s44, v1
	v_sub_u32_e32 v16, 0x71, v1
	v_cmp_eq_u32_e64 s[28:29], 0, v1
	v_cndmask_b32_e64 v16, 0, v16, s[40:41]
	v_mov_b32_e32 v18, 0x70
	v_cndmask_b32_e64 v24, v16, v18, s[28:29]
	v_or_b32_e32 v17, 0x800000, v2
	v_add_u32_e32 v16, 21, v24
	v_cndmask_b32_e64 v2, v17, v2, s[28:29]
	v_lshlrev_b64 v[16:17], v16, -1
	v_add_u32_e32 v18, 20, v24
	v_lshlrev_b64 v[39:40], v18, 1
	v_bfi_b32 v17, v17, 0, 0
	v_bfi_b32 v16, v16, 0, v2
	v_cmp_eq_u64_e64 s[40:41], v[16:17], v[39:40]
	v_lshrrev_b64 v[16:17], v24, v[2:3]
	v_mov_b32_e32 v18, v17
	v_mov_b32_e32 v17, v16
	s_and_saveexec_b64 s[48:49], s[40:41]
; %bb.3690:                             ;   in Loop: Header=BB2_3506 Depth=3
	v_bfe_u32 v2, v16, 21, 1
	v_add_co_u32_e64 v2, s[40:41], v16, v2
	v_add_co_u32_e64 v17, s[40:41], -1, v2
; %bb.3691:                             ;   in Loop: Header=BB2_3506 Depth=3
	s_or_b64 exec, exec, s[48:49]
	v_add_u32_e32 v1, 0xffffff81, v1
	v_mov_b32_e32 v2, 0xffffff82
	v_cndmask_b32_e64 v1, v1, v2, s[28:29]
	v_lshrrev_b32_e32 v2, 23, v16
	v_add3_u32 v24, v24, v1, v2
	v_add_u32_e32 v18, 14, v24
	v_and_b32_e32 v1, 0x1fffff, v17
	v_add_u32_e32 v2, v1, v16
	v_cmp_ne_u32_e64 s[28:29], 0, v18
                                        ; implicit-def: $vgpr16_vgpr17
                                        ; implicit-def: $vgpr1
	s_and_saveexec_b64 s[40:41], s[28:29]
	s_xor_b64 s[40:41], exec, s[40:41]
; %bb.3692:                             ;   in Loop: Header=BB2_3506 Depth=3
	v_cmp_lt_u64_e64 s[28:29], s[88:89], v[2:3]
	v_add_u32_e32 v1, 15, v24
	v_cndmask_b32_e64 v16, 0, 1, s[28:29]
	v_cndmask_b32_e64 v1, v18, v1, s[28:29]
	v_lshrrev_b64 v[16:17], v16, v[2:3]
; %bb.3693:                             ;   in Loop: Header=BB2_3506 Depth=3
	s_andn2_saveexec_b64 s[28:29], s[40:41]
; %bb.3694:                             ;   in Loop: Header=BB2_3506 Depth=3
	v_mov_b32_e32 v17, v3
	v_bfe_u32 v1, v2, 23, 1
	v_mov_b32_e32 v16, v2
; %bb.3695:                             ;   in Loop: Header=BB2_3506 Depth=3
	s_or_b64 exec, exec, s[28:29]
	v_lshrrev_b64 v[16:17], 21, v[16:17]
	v_cmp_gt_i32_e64 s[28:29], 32, v1
	v_cndmask_b32_e64 v17, 0, v17, s[28:29]
	v_cndmask_b32_e64 v16, 3, v16, s[28:29]
	v_cmp_eq_u32_e64 s[28:29], 0, v1
	v_min_i32_e32 v1, 31, v1
	v_cmp_eq_u64_e64 s[40:41], 0, v[16:17]
	v_lshlrev_b32_e32 v1, 2, v1
	v_and_b32_e32 v1, 0xfc, v1
	v_and_or_b32 v1, v16, 3, v1
	s_and_b64 s[28:29], s[28:29], s[40:41]
	v_cndmask_b32_e64 v1, v1, 0, s[28:29]
	v_or_b32_e32 v24, v1, v25
.LBB2_3696:                             ;   in Loop: Header=BB2_3506 Depth=3
	s_or_b64 exec, exec, s[38:39]
                                        ; implicit-def: $vgpr25
.LBB2_3697:                             ;   in Loop: Header=BB2_3506 Depth=3
	s_andn2_saveexec_b64 s[28:29], s[36:37]
; %bb.3698:                             ;   in Loop: Header=BB2_3506 Depth=3
	v_or_b32_e32 v24, 0x7b, v25
; %bb.3699:                             ;   in Loop: Header=BB2_3506 Depth=3
	s_or_b64 exec, exec, s[28:29]
                                        ; implicit-def: $vgpr1
.LBB2_3700:                             ;   in Loop: Header=BB2_3506 Depth=3
	s_andn2_saveexec_b64 s[40:41], s[42:43]
	s_cbranch_execz .LBB2_3706
; %bb.3701:                             ;   in Loop: Header=BB2_3506 Depth=3
	v_cmp_ne_u64_e64 s[28:29], 0, v[2:3]
                                        ; implicit-def: $vgpr24
	s_and_saveexec_b64 s[42:43], s[28:29]
	s_xor_b64 s[28:29], exec, s[42:43]
; %bb.3702:                             ;   in Loop: Header=BB2_3506 Depth=3
	v_or_b32_sdwa v24, v1, s81 dst_sel:DWORD dst_unused:UNUSED_PAD src0_sel:BYTE_3 src1_sel:DWORD
                                        ; implicit-def: $vgpr1
; %bb.3703:                             ;   in Loop: Header=BB2_3506 Depth=3
	s_andn2_saveexec_b64 s[42:43], s[28:29]
; %bb.3704:                             ;   in Loop: Header=BB2_3506 Depth=3
	v_cmp_lt_i32_e64 s[28:29], -1, v1
	v_cndmask_b32_e64 v24, v0, v49, s[28:29]
; %bb.3705:                             ;   in Loop: Header=BB2_3506 Depth=3
	s_or_b64 exec, exec, s[42:43]
.LBB2_3706:                             ;   in Loop: Header=BB2_3506 Depth=3
	s_or_b64 exec, exec, s[40:41]
	v_lshrrev_b32_e32 v2, 16, v13
	v_cmp_ne_u16_sdwa s[28:29], v2, v3 src0_sel:BYTE_0 src1_sel:DWORD
	v_mov_b32_e32 v1, 0
	s_and_saveexec_b64 s[40:41], s[28:29]
	s_cbranch_execz .LBB2_3714
; %bb.3707:                             ;   in Loop: Header=BB2_3506 Depth=3
	v_cmp_ne_u16_sdwa s[28:29], v2, s82 src0_sel:BYTE_0 src1_sel:DWORD
	v_bfrev_b32_e32 v1, 1
	s_and_saveexec_b64 s[42:43], s[28:29]
	s_cbranch_execz .LBB2_3713
; %bb.3708:                             ;   in Loop: Header=BB2_3506 Depth=3
	v_and_b32_e32 v1, 0x7c0000, v13
	v_bfe_u32 v16, v13, 16, 2
	v_cmp_ne_u32_e64 s[28:29], s45, v1
                                        ; implicit-def: $vgpr1
	s_and_saveexec_b64 s[36:37], s[28:29]
	s_xor_b64 s[36:37], exec, s[36:37]
	s_cbranch_execz .LBB2_3710
; %bb.3709:                             ;   in Loop: Header=BB2_3506 Depth=3
	v_ffbh_u32_e32 v1, v16
	v_min_u32_e32 v18, 32, v1
	v_subrev_u32_e32 v1, 29, v18
	v_lshlrev_b64 v[1:2], v1, v[2:3]
	v_bfe_u32 v17, v13, 18, 5
	v_and_b32_e32 v1, 3, v1
	v_cmp_eq_u32_e64 s[28:29], 0, v17
	v_sub_u32_e32 v2, 30, v18
	v_cndmask_b32_e64 v1, v16, v1, s[28:29]
	v_lshlrev_b32_e32 v16, 8, v13
	v_cndmask_b32_e64 v2, v17, v2, s[28:29]
	v_and_b32_e32 v16, 0x80000000, v16
	v_lshl_add_u32 v2, v2, 23, v16
	v_lshl_or_b32 v1, v1, 21, v2
	v_add_u32_e32 v1, 0x38000000, v1
                                        ; implicit-def: $vgpr16
                                        ; implicit-def: $vgpr2
.LBB2_3710:                             ;   in Loop: Header=BB2_3506 Depth=3
	s_andn2_saveexec_b64 s[36:37], s[36:37]
; %bb.3711:                             ;   in Loop: Header=BB2_3506 Depth=3
	v_cmp_gt_i16_sdwa s[28:29], sext(v2), v26 src0_sel:BYTE_0 src1_sel:DWORD
	v_cndmask_b32_e64 v1, v27, v6, s[28:29]
	v_cmp_eq_u32_e64 s[28:29], 0, v16
	v_cndmask_b32_e64 v1, v7, v1, s[28:29]
; %bb.3712:                             ;   in Loop: Header=BB2_3506 Depth=3
	s_or_b64 exec, exec, s[36:37]
.LBB2_3713:                             ;   in Loop: Header=BB2_3506 Depth=3
	s_or_b64 exec, exec, s[42:43]
.LBB2_3714:                             ;   in Loop: Header=BB2_3506 Depth=3
	s_or_b64 exec, exec, s[40:41]
	v_lshrrev_b32_e32 v2, 16, v9
	v_cmp_gt_i16_sdwa s[40:41], v2, s81 src0_sel:BYTE_0 src1_sel:DWORD
	s_mov_b64 s[28:29], 0
	s_and_saveexec_b64 s[42:43], s[40:41]
	s_xor_b64 s[40:41], exec, s[42:43]
	s_cbranch_execz .LBB2_4037
; %bb.3715:                             ;   in Loop: Header=BB2_3506 Depth=3
	v_cmp_eq_u16_sdwa s[36:37], v2, s82 src0_sel:BYTE_0 src1_sel:DWORD
	s_mov_b64 s[28:29], -1
	s_and_saveexec_b64 s[42:43], s[36:37]
; %bb.3716:                             ;   in Loop: Header=BB2_3506 Depth=3
	s_xor_b64 s[28:29], exec, -1
; %bb.3717:                             ;   in Loop: Header=BB2_3506 Depth=3
	s_or_b64 exec, exec, s[42:43]
	s_and_b64 s[28:29], s[28:29], exec
	s_or_saveexec_b64 s[40:41], s[40:41]
	v_bfrev_b32_e32 v16, 1
	s_xor_b64 exec, exec, s[40:41]
	s_cbranch_execnz .LBB2_4038
.LBB2_3718:                             ;   in Loop: Header=BB2_3506 Depth=3
	s_or_b64 exec, exec, s[40:41]
	s_and_saveexec_b64 s[36:37], s[28:29]
	s_cbranch_execz .LBB2_3720
.LBB2_3719:                             ;   in Loop: Header=BB2_3506 Depth=3
	v_and_b32_e32 v18, 3, v2
	v_and_b32_e32 v16, 0x7c0000, v9
	v_cmp_eq_u32_e64 s[28:29], s45, v16
	v_ffbh_u32_e32 v16, v18
	v_min_u32_e32 v39, 32, v16
	v_subrev_u32_e32 v16, 29, v39
	v_bfe_u32 v25, v9, 18, 5
	v_lshlrev_b64 v[16:17], v16, v[2:3]
	v_cmp_eq_u32_e64 s[40:41], 0, v25
	v_sub_u32_e32 v17, 30, v39
	v_cndmask_b32_e64 v17, v25, v17, s[40:41]
	v_lshlrev_b32_e32 v25, 24, v2
	v_and_b32_e32 v16, 3, v16
	v_and_b32_e32 v25, 0x80000000, v25
	v_cndmask_b32_e64 v16, v18, v16, s[40:41]
	v_lshl_add_u32 v17, v17, 23, v25
	v_cmp_gt_i16_sdwa s[42:43], sext(v2), v26 src0_sel:BYTE_0 src1_sel:DWORD
	v_lshl_or_b32 v16, v16, 21, v17
	v_cmp_eq_u32_e64 s[40:41], 0, v18
	v_cndmask_b32_e64 v2, v27, v6, s[42:43]
	v_add_u32_e32 v16, 0x38000000, v16
	v_cndmask_b32_e64 v2, v7, v2, s[40:41]
	v_cndmask_b32_e64 v16, v16, v2, s[28:29]
.LBB2_3720:                             ;   in Loop: Header=BB2_3506 Depth=3
	s_or_b64 exec, exec, s[36:37]
	v_mul_f32_e32 v1, v1, v16
	v_and_b32_e32 v16, 0x7f800000, v1
	v_mov_b32_e32 v17, v3
	v_cmp_ne_u64_e64 s[28:29], s[62:63], v[16:17]
	v_and_b32_e32 v2, 0x7fffff, v1
                                        ; implicit-def: $vgpr18
	s_and_saveexec_b64 s[40:41], s[28:29]
	s_xor_b64 s[42:43], exec, s[40:41]
	s_cbranch_execz .LBB2_3734
; %bb.3721:                             ;   in Loop: Header=BB2_3506 Depth=3
	v_and_b32_e32 v16, 0x7fffffff, v1
	v_mov_b32_e32 v17, v3
	v_cmp_gt_u64_e64 s[28:29], s[78:79], v[16:17]
	v_and_b32_sdwa v25, v1, s82 dst_sel:DWORD dst_unused:UNUSED_PAD src0_sel:BYTE_3 src1_sel:DWORD
                                        ; implicit-def: $vgpr18
	s_and_saveexec_b64 s[40:41], s[28:29]
	s_xor_b64 s[36:37], exec, s[40:41]
	s_cbranch_execz .LBB2_3731
; %bb.3722:                             ;   in Loop: Header=BB2_3506 Depth=3
	v_mov_b32_e32 v18, 0
	v_cmp_ne_u32_e64 s[28:29], 0, v1
	s_and_saveexec_b64 s[38:39], s[28:29]
	s_cbranch_execz .LBB2_3730
; %bb.3723:                             ;   in Loop: Header=BB2_3506 Depth=3
	v_bfe_u32 v1, v1, 23, 8
	v_cmp_gt_u32_e64 s[40:41], s44, v1
	v_sub_u32_e32 v16, 0x71, v1
	v_cmp_eq_u32_e64 s[28:29], 0, v1
	v_cndmask_b32_e64 v16, 0, v16, s[40:41]
	v_mov_b32_e32 v18, 0x70
	v_cndmask_b32_e64 v39, v16, v18, s[28:29]
	v_or_b32_e32 v17, 0x800000, v2
	v_add_u32_e32 v16, 21, v39
	v_cndmask_b32_e64 v2, v17, v2, s[28:29]
	v_lshlrev_b64 v[16:17], v16, -1
	v_add_u32_e32 v18, 20, v39
	v_lshlrev_b64 v[40:41], v18, 1
	v_bfi_b32 v17, v17, 0, 0
	v_bfi_b32 v16, v16, 0, v2
	v_cmp_eq_u64_e64 s[40:41], v[16:17], v[40:41]
	v_lshrrev_b64 v[16:17], v39, v[2:3]
	v_mov_b32_e32 v18, v17
	v_mov_b32_e32 v17, v16
	s_and_saveexec_b64 s[48:49], s[40:41]
; %bb.3724:                             ;   in Loop: Header=BB2_3506 Depth=3
	v_bfe_u32 v2, v16, 21, 1
	v_add_co_u32_e64 v2, s[40:41], v16, v2
	v_add_co_u32_e64 v17, s[40:41], -1, v2
; %bb.3725:                             ;   in Loop: Header=BB2_3506 Depth=3
	s_or_b64 exec, exec, s[48:49]
	v_add_u32_e32 v1, 0xffffff81, v1
	v_mov_b32_e32 v2, 0xffffff82
	v_cndmask_b32_e64 v1, v1, v2, s[28:29]
	v_lshrrev_b32_e32 v2, 23, v16
	v_add3_u32 v39, v39, v1, v2
	v_add_u32_e32 v18, 14, v39
	v_and_b32_e32 v1, 0x1fffff, v17
	v_add_u32_e32 v2, v1, v16
	v_cmp_ne_u32_e64 s[28:29], 0, v18
                                        ; implicit-def: $vgpr16_vgpr17
                                        ; implicit-def: $vgpr1
	s_and_saveexec_b64 s[40:41], s[28:29]
	s_xor_b64 s[40:41], exec, s[40:41]
; %bb.3726:                             ;   in Loop: Header=BB2_3506 Depth=3
	v_cmp_lt_u64_e64 s[28:29], s[88:89], v[2:3]
	v_add_u32_e32 v1, 15, v39
	v_cndmask_b32_e64 v16, 0, 1, s[28:29]
	v_cndmask_b32_e64 v1, v18, v1, s[28:29]
	v_lshrrev_b64 v[16:17], v16, v[2:3]
; %bb.3727:                             ;   in Loop: Header=BB2_3506 Depth=3
	s_andn2_saveexec_b64 s[28:29], s[40:41]
; %bb.3728:                             ;   in Loop: Header=BB2_3506 Depth=3
	v_mov_b32_e32 v17, v3
	v_bfe_u32 v1, v2, 23, 1
	v_mov_b32_e32 v16, v2
; %bb.3729:                             ;   in Loop: Header=BB2_3506 Depth=3
	s_or_b64 exec, exec, s[28:29]
	v_lshrrev_b64 v[16:17], 21, v[16:17]
	v_cmp_gt_i32_e64 s[28:29], 32, v1
	v_cndmask_b32_e64 v17, 0, v17, s[28:29]
	v_cndmask_b32_e64 v16, 3, v16, s[28:29]
	v_cmp_eq_u32_e64 s[28:29], 0, v1
	v_min_i32_e32 v1, 31, v1
	v_cmp_eq_u64_e64 s[40:41], 0, v[16:17]
	v_lshlrev_b32_e32 v1, 2, v1
	v_and_b32_e32 v1, 0xfc, v1
	v_and_or_b32 v1, v16, 3, v1
	s_and_b64 s[28:29], s[28:29], s[40:41]
	v_cndmask_b32_e64 v1, v1, 0, s[28:29]
	v_or_b32_e32 v18, v1, v25
.LBB2_3730:                             ;   in Loop: Header=BB2_3506 Depth=3
	s_or_b64 exec, exec, s[38:39]
                                        ; implicit-def: $vgpr25
.LBB2_3731:                             ;   in Loop: Header=BB2_3506 Depth=3
	s_andn2_saveexec_b64 s[28:29], s[36:37]
; %bb.3732:                             ;   in Loop: Header=BB2_3506 Depth=3
	v_or_b32_e32 v18, 0x7b, v25
; %bb.3733:                             ;   in Loop: Header=BB2_3506 Depth=3
	s_or_b64 exec, exec, s[28:29]
                                        ; implicit-def: $vgpr1
.LBB2_3734:                             ;   in Loop: Header=BB2_3506 Depth=3
	s_andn2_saveexec_b64 s[40:41], s[42:43]
	s_cbranch_execz .LBB2_3740
; %bb.3735:                             ;   in Loop: Header=BB2_3506 Depth=3
	v_cmp_ne_u64_e64 s[28:29], 0, v[2:3]
                                        ; implicit-def: $vgpr18
	s_and_saveexec_b64 s[42:43], s[28:29]
	s_xor_b64 s[28:29], exec, s[42:43]
; %bb.3736:                             ;   in Loop: Header=BB2_3506 Depth=3
	v_or_b32_sdwa v18, v1, s81 dst_sel:DWORD dst_unused:UNUSED_PAD src0_sel:BYTE_3 src1_sel:DWORD
                                        ; implicit-def: $vgpr1
; %bb.3737:                             ;   in Loop: Header=BB2_3506 Depth=3
	s_andn2_saveexec_b64 s[42:43], s[28:29]
; %bb.3738:                             ;   in Loop: Header=BB2_3506 Depth=3
	v_cmp_lt_i32_e64 s[28:29], -1, v1
	v_cndmask_b32_e64 v18, v0, v49, s[28:29]
; %bb.3739:                             ;   in Loop: Header=BB2_3506 Depth=3
	s_or_b64 exec, exec, s[42:43]
.LBB2_3740:                             ;   in Loop: Header=BB2_3506 Depth=3
	s_or_b64 exec, exec, s[40:41]
	v_cmp_lt_u64_e64 s[28:29], s[56:57], v[12:13]
	v_mov_b32_e32 v1, 0
	s_and_saveexec_b64 s[40:41], s[28:29]
	s_cbranch_execz .LBB2_3748
; %bb.3741:                             ;   in Loop: Header=BB2_3506 Depth=3
	v_lshrrev_b32_e32 v2, 24, v13
	v_cmp_ne_u32_e64 s[28:29], s82, v2
	v_bfrev_b32_e32 v1, 1
	s_and_saveexec_b64 s[42:43], s[28:29]
	s_cbranch_execz .LBB2_3747
; %bb.3742:                             ;   in Loop: Header=BB2_3506 Depth=3
	v_and_b32_e32 v1, 0x7c000000, v13
	v_bfe_u32 v16, v13, 24, 2
	v_cmp_ne_u32_e64 s[28:29], s83, v1
                                        ; implicit-def: $vgpr1
	s_and_saveexec_b64 s[36:37], s[28:29]
	s_xor_b64 s[36:37], exec, s[36:37]
	s_cbranch_execz .LBB2_3744
; %bb.3743:                             ;   in Loop: Header=BB2_3506 Depth=3
	v_ffbh_u32_e32 v1, v16
	v_min_u32_e32 v25, 32, v1
	v_subrev_u32_e32 v1, 29, v25
	v_lshlrev_b64 v[1:2], v1, v[2:3]
	v_bfe_u32 v17, v13, 26, 5
	v_sub_u32_e32 v2, 30, v25
	v_and_b32_e32 v1, 3, v1
	v_cmp_eq_u32_e64 s[28:29], 0, v17
	v_cndmask_b32_e64 v2, v17, v2, s[28:29]
	v_cndmask_b32_e64 v1, v16, v1, s[28:29]
	v_and_b32_e32 v16, 0x80000000, v13
	v_lshl_add_u32 v2, v2, 23, v16
	v_lshl_or_b32 v1, v1, 21, v2
	v_add_u32_e32 v1, 0x38000000, v1
                                        ; implicit-def: $vgpr16
.LBB2_3744:                             ;   in Loop: Header=BB2_3506 Depth=3
	s_andn2_saveexec_b64 s[36:37], s[36:37]
; %bb.3745:                             ;   in Loop: Header=BB2_3506 Depth=3
	v_cmp_lt_i64_e64 s[28:29], -1, v[12:13]
	v_cndmask_b32_e64 v1, v27, v6, s[28:29]
	v_cmp_eq_u32_e64 s[28:29], 0, v16
	v_cndmask_b32_e64 v1, v7, v1, s[28:29]
; %bb.3746:                             ;   in Loop: Header=BB2_3506 Depth=3
	s_or_b64 exec, exec, s[36:37]
.LBB2_3747:                             ;   in Loop: Header=BB2_3506 Depth=3
	s_or_b64 exec, exec, s[42:43]
.LBB2_3748:                             ;   in Loop: Header=BB2_3506 Depth=3
	s_or_b64 exec, exec, s[40:41]
	v_bfe_u32 v16, v9, 24, 2
	v_and_b32_e32 v12, 0x7c000000, v9
	v_cmp_eq_u32_e64 s[28:29], s83, v12
	v_ffbh_u32_e32 v12, v16
	v_min_u32_e32 v25, 32, v12
	v_lshrrev_b32_e32 v2, 24, v9
	v_subrev_u32_e32 v12, 29, v25
	v_bfe_u32 v17, v9, 26, 5
	v_lshlrev_b64 v[12:13], v12, v[2:3]
	v_cmp_eq_u32_e64 s[40:41], 0, v17
	v_sub_u32_e32 v13, 30, v25
	v_and_b32_e32 v12, 3, v12
	v_cndmask_b32_e64 v13, v17, v13, s[40:41]
	v_and_b32_e32 v17, 0x80000000, v9
	v_cmp_lt_i64_e64 s[42:43], -1, v[8:9]
	v_cndmask_b32_e64 v12, v16, v12, s[40:41]
	v_lshl_add_u32 v13, v13, 23, v17
	v_lshl_or_b32 v12, v12, 21, v13
	v_cmp_eq_u32_e64 s[40:41], 0, v16
	v_cndmask_b32_e64 v13, v27, v6, s[42:43]
	v_add_u32_e32 v12, 0x38000000, v12
	v_cndmask_b32_e64 v13, v7, v13, s[40:41]
	v_cndmask_b32_e64 v12, v12, v13, s[28:29]
	v_cmp_ne_u32_e64 s[28:29], s82, v2
	v_cndmask_b32_e64 v2, v53, v12, s[28:29]
	v_cmp_lt_u64_e64 s[28:29], s[56:57], v[8:9]
	v_mov_b32_e32 v9, v3
	v_cndmask_b32_e64 v2, 0, v2, s[28:29]
	v_mul_f32_e32 v1, v2, v1
	v_and_b32_e32 v8, 0x7f800000, v1
	v_cmp_ne_u64_e64 s[28:29], s[62:63], v[8:9]
	v_and_b32_e32 v2, 0x7fffff, v1
                                        ; implicit-def: $vgpr25
	s_and_saveexec_b64 s[40:41], s[28:29]
	s_xor_b64 s[42:43], exec, s[40:41]
	s_cbranch_execz .LBB2_3762
; %bb.3749:                             ;   in Loop: Header=BB2_3506 Depth=3
	v_and_b32_e32 v8, 0x7fffffff, v1
	v_mov_b32_e32 v9, v3
	v_cmp_gt_u64_e64 s[28:29], s[78:79], v[8:9]
	v_and_b32_sdwa v16, v1, s82 dst_sel:DWORD dst_unused:UNUSED_PAD src0_sel:BYTE_3 src1_sel:DWORD
                                        ; implicit-def: $vgpr25
	s_and_saveexec_b64 s[40:41], s[28:29]
	s_xor_b64 s[36:37], exec, s[40:41]
	s_cbranch_execz .LBB2_3759
; %bb.3750:                             ;   in Loop: Header=BB2_3506 Depth=3
	v_mov_b32_e32 v25, 0
	v_cmp_ne_u32_e64 s[28:29], 0, v1
	s_and_saveexec_b64 s[38:39], s[28:29]
	s_cbranch_execz .LBB2_3758
; %bb.3751:                             ;   in Loop: Header=BB2_3506 Depth=3
	v_bfe_u32 v1, v1, 23, 8
	v_cmp_gt_u32_e64 s[40:41], s44, v1
	v_sub_u32_e32 v8, 0x71, v1
	v_cmp_eq_u32_e64 s[28:29], 0, v1
	v_cndmask_b32_e64 v8, 0, v8, s[40:41]
	v_mov_b32_e32 v12, 0x70
	v_cndmask_b32_e64 v17, v8, v12, s[28:29]
	v_or_b32_e32 v9, 0x800000, v2
	v_add_u32_e32 v8, 21, v17
	v_cndmask_b32_e64 v2, v9, v2, s[28:29]
	v_lshlrev_b64 v[8:9], v8, -1
	v_add_u32_e32 v12, 20, v17
	v_lshlrev_b64 v[12:13], v12, 1
	v_bfi_b32 v9, v9, 0, 0
	v_bfi_b32 v8, v8, 0, v2
	v_cmp_eq_u64_e64 s[40:41], v[8:9], v[12:13]
	v_lshrrev_b64 v[8:9], v17, v[2:3]
	v_mov_b32_e32 v13, v9
	v_mov_b32_e32 v12, v8
	s_and_saveexec_b64 s[48:49], s[40:41]
; %bb.3752:                             ;   in Loop: Header=BB2_3506 Depth=3
	v_bfe_u32 v2, v8, 21, 1
	v_add_co_u32_e64 v2, s[40:41], v8, v2
	v_add_co_u32_e64 v12, s[40:41], -1, v2
; %bb.3753:                             ;   in Loop: Header=BB2_3506 Depth=3
	s_or_b64 exec, exec, s[48:49]
	v_add_u32_e32 v1, 0xffffff81, v1
	v_mov_b32_e32 v2, 0xffffff82
	v_cndmask_b32_e64 v1, v1, v2, s[28:29]
	v_lshrrev_b32_e32 v2, 23, v8
	v_add3_u32 v17, v17, v1, v2
	v_add_u32_e32 v13, 14, v17
	v_and_b32_e32 v1, 0x1fffff, v12
	v_add_u32_e32 v2, v1, v8
	v_cmp_ne_u32_e64 s[28:29], 0, v13
                                        ; implicit-def: $vgpr8_vgpr9
                                        ; implicit-def: $vgpr1
	s_and_saveexec_b64 s[40:41], s[28:29]
	s_xor_b64 s[40:41], exec, s[40:41]
; %bb.3754:                             ;   in Loop: Header=BB2_3506 Depth=3
	v_cmp_lt_u64_e64 s[28:29], s[88:89], v[2:3]
	v_add_u32_e32 v1, 15, v17
	v_cndmask_b32_e64 v8, 0, 1, s[28:29]
	v_cndmask_b32_e64 v1, v13, v1, s[28:29]
	v_lshrrev_b64 v[8:9], v8, v[2:3]
; %bb.3755:                             ;   in Loop: Header=BB2_3506 Depth=3
	s_andn2_saveexec_b64 s[28:29], s[40:41]
; %bb.3756:                             ;   in Loop: Header=BB2_3506 Depth=3
	v_mov_b32_e32 v9, v3
	v_bfe_u32 v1, v2, 23, 1
	v_mov_b32_e32 v8, v2
; %bb.3757:                             ;   in Loop: Header=BB2_3506 Depth=3
	s_or_b64 exec, exec, s[28:29]
	v_lshrrev_b64 v[8:9], 21, v[8:9]
	v_cmp_gt_i32_e64 s[28:29], 32, v1
	v_cndmask_b32_e64 v9, 0, v9, s[28:29]
	v_cndmask_b32_e64 v8, 3, v8, s[28:29]
	v_cmp_eq_u32_e64 s[28:29], 0, v1
	v_min_i32_e32 v1, 31, v1
	v_cmp_eq_u64_e64 s[40:41], 0, v[8:9]
	v_lshlrev_b32_e32 v1, 2, v1
	v_and_b32_e32 v1, 0xfc, v1
	v_and_or_b32 v1, v8, 3, v1
	s_and_b64 s[28:29], s[28:29], s[40:41]
	v_cndmask_b32_e64 v1, v1, 0, s[28:29]
	v_or_b32_e32 v25, v1, v16
.LBB2_3758:                             ;   in Loop: Header=BB2_3506 Depth=3
	s_or_b64 exec, exec, s[38:39]
                                        ; implicit-def: $vgpr16
.LBB2_3759:                             ;   in Loop: Header=BB2_3506 Depth=3
	s_andn2_saveexec_b64 s[28:29], s[36:37]
; %bb.3760:                             ;   in Loop: Header=BB2_3506 Depth=3
	v_or_b32_e32 v25, 0x7b, v16
; %bb.3761:                             ;   in Loop: Header=BB2_3506 Depth=3
	s_or_b64 exec, exec, s[28:29]
                                        ; implicit-def: $vgpr1
.LBB2_3762:                             ;   in Loop: Header=BB2_3506 Depth=3
	s_andn2_saveexec_b64 s[40:41], s[42:43]
	s_cbranch_execz .LBB2_3768
; %bb.3763:                             ;   in Loop: Header=BB2_3506 Depth=3
	v_cmp_ne_u64_e64 s[28:29], 0, v[2:3]
                                        ; implicit-def: $vgpr25
	s_and_saveexec_b64 s[42:43], s[28:29]
	s_xor_b64 s[28:29], exec, s[42:43]
; %bb.3764:                             ;   in Loop: Header=BB2_3506 Depth=3
	v_or_b32_sdwa v25, v1, s81 dst_sel:DWORD dst_unused:UNUSED_PAD src0_sel:BYTE_3 src1_sel:DWORD
                                        ; implicit-def: $vgpr1
; %bb.3765:                             ;   in Loop: Header=BB2_3506 Depth=3
	s_andn2_saveexec_b64 s[42:43], s[28:29]
; %bb.3766:                             ;   in Loop: Header=BB2_3506 Depth=3
	v_cmp_lt_i32_e64 s[28:29], -1, v1
	v_cndmask_b32_e64 v25, v0, v49, s[28:29]
; %bb.3767:                             ;   in Loop: Header=BB2_3506 Depth=3
	s_or_b64 exec, exec, s[42:43]
.LBB2_3768:                             ;   in Loop: Header=BB2_3506 Depth=3
	s_or_b64 exec, exec, s[40:41]
	v_cmp_ne_u16_sdwa s[28:29], v14, v3 src0_sel:BYTE_0 src1_sel:DWORD
	v_mov_b32_e32 v1, 0
	s_and_saveexec_b64 s[40:41], s[28:29]
	s_cbranch_execz .LBB2_3776
; %bb.3769:                             ;   in Loop: Header=BB2_3506 Depth=3
	v_cmp_ne_u16_sdwa s[28:29], sext(v14), s70 src0_sel:BYTE_0 src1_sel:DWORD
	v_bfrev_b32_e32 v1, 1
	s_and_saveexec_b64 s[42:43], s[28:29]
	s_cbranch_execz .LBB2_3775
; %bb.3770:                             ;   in Loop: Header=BB2_3506 Depth=3
	v_and_b32_e32 v1, 0x7c, v14
	v_and_b32_e32 v2, 3, v14
	v_cmp_ne_u32_e64 s[28:29], s71, v1
                                        ; implicit-def: $vgpr1
	s_and_saveexec_b64 s[36:37], s[28:29]
	s_xor_b64 s[36:37], exec, s[36:37]
	s_cbranch_execz .LBB2_3772
; %bb.3771:                             ;   in Loop: Header=BB2_3506 Depth=3
	v_ffbh_u32_e32 v8, v2
	v_min_u32_e32 v12, 32, v8
	v_subrev_u32_e32 v8, 29, v12
	v_lshlrev_b64 v[8:9], v8, v[14:15]
	v_bfe_u32 v1, v14, 2, 5
	v_and_b32_e32 v8, 3, v8
	v_cmp_eq_u32_e64 s[28:29], 0, v1
	v_sub_u32_e32 v9, 30, v12
	v_cndmask_b32_e64 v2, v2, v8, s[28:29]
	v_lshlrev_b32_e32 v8, 24, v14
	v_cndmask_b32_e64 v1, v1, v9, s[28:29]
	v_and_b32_e32 v8, 0x80000000, v8
	v_lshl_add_u32 v1, v1, 23, v8
	v_lshl_or_b32 v1, v2, 21, v1
	v_add_u32_e32 v1, 0x38000000, v1
                                        ; implicit-def: $vgpr2
.LBB2_3772:                             ;   in Loop: Header=BB2_3506 Depth=3
	s_andn2_saveexec_b64 s[36:37], s[36:37]
; %bb.3773:                             ;   in Loop: Header=BB2_3506 Depth=3
	v_cmp_gt_i16_sdwa s[28:29], sext(v14), v26 src0_sel:BYTE_0 src1_sel:DWORD
	v_cndmask_b32_e64 v1, v27, v6, s[28:29]
	v_cmp_eq_u32_e64 s[28:29], 0, v2
	v_cndmask_b32_e64 v1, v7, v1, s[28:29]
; %bb.3774:                             ;   in Loop: Header=BB2_3506 Depth=3
	s_or_b64 exec, exec, s[36:37]
.LBB2_3775:                             ;   in Loop: Header=BB2_3506 Depth=3
	s_or_b64 exec, exec, s[42:43]
.LBB2_3776:                             ;   in Loop: Header=BB2_3506 Depth=3
	s_or_b64 exec, exec, s[40:41]
	v_cmp_gt_i16_sdwa s[40:41], v10, s81 src0_sel:BYTE_0 src1_sel:DWORD
	s_mov_b64 s[28:29], 0
	s_and_saveexec_b64 s[42:43], s[40:41]
	s_xor_b64 s[40:41], exec, s[42:43]
	s_cbranch_execz .LBB2_4039
; %bb.3777:                             ;   in Loop: Header=BB2_3506 Depth=3
	v_cmp_eq_u16_sdwa s[36:37], v10, s82 src0_sel:BYTE_0 src1_sel:DWORD
	s_mov_b64 s[28:29], -1
	s_and_saveexec_b64 s[42:43], s[36:37]
; %bb.3778:                             ;   in Loop: Header=BB2_3506 Depth=3
	s_xor_b64 s[28:29], exec, -1
; %bb.3779:                             ;   in Loop: Header=BB2_3506 Depth=3
	s_or_b64 exec, exec, s[42:43]
	s_and_b64 s[28:29], s[28:29], exec
	s_or_saveexec_b64 s[40:41], s[40:41]
	v_bfrev_b32_e32 v2, 1
	s_xor_b64 exec, exec, s[40:41]
	s_cbranch_execnz .LBB2_4040
.LBB2_3780:                             ;   in Loop: Header=BB2_3506 Depth=3
	s_or_b64 exec, exec, s[40:41]
	s_and_saveexec_b64 s[36:37], s[28:29]
	s_cbranch_execz .LBB2_3782
.LBB2_3781:                             ;   in Loop: Header=BB2_3506 Depth=3
	v_and_b32_e32 v2, 3, v10
	v_and_b32_e32 v8, 0x7c, v10
	v_cmp_eq_u32_e64 s[28:29], s71, v8
	v_ffbh_u32_e32 v8, v2
	v_min_u32_e32 v13, 32, v8
	v_subrev_u32_e32 v8, 29, v13
	v_bfe_u32 v12, v10, 2, 5
	v_lshlrev_b64 v[8:9], v8, v[10:11]
	v_cmp_eq_u32_e64 s[40:41], 0, v12
	v_sub_u32_e32 v9, 30, v13
	v_cndmask_b32_e64 v9, v12, v9, s[40:41]
	v_lshlrev_b32_e32 v12, 24, v10
	v_and_b32_e32 v8, 3, v8
	v_and_b32_e32 v12, 0x80000000, v12
	v_cndmask_b32_e64 v8, v2, v8, s[40:41]
	v_lshl_add_u32 v9, v9, 23, v12
	v_cmp_gt_i16_sdwa s[42:43], sext(v10), v26 src0_sel:BYTE_0 src1_sel:DWORD
	v_lshl_or_b32 v8, v8, 21, v9
	v_cmp_eq_u32_e64 s[40:41], 0, v2
	v_cndmask_b32_e64 v2, v27, v6, s[42:43]
	v_add_u32_e32 v8, 0x38000000, v8
	v_cndmask_b32_e64 v2, v7, v2, s[40:41]
	v_cndmask_b32_e64 v2, v8, v2, s[28:29]
.LBB2_3782:                             ;   in Loop: Header=BB2_3506 Depth=3
	s_or_b64 exec, exec, s[36:37]
	v_mul_f32_e32 v1, v1, v2
	v_and_b32_e32 v8, 0x7f800000, v1
	v_mov_b32_e32 v9, v3
	v_cmp_ne_u64_e64 s[28:29], s[62:63], v[8:9]
	v_and_b32_e32 v2, 0x7fffff, v1
                                        ; implicit-def: $vgpr52
	s_and_saveexec_b64 s[40:41], s[28:29]
	s_xor_b64 s[42:43], exec, s[40:41]
	s_cbranch_execz .LBB2_3796
; %bb.3783:                             ;   in Loop: Header=BB2_3506 Depth=3
	v_and_b32_e32 v8, 0x7fffffff, v1
	v_mov_b32_e32 v9, v3
	v_cmp_gt_u64_e64 s[28:29], s[78:79], v[8:9]
	v_and_b32_sdwa v16, v1, s82 dst_sel:DWORD dst_unused:UNUSED_PAD src0_sel:BYTE_3 src1_sel:DWORD
                                        ; implicit-def: $vgpr52
	s_and_saveexec_b64 s[40:41], s[28:29]
	s_xor_b64 s[36:37], exec, s[40:41]
	s_cbranch_execz .LBB2_3793
; %bb.3784:                             ;   in Loop: Header=BB2_3506 Depth=3
	v_mov_b32_e32 v52, 0
	v_cmp_ne_u32_e64 s[28:29], 0, v1
	s_and_saveexec_b64 s[38:39], s[28:29]
	s_cbranch_execz .LBB2_3792
; %bb.3785:                             ;   in Loop: Header=BB2_3506 Depth=3
	v_bfe_u32 v1, v1, 23, 8
	v_cmp_gt_u32_e64 s[40:41], s44, v1
	v_sub_u32_e32 v8, 0x71, v1
	v_cmp_eq_u32_e64 s[28:29], 0, v1
	v_cndmask_b32_e64 v8, 0, v8, s[40:41]
	v_mov_b32_e32 v12, 0x70
	v_cndmask_b32_e64 v17, v8, v12, s[28:29]
	v_or_b32_e32 v9, 0x800000, v2
	v_add_u32_e32 v8, 21, v17
	v_cndmask_b32_e64 v2, v9, v2, s[28:29]
	v_lshlrev_b64 v[8:9], v8, -1
	v_add_u32_e32 v12, 20, v17
	v_lshlrev_b64 v[12:13], v12, 1
	v_bfi_b32 v9, v9, 0, 0
	v_bfi_b32 v8, v8, 0, v2
	v_cmp_eq_u64_e64 s[40:41], v[8:9], v[12:13]
	v_lshrrev_b64 v[8:9], v17, v[2:3]
	v_mov_b32_e32 v13, v9
	v_mov_b32_e32 v12, v8
	s_and_saveexec_b64 s[48:49], s[40:41]
; %bb.3786:                             ;   in Loop: Header=BB2_3506 Depth=3
	v_bfe_u32 v2, v8, 21, 1
	v_add_co_u32_e64 v2, s[40:41], v8, v2
	v_add_co_u32_e64 v12, s[40:41], -1, v2
; %bb.3787:                             ;   in Loop: Header=BB2_3506 Depth=3
	s_or_b64 exec, exec, s[48:49]
	v_add_u32_e32 v1, 0xffffff81, v1
	v_mov_b32_e32 v2, 0xffffff82
	v_cndmask_b32_e64 v1, v1, v2, s[28:29]
	v_lshrrev_b32_e32 v2, 23, v8
	v_add3_u32 v17, v17, v1, v2
	v_add_u32_e32 v13, 14, v17
	v_and_b32_e32 v1, 0x1fffff, v12
	v_add_u32_e32 v2, v1, v8
	v_cmp_ne_u32_e64 s[28:29], 0, v13
                                        ; implicit-def: $vgpr8_vgpr9
                                        ; implicit-def: $vgpr1
	s_and_saveexec_b64 s[40:41], s[28:29]
	s_xor_b64 s[40:41], exec, s[40:41]
; %bb.3788:                             ;   in Loop: Header=BB2_3506 Depth=3
	v_cmp_lt_u64_e64 s[28:29], s[88:89], v[2:3]
	v_add_u32_e32 v1, 15, v17
	v_cndmask_b32_e64 v8, 0, 1, s[28:29]
	v_cndmask_b32_e64 v1, v13, v1, s[28:29]
	v_lshrrev_b64 v[8:9], v8, v[2:3]
; %bb.3789:                             ;   in Loop: Header=BB2_3506 Depth=3
	s_andn2_saveexec_b64 s[28:29], s[40:41]
; %bb.3790:                             ;   in Loop: Header=BB2_3506 Depth=3
	v_mov_b32_e32 v9, v3
	v_bfe_u32 v1, v2, 23, 1
	v_mov_b32_e32 v8, v2
; %bb.3791:                             ;   in Loop: Header=BB2_3506 Depth=3
	s_or_b64 exec, exec, s[28:29]
	v_lshrrev_b64 v[8:9], 21, v[8:9]
	v_cmp_gt_i32_e64 s[28:29], 32, v1
	v_cndmask_b32_e64 v9, 0, v9, s[28:29]
	v_cndmask_b32_e64 v8, 3, v8, s[28:29]
	v_cmp_eq_u32_e64 s[28:29], 0, v1
	v_min_i32_e32 v1, 31, v1
	v_cmp_eq_u64_e64 s[40:41], 0, v[8:9]
	v_lshlrev_b32_e32 v1, 2, v1
	v_and_b32_e32 v1, 0xfc, v1
	v_and_or_b32 v1, v8, 3, v1
	s_and_b64 s[28:29], s[28:29], s[40:41]
	v_cndmask_b32_e64 v1, v1, 0, s[28:29]
	v_or_b32_e32 v52, v1, v16
.LBB2_3792:                             ;   in Loop: Header=BB2_3506 Depth=3
	s_or_b64 exec, exec, s[38:39]
                                        ; implicit-def: $vgpr16
.LBB2_3793:                             ;   in Loop: Header=BB2_3506 Depth=3
	s_andn2_saveexec_b64 s[28:29], s[36:37]
; %bb.3794:                             ;   in Loop: Header=BB2_3506 Depth=3
	v_or_b32_e32 v52, 0x7b, v16
; %bb.3795:                             ;   in Loop: Header=BB2_3506 Depth=3
	s_or_b64 exec, exec, s[28:29]
                                        ; implicit-def: $vgpr1
.LBB2_3796:                             ;   in Loop: Header=BB2_3506 Depth=3
	s_andn2_saveexec_b64 s[40:41], s[42:43]
	s_cbranch_execz .LBB2_3802
; %bb.3797:                             ;   in Loop: Header=BB2_3506 Depth=3
	v_cmp_ne_u64_e64 s[28:29], 0, v[2:3]
                                        ; implicit-def: $vgpr52
	s_and_saveexec_b64 s[42:43], s[28:29]
	s_xor_b64 s[28:29], exec, s[42:43]
; %bb.3798:                             ;   in Loop: Header=BB2_3506 Depth=3
	v_or_b32_sdwa v52, v1, s81 dst_sel:DWORD dst_unused:UNUSED_PAD src0_sel:BYTE_3 src1_sel:DWORD
                                        ; implicit-def: $vgpr1
; %bb.3799:                             ;   in Loop: Header=BB2_3506 Depth=3
	s_andn2_saveexec_b64 s[42:43], s[28:29]
; %bb.3800:                             ;   in Loop: Header=BB2_3506 Depth=3
	v_cmp_lt_i32_e64 s[28:29], -1, v1
	v_cndmask_b32_e64 v52, v0, v49, s[28:29]
; %bb.3801:                             ;   in Loop: Header=BB2_3506 Depth=3
	s_or_b64 exec, exec, s[42:43]
.LBB2_3802:                             ;   in Loop: Header=BB2_3506 Depth=3
	s_or_b64 exec, exec, s[40:41]
	v_lshrrev_b16_e32 v2, 8, v14
	v_cmp_ne_u16_e64 s[28:29], 0, v2
	v_mov_b32_e32 v1, 0
	s_and_saveexec_b64 s[40:41], s[28:29]
	s_cbranch_execz .LBB2_3810
; %bb.3803:                             ;   in Loop: Header=BB2_3506 Depth=3
	v_cmp_ne_u16_e64 s[28:29], s82, v2
	v_bfrev_b32_e32 v1, 1
	s_and_saveexec_b64 s[42:43], s[28:29]
	s_cbranch_execz .LBB2_3809
; %bb.3804:                             ;   in Loop: Header=BB2_3506 Depth=3
	v_and_b32_e32 v1, 0x7c, v2
	v_and_b32_e32 v8, 3, v2
	v_cmp_ne_u32_e64 s[28:29], s71, v1
                                        ; implicit-def: $vgpr1
	s_and_saveexec_b64 s[36:37], s[28:29]
	s_xor_b64 s[36:37], exec, s[36:37]
	s_cbranch_execz .LBB2_3806
; %bb.3805:                             ;   in Loop: Header=BB2_3506 Depth=3
	v_ffbh_u32_e32 v1, v8
	v_min_u32_e32 v12, 32, v1
	v_subrev_u32_e32 v1, 29, v12
	v_bfe_u32 v9, v2, 2, 5
	v_lshlrev_b64 v[1:2], v1, v[2:3]
	v_cmp_eq_u32_e64 s[28:29], 0, v9
	v_and_b32_e32 v1, 3, v1
	v_sub_u32_e32 v2, 30, v12
	v_cndmask_b32_e64 v1, v8, v1, s[28:29]
	v_lshlrev_b32_e32 v8, 16, v14
	v_cndmask_b32_e64 v2, v9, v2, s[28:29]
	v_and_b32_e32 v8, 0x80000000, v8
	v_lshl_add_u32 v2, v2, 23, v8
	v_lshl_or_b32 v1, v1, 21, v2
	v_add_u32_e32 v1, 0x38000000, v1
                                        ; implicit-def: $vgpr8
.LBB2_3806:                             ;   in Loop: Header=BB2_3506 Depth=3
	s_andn2_saveexec_b64 s[36:37], s[36:37]
; %bb.3807:                             ;   in Loop: Header=BB2_3506 Depth=3
	v_cmp_lt_i16_e64 s[28:29], -1, v14
	v_cndmask_b32_e64 v1, v27, v6, s[28:29]
	v_cmp_eq_u32_e64 s[28:29], 0, v8
	v_cndmask_b32_e64 v1, v7, v1, s[28:29]
; %bb.3808:                             ;   in Loop: Header=BB2_3506 Depth=3
	s_or_b64 exec, exec, s[36:37]
.LBB2_3809:                             ;   in Loop: Header=BB2_3506 Depth=3
	s_or_b64 exec, exec, s[42:43]
.LBB2_3810:                             ;   in Loop: Header=BB2_3506 Depth=3
	s_or_b64 exec, exec, s[40:41]
	v_lshrrev_b16_e32 v2, 8, v10
	v_cmp_lt_i16_e64 s[28:29], s81, v2
	s_mov_b64 s[40:41], 0
	s_and_saveexec_b64 s[42:43], s[28:29]
	s_xor_b64 s[42:43], exec, s[42:43]
	s_cbranch_execz .LBB2_4041
; %bb.3811:                             ;   in Loop: Header=BB2_3506 Depth=3
	v_cmp_eq_u16_e64 s[28:29], s82, v2
	s_mov_b64 s[40:41], -1
	s_and_saveexec_b64 s[36:37], s[28:29]
; %bb.3812:                             ;   in Loop: Header=BB2_3506 Depth=3
	s_xor_b64 s[40:41], exec, -1
; %bb.3813:                             ;   in Loop: Header=BB2_3506 Depth=3
	s_or_b64 exec, exec, s[36:37]
	s_and_b64 s[40:41], s[40:41], exec
	s_or_saveexec_b64 s[42:43], s[42:43]
	v_bfrev_b32_e32 v8, 1
	s_xor_b64 exec, exec, s[42:43]
	s_cbranch_execnz .LBB2_4042
.LBB2_3814:                             ;   in Loop: Header=BB2_3506 Depth=3
	s_or_b64 exec, exec, s[42:43]
	s_and_saveexec_b64 s[36:37], s[40:41]
	s_cbranch_execz .LBB2_3816
.LBB2_3815:                             ;   in Loop: Header=BB2_3506 Depth=3
	v_and_b32_e32 v12, 3, v2
	v_and_b32_e32 v8, 0x7c, v2
	v_cmp_eq_u32_e64 s[28:29], s71, v8
	v_ffbh_u32_e32 v8, v12
	v_min_u32_e32 v16, 32, v8
	v_subrev_u32_e32 v8, 29, v16
	v_bfe_u32 v13, v2, 2, 5
	v_lshlrev_b64 v[8:9], v8, v[2:3]
	v_cmp_eq_u32_e64 s[40:41], 0, v13
	v_sub_u32_e32 v9, 30, v16
	v_lshlrev_b32_e32 v2, 24, v2
	v_and_b32_e32 v8, 3, v8
	v_cndmask_b32_e64 v9, v13, v9, s[40:41]
	v_and_b32_e32 v2, 0x80000000, v2
	v_cndmask_b32_e64 v8, v12, v8, s[40:41]
	v_lshl_add_u32 v2, v9, 23, v2
	v_cmp_lt_i16_e64 s[42:43], -1, v10
	v_lshl_or_b32 v2, v8, 21, v2
	v_cmp_eq_u32_e64 s[40:41], 0, v12
	v_cndmask_b32_e64 v8, v27, v6, s[42:43]
	v_add_u32_e32 v2, 0x38000000, v2
	v_cndmask_b32_e64 v8, v7, v8, s[40:41]
	v_cndmask_b32_e64 v8, v2, v8, s[28:29]
.LBB2_3816:                             ;   in Loop: Header=BB2_3506 Depth=3
	s_or_b64 exec, exec, s[36:37]
	v_mul_f32_e32 v1, v1, v8
	v_and_b32_e32 v8, 0x7f800000, v1
	v_mov_b32_e32 v9, v3
	v_cmp_ne_u64_e64 s[28:29], s[62:63], v[8:9]
	v_and_b32_e32 v2, 0x7fffff, v1
                                        ; implicit-def: $vgpr40
	s_and_saveexec_b64 s[40:41], s[28:29]
	s_xor_b64 s[42:43], exec, s[40:41]
	s_cbranch_execz .LBB2_3830
; %bb.3817:                             ;   in Loop: Header=BB2_3506 Depth=3
	v_and_b32_e32 v8, 0x7fffffff, v1
	v_mov_b32_e32 v9, v3
	v_cmp_gt_u64_e64 s[28:29], s[78:79], v[8:9]
	v_and_b32_sdwa v16, v1, s82 dst_sel:DWORD dst_unused:UNUSED_PAD src0_sel:BYTE_3 src1_sel:DWORD
                                        ; implicit-def: $vgpr40
	s_and_saveexec_b64 s[40:41], s[28:29]
	s_xor_b64 s[36:37], exec, s[40:41]
	s_cbranch_execz .LBB2_3827
; %bb.3818:                             ;   in Loop: Header=BB2_3506 Depth=3
	v_mov_b32_e32 v40, 0
	v_cmp_ne_u32_e64 s[28:29], 0, v1
	s_and_saveexec_b64 s[38:39], s[28:29]
	s_cbranch_execz .LBB2_3826
; %bb.3819:                             ;   in Loop: Header=BB2_3506 Depth=3
	v_bfe_u32 v1, v1, 23, 8
	v_cmp_gt_u32_e64 s[40:41], s44, v1
	v_sub_u32_e32 v8, 0x71, v1
	v_cmp_eq_u32_e64 s[28:29], 0, v1
	v_cndmask_b32_e64 v8, 0, v8, s[40:41]
	v_mov_b32_e32 v12, 0x70
	v_cndmask_b32_e64 v17, v8, v12, s[28:29]
	v_or_b32_e32 v9, 0x800000, v2
	v_add_u32_e32 v8, 21, v17
	v_cndmask_b32_e64 v2, v9, v2, s[28:29]
	v_lshlrev_b64 v[8:9], v8, -1
	v_add_u32_e32 v12, 20, v17
	v_lshlrev_b64 v[12:13], v12, 1
	v_bfi_b32 v9, v9, 0, 0
	v_bfi_b32 v8, v8, 0, v2
	v_cmp_eq_u64_e64 s[40:41], v[8:9], v[12:13]
	v_lshrrev_b64 v[8:9], v17, v[2:3]
	v_mov_b32_e32 v13, v9
	v_mov_b32_e32 v12, v8
	s_and_saveexec_b64 s[48:49], s[40:41]
; %bb.3820:                             ;   in Loop: Header=BB2_3506 Depth=3
	v_bfe_u32 v2, v8, 21, 1
	v_add_co_u32_e64 v2, s[40:41], v8, v2
	v_add_co_u32_e64 v12, s[40:41], -1, v2
; %bb.3821:                             ;   in Loop: Header=BB2_3506 Depth=3
	s_or_b64 exec, exec, s[48:49]
	v_add_u32_e32 v1, 0xffffff81, v1
	v_mov_b32_e32 v2, 0xffffff82
	v_cndmask_b32_e64 v1, v1, v2, s[28:29]
	v_lshrrev_b32_e32 v2, 23, v8
	v_add3_u32 v17, v17, v1, v2
	v_add_u32_e32 v13, 14, v17
	v_and_b32_e32 v1, 0x1fffff, v12
	v_add_u32_e32 v2, v1, v8
	v_cmp_ne_u32_e64 s[28:29], 0, v13
                                        ; implicit-def: $vgpr8_vgpr9
                                        ; implicit-def: $vgpr1
	s_and_saveexec_b64 s[40:41], s[28:29]
	s_xor_b64 s[40:41], exec, s[40:41]
; %bb.3822:                             ;   in Loop: Header=BB2_3506 Depth=3
	v_cmp_lt_u64_e64 s[28:29], s[88:89], v[2:3]
	v_add_u32_e32 v1, 15, v17
	v_cndmask_b32_e64 v8, 0, 1, s[28:29]
	v_cndmask_b32_e64 v1, v13, v1, s[28:29]
	v_lshrrev_b64 v[8:9], v8, v[2:3]
; %bb.3823:                             ;   in Loop: Header=BB2_3506 Depth=3
	s_andn2_saveexec_b64 s[28:29], s[40:41]
; %bb.3824:                             ;   in Loop: Header=BB2_3506 Depth=3
	v_mov_b32_e32 v9, v3
	v_bfe_u32 v1, v2, 23, 1
	v_mov_b32_e32 v8, v2
; %bb.3825:                             ;   in Loop: Header=BB2_3506 Depth=3
	s_or_b64 exec, exec, s[28:29]
	v_lshrrev_b64 v[8:9], 21, v[8:9]
	v_cmp_gt_i32_e64 s[28:29], 32, v1
	v_cndmask_b32_e64 v9, 0, v9, s[28:29]
	v_cndmask_b32_e64 v8, 3, v8, s[28:29]
	v_cmp_eq_u32_e64 s[28:29], 0, v1
	v_min_i32_e32 v1, 31, v1
	v_cmp_eq_u64_e64 s[40:41], 0, v[8:9]
	v_lshlrev_b32_e32 v1, 2, v1
	v_and_b32_e32 v1, 0xfc, v1
	v_and_or_b32 v1, v8, 3, v1
	s_and_b64 s[28:29], s[28:29], s[40:41]
	v_cndmask_b32_e64 v1, v1, 0, s[28:29]
	v_or_b32_e32 v40, v1, v16
.LBB2_3826:                             ;   in Loop: Header=BB2_3506 Depth=3
	s_or_b64 exec, exec, s[38:39]
                                        ; implicit-def: $vgpr16
.LBB2_3827:                             ;   in Loop: Header=BB2_3506 Depth=3
	s_andn2_saveexec_b64 s[28:29], s[36:37]
; %bb.3828:                             ;   in Loop: Header=BB2_3506 Depth=3
	v_or_b32_e32 v40, 0x7b, v16
; %bb.3829:                             ;   in Loop: Header=BB2_3506 Depth=3
	s_or_b64 exec, exec, s[28:29]
                                        ; implicit-def: $vgpr1
.LBB2_3830:                             ;   in Loop: Header=BB2_3506 Depth=3
	s_andn2_saveexec_b64 s[40:41], s[42:43]
	s_cbranch_execz .LBB2_3836
; %bb.3831:                             ;   in Loop: Header=BB2_3506 Depth=3
	v_cmp_ne_u64_e64 s[28:29], 0, v[2:3]
                                        ; implicit-def: $vgpr40
	s_and_saveexec_b64 s[42:43], s[28:29]
	s_xor_b64 s[28:29], exec, s[42:43]
; %bb.3832:                             ;   in Loop: Header=BB2_3506 Depth=3
	v_or_b32_sdwa v40, v1, s81 dst_sel:DWORD dst_unused:UNUSED_PAD src0_sel:BYTE_3 src1_sel:DWORD
                                        ; implicit-def: $vgpr1
; %bb.3833:                             ;   in Loop: Header=BB2_3506 Depth=3
	s_andn2_saveexec_b64 s[42:43], s[28:29]
; %bb.3834:                             ;   in Loop: Header=BB2_3506 Depth=3
	v_cmp_lt_i32_e64 s[28:29], -1, v1
	v_cndmask_b32_e64 v40, v0, v49, s[28:29]
; %bb.3835:                             ;   in Loop: Header=BB2_3506 Depth=3
	s_or_b64 exec, exec, s[42:43]
.LBB2_3836:                             ;   in Loop: Header=BB2_3506 Depth=3
	s_or_b64 exec, exec, s[40:41]
	v_lshrrev_b32_e32 v2, 16, v14
	v_cmp_ne_u16_sdwa s[28:29], v2, v3 src0_sel:BYTE_0 src1_sel:DWORD
	v_mov_b32_e32 v1, 0
	s_and_saveexec_b64 s[40:41], s[28:29]
	s_cbranch_execz .LBB2_3844
; %bb.3837:                             ;   in Loop: Header=BB2_3506 Depth=3
	v_cmp_ne_u16_sdwa s[28:29], v2, s82 src0_sel:BYTE_0 src1_sel:DWORD
	v_bfrev_b32_e32 v1, 1
	s_and_saveexec_b64 s[42:43], s[28:29]
	s_cbranch_execz .LBB2_3843
; %bb.3838:                             ;   in Loop: Header=BB2_3506 Depth=3
	v_and_b32_e32 v1, 0x7c0000, v14
	v_bfe_u32 v8, v14, 16, 2
	v_cmp_ne_u32_e64 s[28:29], s45, v1
                                        ; implicit-def: $vgpr1
	s_and_saveexec_b64 s[36:37], s[28:29]
	s_xor_b64 s[36:37], exec, s[36:37]
	s_cbranch_execz .LBB2_3840
; %bb.3839:                             ;   in Loop: Header=BB2_3506 Depth=3
	v_ffbh_u32_e32 v1, v8
	v_min_u32_e32 v12, 32, v1
	v_subrev_u32_e32 v1, 29, v12
	v_lshlrev_b64 v[1:2], v1, v[2:3]
	v_bfe_u32 v9, v14, 18, 5
	v_and_b32_e32 v1, 3, v1
	v_cmp_eq_u32_e64 s[28:29], 0, v9
	v_sub_u32_e32 v2, 30, v12
	v_cndmask_b32_e64 v1, v8, v1, s[28:29]
	v_lshlrev_b32_e32 v8, 8, v14
	v_cndmask_b32_e64 v2, v9, v2, s[28:29]
	v_and_b32_e32 v8, 0x80000000, v8
	v_lshl_add_u32 v2, v2, 23, v8
	v_lshl_or_b32 v1, v1, 21, v2
	v_add_u32_e32 v1, 0x38000000, v1
                                        ; implicit-def: $vgpr8
                                        ; implicit-def: $vgpr2
.LBB2_3840:                             ;   in Loop: Header=BB2_3506 Depth=3
	s_andn2_saveexec_b64 s[36:37], s[36:37]
; %bb.3841:                             ;   in Loop: Header=BB2_3506 Depth=3
	v_cmp_gt_i16_sdwa s[28:29], sext(v2), v26 src0_sel:BYTE_0 src1_sel:DWORD
	v_cndmask_b32_e64 v1, v27, v6, s[28:29]
	v_cmp_eq_u32_e64 s[28:29], 0, v8
	v_cndmask_b32_e64 v1, v7, v1, s[28:29]
; %bb.3842:                             ;   in Loop: Header=BB2_3506 Depth=3
	s_or_b64 exec, exec, s[36:37]
.LBB2_3843:                             ;   in Loop: Header=BB2_3506 Depth=3
	s_or_b64 exec, exec, s[42:43]
.LBB2_3844:                             ;   in Loop: Header=BB2_3506 Depth=3
	s_or_b64 exec, exec, s[40:41]
	v_lshrrev_b32_e32 v2, 16, v10
	v_cmp_gt_i16_sdwa s[40:41], v2, s81 src0_sel:BYTE_0 src1_sel:DWORD
	s_mov_b64 s[28:29], 0
	s_and_saveexec_b64 s[42:43], s[40:41]
	s_xor_b64 s[40:41], exec, s[42:43]
	s_cbranch_execz .LBB2_4043
; %bb.3845:                             ;   in Loop: Header=BB2_3506 Depth=3
	v_cmp_eq_u16_sdwa s[36:37], v2, s82 src0_sel:BYTE_0 src1_sel:DWORD
	s_mov_b64 s[28:29], -1
	s_and_saveexec_b64 s[42:43], s[36:37]
; %bb.3846:                             ;   in Loop: Header=BB2_3506 Depth=3
	s_xor_b64 s[28:29], exec, -1
; %bb.3847:                             ;   in Loop: Header=BB2_3506 Depth=3
	s_or_b64 exec, exec, s[42:43]
	s_and_b64 s[28:29], s[28:29], exec
	s_or_saveexec_b64 s[40:41], s[40:41]
	v_bfrev_b32_e32 v8, 1
	s_xor_b64 exec, exec, s[40:41]
	s_cbranch_execnz .LBB2_4044
.LBB2_3848:                             ;   in Loop: Header=BB2_3506 Depth=3
	s_or_b64 exec, exec, s[40:41]
	s_and_saveexec_b64 s[36:37], s[28:29]
	s_cbranch_execz .LBB2_3850
.LBB2_3849:                             ;   in Loop: Header=BB2_3506 Depth=3
	v_and_b32_e32 v12, 3, v2
	v_and_b32_e32 v8, 0x7c0000, v10
	v_cmp_eq_u32_e64 s[28:29], s45, v8
	v_ffbh_u32_e32 v8, v12
	v_min_u32_e32 v16, 32, v8
	v_subrev_u32_e32 v8, 29, v16
	v_bfe_u32 v13, v10, 18, 5
	v_lshlrev_b64 v[8:9], v8, v[2:3]
	v_cmp_eq_u32_e64 s[40:41], 0, v13
	v_sub_u32_e32 v9, 30, v16
	v_cndmask_b32_e64 v9, v13, v9, s[40:41]
	v_lshlrev_b32_e32 v13, 24, v2
	v_and_b32_e32 v8, 3, v8
	v_and_b32_e32 v13, 0x80000000, v13
	v_cndmask_b32_e64 v8, v12, v8, s[40:41]
	v_lshl_add_u32 v9, v9, 23, v13
	v_cmp_gt_i16_sdwa s[42:43], sext(v2), v26 src0_sel:BYTE_0 src1_sel:DWORD
	v_lshl_or_b32 v8, v8, 21, v9
	v_cmp_eq_u32_e64 s[40:41], 0, v12
	v_cndmask_b32_e64 v2, v27, v6, s[42:43]
	v_add_u32_e32 v8, 0x38000000, v8
	v_cndmask_b32_e64 v2, v7, v2, s[40:41]
	v_cndmask_b32_e64 v8, v8, v2, s[28:29]
.LBB2_3850:                             ;   in Loop: Header=BB2_3506 Depth=3
	s_or_b64 exec, exec, s[36:37]
	v_mul_f32_e32 v1, v1, v8
	v_and_b32_e32 v8, 0x7f800000, v1
	v_mov_b32_e32 v9, v3
	v_cmp_ne_u64_e64 s[28:29], s[62:63], v[8:9]
	v_and_b32_e32 v2, 0x7fffff, v1
                                        ; implicit-def: $vgpr41
	s_and_saveexec_b64 s[40:41], s[28:29]
	s_xor_b64 s[42:43], exec, s[40:41]
	s_cbranch_execz .LBB2_3864
; %bb.3851:                             ;   in Loop: Header=BB2_3506 Depth=3
	v_and_b32_e32 v8, 0x7fffffff, v1
	v_mov_b32_e32 v9, v3
	v_cmp_gt_u64_e64 s[28:29], s[78:79], v[8:9]
	v_and_b32_sdwa v16, v1, s82 dst_sel:DWORD dst_unused:UNUSED_PAD src0_sel:BYTE_3 src1_sel:DWORD
                                        ; implicit-def: $vgpr41
	s_and_saveexec_b64 s[40:41], s[28:29]
	s_xor_b64 s[36:37], exec, s[40:41]
	s_cbranch_execz .LBB2_3861
; %bb.3852:                             ;   in Loop: Header=BB2_3506 Depth=3
	v_mov_b32_e32 v41, 0
	v_cmp_ne_u32_e64 s[28:29], 0, v1
	s_and_saveexec_b64 s[38:39], s[28:29]
	s_cbranch_execz .LBB2_3860
; %bb.3853:                             ;   in Loop: Header=BB2_3506 Depth=3
	v_bfe_u32 v1, v1, 23, 8
	v_cmp_gt_u32_e64 s[40:41], s44, v1
	v_sub_u32_e32 v8, 0x71, v1
	v_cmp_eq_u32_e64 s[28:29], 0, v1
	v_cndmask_b32_e64 v8, 0, v8, s[40:41]
	v_mov_b32_e32 v12, 0x70
	v_cndmask_b32_e64 v17, v8, v12, s[28:29]
	v_or_b32_e32 v9, 0x800000, v2
	v_add_u32_e32 v8, 21, v17
	v_cndmask_b32_e64 v2, v9, v2, s[28:29]
	v_lshlrev_b64 v[8:9], v8, -1
	v_add_u32_e32 v12, 20, v17
	v_lshlrev_b64 v[12:13], v12, 1
	v_bfi_b32 v9, v9, 0, 0
	v_bfi_b32 v8, v8, 0, v2
	v_cmp_eq_u64_e64 s[40:41], v[8:9], v[12:13]
	v_lshrrev_b64 v[8:9], v17, v[2:3]
	v_mov_b32_e32 v13, v9
	v_mov_b32_e32 v12, v8
	s_and_saveexec_b64 s[48:49], s[40:41]
; %bb.3854:                             ;   in Loop: Header=BB2_3506 Depth=3
	v_bfe_u32 v2, v8, 21, 1
	v_add_co_u32_e64 v2, s[40:41], v8, v2
	v_add_co_u32_e64 v12, s[40:41], -1, v2
; %bb.3855:                             ;   in Loop: Header=BB2_3506 Depth=3
	s_or_b64 exec, exec, s[48:49]
	v_add_u32_e32 v1, 0xffffff81, v1
	v_mov_b32_e32 v2, 0xffffff82
	v_cndmask_b32_e64 v1, v1, v2, s[28:29]
	v_lshrrev_b32_e32 v2, 23, v8
	v_add3_u32 v17, v17, v1, v2
	v_add_u32_e32 v13, 14, v17
	v_and_b32_e32 v1, 0x1fffff, v12
	v_add_u32_e32 v2, v1, v8
	v_cmp_ne_u32_e64 s[28:29], 0, v13
                                        ; implicit-def: $vgpr8_vgpr9
                                        ; implicit-def: $vgpr1
	s_and_saveexec_b64 s[40:41], s[28:29]
	s_xor_b64 s[40:41], exec, s[40:41]
; %bb.3856:                             ;   in Loop: Header=BB2_3506 Depth=3
	v_cmp_lt_u64_e64 s[28:29], s[88:89], v[2:3]
	v_add_u32_e32 v1, 15, v17
	v_cndmask_b32_e64 v8, 0, 1, s[28:29]
	v_cndmask_b32_e64 v1, v13, v1, s[28:29]
	v_lshrrev_b64 v[8:9], v8, v[2:3]
; %bb.3857:                             ;   in Loop: Header=BB2_3506 Depth=3
	s_andn2_saveexec_b64 s[28:29], s[40:41]
; %bb.3858:                             ;   in Loop: Header=BB2_3506 Depth=3
	v_mov_b32_e32 v9, v3
	v_bfe_u32 v1, v2, 23, 1
	v_mov_b32_e32 v8, v2
; %bb.3859:                             ;   in Loop: Header=BB2_3506 Depth=3
	s_or_b64 exec, exec, s[28:29]
	v_lshrrev_b64 v[8:9], 21, v[8:9]
	v_cmp_gt_i32_e64 s[28:29], 32, v1
	v_cndmask_b32_e64 v9, 0, v9, s[28:29]
	v_cndmask_b32_e64 v8, 3, v8, s[28:29]
	v_cmp_eq_u32_e64 s[28:29], 0, v1
	v_min_i32_e32 v1, 31, v1
	v_cmp_eq_u64_e64 s[40:41], 0, v[8:9]
	v_lshlrev_b32_e32 v1, 2, v1
	v_and_b32_e32 v1, 0xfc, v1
	v_and_or_b32 v1, v8, 3, v1
	s_and_b64 s[28:29], s[28:29], s[40:41]
	v_cndmask_b32_e64 v1, v1, 0, s[28:29]
	v_or_b32_e32 v41, v1, v16
.LBB2_3860:                             ;   in Loop: Header=BB2_3506 Depth=3
	s_or_b64 exec, exec, s[38:39]
                                        ; implicit-def: $vgpr16
.LBB2_3861:                             ;   in Loop: Header=BB2_3506 Depth=3
	s_andn2_saveexec_b64 s[28:29], s[36:37]
; %bb.3862:                             ;   in Loop: Header=BB2_3506 Depth=3
	v_or_b32_e32 v41, 0x7b, v16
; %bb.3863:                             ;   in Loop: Header=BB2_3506 Depth=3
	s_or_b64 exec, exec, s[28:29]
                                        ; implicit-def: $vgpr1
.LBB2_3864:                             ;   in Loop: Header=BB2_3506 Depth=3
	s_andn2_saveexec_b64 s[40:41], s[42:43]
	s_cbranch_execz .LBB2_3870
; %bb.3865:                             ;   in Loop: Header=BB2_3506 Depth=3
	v_cmp_ne_u64_e64 s[28:29], 0, v[2:3]
                                        ; implicit-def: $vgpr41
	s_and_saveexec_b64 s[42:43], s[28:29]
	s_xor_b64 s[28:29], exec, s[42:43]
; %bb.3866:                             ;   in Loop: Header=BB2_3506 Depth=3
	v_or_b32_sdwa v41, v1, s81 dst_sel:DWORD dst_unused:UNUSED_PAD src0_sel:BYTE_3 src1_sel:DWORD
                                        ; implicit-def: $vgpr1
; %bb.3867:                             ;   in Loop: Header=BB2_3506 Depth=3
	s_andn2_saveexec_b64 s[42:43], s[28:29]
; %bb.3868:                             ;   in Loop: Header=BB2_3506 Depth=3
	v_cmp_lt_i32_e64 s[28:29], -1, v1
	v_cndmask_b32_e64 v41, v0, v49, s[28:29]
; %bb.3869:                             ;   in Loop: Header=BB2_3506 Depth=3
	s_or_b64 exec, exec, s[42:43]
.LBB2_3870:                             ;   in Loop: Header=BB2_3506 Depth=3
	s_or_b64 exec, exec, s[40:41]
	v_cmp_lt_u32_e64 s[28:29], s57, v14
	v_mov_b32_e32 v1, 0
	s_and_saveexec_b64 s[40:41], s[28:29]
	s_cbranch_execz .LBB2_3878
; %bb.3871:                             ;   in Loop: Header=BB2_3506 Depth=3
	v_lshrrev_b32_e32 v2, 24, v14
	v_cmp_ne_u32_e64 s[28:29], s82, v2
	v_bfrev_b32_e32 v1, 1
	s_and_saveexec_b64 s[42:43], s[28:29]
	s_cbranch_execz .LBB2_3877
; %bb.3872:                             ;   in Loop: Header=BB2_3506 Depth=3
	v_and_b32_e32 v1, 0x7c000000, v14
	v_bfe_u32 v8, v14, 24, 2
	v_cmp_ne_u32_e64 s[28:29], s83, v1
                                        ; implicit-def: $vgpr1
	s_and_saveexec_b64 s[36:37], s[28:29]
	s_xor_b64 s[36:37], exec, s[36:37]
	s_cbranch_execz .LBB2_3874
; %bb.3873:                             ;   in Loop: Header=BB2_3506 Depth=3
	v_ffbh_u32_e32 v1, v8
	v_min_u32_e32 v12, 32, v1
	v_subrev_u32_e32 v1, 29, v12
	v_lshlrev_b64 v[1:2], v1, v[2:3]
	v_bfe_u32 v9, v14, 26, 5
	v_sub_u32_e32 v2, 30, v12
	v_and_b32_e32 v1, 3, v1
	v_cmp_eq_u32_e64 s[28:29], 0, v9
	v_cndmask_b32_e64 v2, v9, v2, s[28:29]
	v_cndmask_b32_e64 v1, v8, v1, s[28:29]
	v_and_b32_e32 v8, 0x80000000, v14
	v_lshl_add_u32 v2, v2, 23, v8
	v_lshl_or_b32 v1, v1, 21, v2
	v_add_u32_e32 v1, 0x38000000, v1
                                        ; implicit-def: $vgpr8
.LBB2_3874:                             ;   in Loop: Header=BB2_3506 Depth=3
	s_andn2_saveexec_b64 s[36:37], s[36:37]
; %bb.3875:                             ;   in Loop: Header=BB2_3506 Depth=3
	v_cmp_lt_i32_e64 s[28:29], -1, v14
	v_cndmask_b32_e64 v1, v27, v6, s[28:29]
	v_cmp_eq_u32_e64 s[28:29], 0, v8
	v_cndmask_b32_e64 v1, v7, v1, s[28:29]
; %bb.3876:                             ;   in Loop: Header=BB2_3506 Depth=3
	s_or_b64 exec, exec, s[36:37]
.LBB2_3877:                             ;   in Loop: Header=BB2_3506 Depth=3
	s_or_b64 exec, exec, s[42:43]
.LBB2_3878:                             ;   in Loop: Header=BB2_3506 Depth=3
	s_or_b64 exec, exec, s[40:41]
	v_bfe_u32 v12, v10, 24, 2
	v_and_b32_e32 v8, 0x7c000000, v10
	v_cmp_eq_u32_e64 s[28:29], s83, v8
	v_ffbh_u32_e32 v8, v12
	v_min_u32_e32 v16, 32, v8
	v_lshrrev_b32_e32 v2, 24, v10
	v_subrev_u32_e32 v8, 29, v16
	v_bfe_u32 v13, v10, 26, 5
	v_lshlrev_b64 v[8:9], v8, v[2:3]
	v_cmp_eq_u32_e64 s[40:41], 0, v13
	v_sub_u32_e32 v9, 30, v16
	v_and_b32_e32 v8, 3, v8
	v_cndmask_b32_e64 v9, v13, v9, s[40:41]
	v_and_b32_e32 v13, 0x80000000, v10
	v_cndmask_b32_e64 v8, v12, v8, s[40:41]
	v_lshl_add_u32 v9, v9, 23, v13
	v_cmp_lt_i32_e64 s[42:43], -1, v10
	v_lshl_or_b32 v8, v8, 21, v9
	v_cmp_eq_u32_e64 s[40:41], 0, v12
	v_cndmask_b32_e64 v9, v27, v6, s[42:43]
	v_add_u32_e32 v8, 0x38000000, v8
	v_cndmask_b32_e64 v9, v7, v9, s[40:41]
	v_cndmask_b32_e64 v8, v8, v9, s[28:29]
	v_cmp_ne_u32_e64 s[28:29], s82, v2
	v_cndmask_b32_e64 v2, v53, v8, s[28:29]
	v_cmp_lt_u32_e64 s[28:29], s57, v10
	v_cndmask_b32_e64 v2, 0, v2, s[28:29]
	v_mul_f32_e32 v1, v2, v1
	v_and_b32_e32 v8, 0x7f800000, v1
	v_mov_b32_e32 v9, v3
	v_cmp_ne_u64_e64 s[28:29], s[62:63], v[8:9]
	v_and_b32_e32 v2, 0x7fffff, v1
                                        ; implicit-def: $vgpr42
	s_and_saveexec_b64 s[40:41], s[28:29]
	s_xor_b64 s[42:43], exec, s[40:41]
	s_cbranch_execz .LBB2_3892
; %bb.3879:                             ;   in Loop: Header=BB2_3506 Depth=3
	v_and_b32_e32 v8, 0x7fffffff, v1
	v_mov_b32_e32 v9, v3
	v_cmp_gt_u64_e64 s[28:29], s[78:79], v[8:9]
	v_and_b32_sdwa v16, v1, s82 dst_sel:DWORD dst_unused:UNUSED_PAD src0_sel:BYTE_3 src1_sel:DWORD
                                        ; implicit-def: $vgpr42
	s_and_saveexec_b64 s[40:41], s[28:29]
	s_xor_b64 s[36:37], exec, s[40:41]
	s_cbranch_execz .LBB2_3889
; %bb.3880:                             ;   in Loop: Header=BB2_3506 Depth=3
	v_mov_b32_e32 v42, 0
	v_cmp_ne_u32_e64 s[28:29], 0, v1
	s_and_saveexec_b64 s[38:39], s[28:29]
	s_cbranch_execz .LBB2_3888
; %bb.3881:                             ;   in Loop: Header=BB2_3506 Depth=3
	v_bfe_u32 v1, v1, 23, 8
	v_cmp_gt_u32_e64 s[40:41], s44, v1
	v_sub_u32_e32 v8, 0x71, v1
	v_cmp_eq_u32_e64 s[28:29], 0, v1
	v_cndmask_b32_e64 v8, 0, v8, s[40:41]
	v_mov_b32_e32 v12, 0x70
	v_cndmask_b32_e64 v17, v8, v12, s[28:29]
	v_or_b32_e32 v9, 0x800000, v2
	v_add_u32_e32 v8, 21, v17
	v_cndmask_b32_e64 v2, v9, v2, s[28:29]
	v_lshlrev_b64 v[8:9], v8, -1
	v_add_u32_e32 v12, 20, v17
	v_lshlrev_b64 v[12:13], v12, 1
	v_bfi_b32 v9, v9, 0, 0
	v_bfi_b32 v8, v8, 0, v2
	v_cmp_eq_u64_e64 s[40:41], v[8:9], v[12:13]
	v_lshrrev_b64 v[8:9], v17, v[2:3]
	v_mov_b32_e32 v13, v9
	v_mov_b32_e32 v12, v8
	s_and_saveexec_b64 s[48:49], s[40:41]
; %bb.3882:                             ;   in Loop: Header=BB2_3506 Depth=3
	v_bfe_u32 v2, v8, 21, 1
	v_add_co_u32_e64 v2, s[40:41], v8, v2
	v_add_co_u32_e64 v12, s[40:41], -1, v2
; %bb.3883:                             ;   in Loop: Header=BB2_3506 Depth=3
	s_or_b64 exec, exec, s[48:49]
	v_add_u32_e32 v1, 0xffffff81, v1
	v_mov_b32_e32 v2, 0xffffff82
	v_cndmask_b32_e64 v1, v1, v2, s[28:29]
	v_lshrrev_b32_e32 v2, 23, v8
	v_add3_u32 v17, v17, v1, v2
	v_add_u32_e32 v13, 14, v17
	v_and_b32_e32 v1, 0x1fffff, v12
	v_add_u32_e32 v2, v1, v8
	v_cmp_ne_u32_e64 s[28:29], 0, v13
                                        ; implicit-def: $vgpr8_vgpr9
                                        ; implicit-def: $vgpr1
	s_and_saveexec_b64 s[40:41], s[28:29]
	s_xor_b64 s[40:41], exec, s[40:41]
; %bb.3884:                             ;   in Loop: Header=BB2_3506 Depth=3
	v_cmp_lt_u64_e64 s[28:29], s[88:89], v[2:3]
	v_add_u32_e32 v1, 15, v17
	v_cndmask_b32_e64 v8, 0, 1, s[28:29]
	v_cndmask_b32_e64 v1, v13, v1, s[28:29]
	v_lshrrev_b64 v[8:9], v8, v[2:3]
; %bb.3885:                             ;   in Loop: Header=BB2_3506 Depth=3
	s_andn2_saveexec_b64 s[28:29], s[40:41]
; %bb.3886:                             ;   in Loop: Header=BB2_3506 Depth=3
	v_mov_b32_e32 v9, v3
	v_bfe_u32 v1, v2, 23, 1
	v_mov_b32_e32 v8, v2
; %bb.3887:                             ;   in Loop: Header=BB2_3506 Depth=3
	s_or_b64 exec, exec, s[28:29]
	v_lshrrev_b64 v[8:9], 21, v[8:9]
	v_cmp_gt_i32_e64 s[28:29], 32, v1
	v_cndmask_b32_e64 v9, 0, v9, s[28:29]
	v_cndmask_b32_e64 v8, 3, v8, s[28:29]
	v_cmp_eq_u32_e64 s[28:29], 0, v1
	v_min_i32_e32 v1, 31, v1
	v_cmp_eq_u64_e64 s[40:41], 0, v[8:9]
	v_lshlrev_b32_e32 v1, 2, v1
	v_and_b32_e32 v1, 0xfc, v1
	v_and_or_b32 v1, v8, 3, v1
	s_and_b64 s[28:29], s[28:29], s[40:41]
	v_cndmask_b32_e64 v1, v1, 0, s[28:29]
	v_or_b32_e32 v42, v1, v16
.LBB2_3888:                             ;   in Loop: Header=BB2_3506 Depth=3
	s_or_b64 exec, exec, s[38:39]
                                        ; implicit-def: $vgpr16
.LBB2_3889:                             ;   in Loop: Header=BB2_3506 Depth=3
	s_andn2_saveexec_b64 s[28:29], s[36:37]
; %bb.3890:                             ;   in Loop: Header=BB2_3506 Depth=3
	v_or_b32_e32 v42, 0x7b, v16
; %bb.3891:                             ;   in Loop: Header=BB2_3506 Depth=3
	s_or_b64 exec, exec, s[28:29]
                                        ; implicit-def: $vgpr1
.LBB2_3892:                             ;   in Loop: Header=BB2_3506 Depth=3
	s_andn2_saveexec_b64 s[40:41], s[42:43]
	s_cbranch_execz .LBB2_3898
; %bb.3893:                             ;   in Loop: Header=BB2_3506 Depth=3
	v_cmp_ne_u64_e64 s[28:29], 0, v[2:3]
                                        ; implicit-def: $vgpr42
	s_and_saveexec_b64 s[42:43], s[28:29]
	s_xor_b64 s[28:29], exec, s[42:43]
; %bb.3894:                             ;   in Loop: Header=BB2_3506 Depth=3
	v_or_b32_sdwa v42, v1, s81 dst_sel:DWORD dst_unused:UNUSED_PAD src0_sel:BYTE_3 src1_sel:DWORD
                                        ; implicit-def: $vgpr1
; %bb.3895:                             ;   in Loop: Header=BB2_3506 Depth=3
	s_andn2_saveexec_b64 s[42:43], s[28:29]
; %bb.3896:                             ;   in Loop: Header=BB2_3506 Depth=3
	v_cmp_lt_i32_e64 s[28:29], -1, v1
	v_cndmask_b32_e64 v42, v0, v49, s[28:29]
; %bb.3897:                             ;   in Loop: Header=BB2_3506 Depth=3
	s_or_b64 exec, exec, s[42:43]
.LBB2_3898:                             ;   in Loop: Header=BB2_3506 Depth=3
	s_or_b64 exec, exec, s[40:41]
	v_mov_b32_e32 v2, v15
	v_cmp_ne_u16_sdwa s[28:29], v15, v3 src0_sel:BYTE_0 src1_sel:DWORD
	v_mov_b32_e32 v1, 0
	s_and_saveexec_b64 s[40:41], s[28:29]
	s_cbranch_execz .LBB2_3906
; %bb.3899:                             ;   in Loop: Header=BB2_3506 Depth=3
	v_cmp_ne_u16_sdwa s[28:29], v15, s82 src0_sel:BYTE_0 src1_sel:DWORD
	v_bfrev_b32_e32 v1, 1
	s_and_saveexec_b64 s[42:43], s[28:29]
	s_cbranch_execz .LBB2_3905
; %bb.3900:                             ;   in Loop: Header=BB2_3506 Depth=3
	v_and_b32_e32 v1, 0x7c, v15
	v_and_b32_e32 v8, 3, v15
	v_cmp_ne_u32_e64 s[28:29], s71, v1
                                        ; implicit-def: $vgpr1
	s_and_saveexec_b64 s[36:37], s[28:29]
	s_xor_b64 s[36:37], exec, s[36:37]
	s_cbranch_execz .LBB2_3902
; %bb.3901:                             ;   in Loop: Header=BB2_3506 Depth=3
	v_ffbh_u32_e32 v9, v8
	v_min_u32_e32 v9, 32, v9
	v_bfe_u32 v1, v15, 2, 5
	v_subrev_u32_e32 v12, 29, v9
	v_lshlrev_b64 v[12:13], v12, v[2:3]
	v_sub_u32_e32 v9, 30, v9
	v_cmp_eq_u32_e64 s[28:29], 0, v1
	v_cndmask_b32_e64 v1, v1, v9, s[28:29]
	v_lshlrev_b32_e32 v9, 24, v15
	v_and_b32_e32 v12, 3, v12
	v_and_b32_e32 v9, 0x80000000, v9
	v_cndmask_b32_e64 v8, v8, v12, s[28:29]
	v_lshl_add_u32 v1, v1, 23, v9
	v_lshl_or_b32 v1, v8, 21, v1
	v_add_u32_e32 v1, 0x38000000, v1
                                        ; implicit-def: $vgpr8
.LBB2_3902:                             ;   in Loop: Header=BB2_3506 Depth=3
	s_andn2_saveexec_b64 s[36:37], s[36:37]
; %bb.3903:                             ;   in Loop: Header=BB2_3506 Depth=3
	v_cmp_gt_i16_sdwa s[28:29], sext(v15), v26 src0_sel:BYTE_0 src1_sel:DWORD
	v_cndmask_b32_e64 v1, v27, v6, s[28:29]
	v_cmp_eq_u32_e64 s[28:29], 0, v8
	v_cndmask_b32_e64 v1, v7, v1, s[28:29]
; %bb.3904:                             ;   in Loop: Header=BB2_3506 Depth=3
	s_or_b64 exec, exec, s[36:37]
.LBB2_3905:                             ;   in Loop: Header=BB2_3506 Depth=3
	s_or_b64 exec, exec, s[42:43]
.LBB2_3906:                             ;   in Loop: Header=BB2_3506 Depth=3
	s_or_b64 exec, exec, s[40:41]
	v_cmp_gt_i16_sdwa s[40:41], v11, s81 src0_sel:BYTE_0 src1_sel:DWORD
	s_mov_b64 s[28:29], 0
	s_and_saveexec_b64 s[42:43], s[40:41]
	s_xor_b64 s[40:41], exec, s[42:43]
	s_cbranch_execz .LBB2_3910
; %bb.3907:                             ;   in Loop: Header=BB2_3506 Depth=3
	v_cmp_eq_u16_sdwa s[36:37], v11, s82 src0_sel:BYTE_0 src1_sel:DWORD
	s_mov_b64 s[28:29], -1
	s_and_saveexec_b64 s[42:43], s[36:37]
; %bb.3908:                             ;   in Loop: Header=BB2_3506 Depth=3
	s_xor_b64 s[28:29], exec, -1
; %bb.3909:                             ;   in Loop: Header=BB2_3506 Depth=3
	s_or_b64 exec, exec, s[42:43]
	s_and_b64 s[28:29], s[28:29], exec
.LBB2_3910:                             ;   in Loop: Header=BB2_3506 Depth=3
	s_or_saveexec_b64 s[40:41], s[40:41]
	v_bfrev_b32_e32 v12, 1
	s_xor_b64 exec, exec, s[40:41]
; %bb.3911:                             ;   in Loop: Header=BB2_3506 Depth=3
	v_cmp_ne_u16_sdwa s[42:43], v11, v3 src0_sel:BYTE_0 src1_sel:DWORD
	s_andn2_b64 s[28:29], s[28:29], exec
	s_and_b64 s[42:43], s[42:43], exec
	v_mov_b32_e32 v12, 0
	s_or_b64 s[28:29], s[28:29], s[42:43]
; %bb.3912:                             ;   in Loop: Header=BB2_3506 Depth=3
	s_or_b64 exec, exec, s[40:41]
	v_mov_b32_e32 v8, v11
	v_mov_b32_e32 v9, v3
	s_and_saveexec_b64 s[36:37], s[28:29]
	s_cbranch_execz .LBB2_3914
; %bb.3913:                             ;   in Loop: Header=BB2_3506 Depth=3
	v_and_b32_e32 v16, 3, v11
	v_and_b32_e32 v12, 0x7c, v11
	v_cmp_eq_u32_e64 s[28:29], s71, v12
	v_ffbh_u32_e32 v12, v16
	v_min_u32_e32 v39, 32, v12
	v_subrev_u32_e32 v12, 29, v39
	v_bfe_u32 v17, v11, 2, 5
	v_lshlrev_b64 v[12:13], v12, v[8:9]
	v_cmp_eq_u32_e64 s[40:41], 0, v17
	v_sub_u32_e32 v9, 30, v39
	v_lshlrev_b32_e32 v13, 24, v11
	v_and_b32_e32 v12, 3, v12
	v_cndmask_b32_e64 v9, v17, v9, s[40:41]
	v_and_b32_e32 v13, 0x80000000, v13
	v_cndmask_b32_e64 v12, v16, v12, s[40:41]
	v_lshl_add_u32 v9, v9, 23, v13
	v_cmp_gt_i16_sdwa s[42:43], sext(v11), v26 src0_sel:BYTE_0 src1_sel:DWORD
	v_lshl_or_b32 v9, v12, 21, v9
	v_cmp_eq_u32_e64 s[40:41], 0, v16
	v_cndmask_b32_e64 v12, v27, v6, s[42:43]
	v_add_u32_e32 v9, 0x38000000, v9
	v_cndmask_b32_e64 v12, v7, v12, s[40:41]
	v_cndmask_b32_e64 v12, v9, v12, s[28:29]
.LBB2_3914:                             ;   in Loop: Header=BB2_3506 Depth=3
	s_or_b64 exec, exec, s[36:37]
	v_mul_f32_e32 v1, v1, v12
	v_and_b32_e32 v16, 0x7f800000, v1
	v_mov_b32_e32 v17, v3
	v_cmp_ne_u64_e64 s[28:29], s[62:63], v[16:17]
	v_and_b32_e32 v12, 0x7fffff, v1
	v_mov_b32_e32 v13, v3
                                        ; implicit-def: $vgpr16
	s_and_saveexec_b64 s[40:41], s[28:29]
	s_xor_b64 s[42:43], exec, s[40:41]
	s_cbranch_execz .LBB2_3928
; %bb.3915:                             ;   in Loop: Header=BB2_3506 Depth=3
	v_and_b32_e32 v16, 0x7fffffff, v1
	v_mov_b32_e32 v17, v3
	v_cmp_gt_u64_e64 s[28:29], s[78:79], v[16:17]
	v_and_b32_sdwa v9, v1, s82 dst_sel:DWORD dst_unused:UNUSED_PAD src0_sel:BYTE_3 src1_sel:DWORD
                                        ; implicit-def: $vgpr16
	s_and_saveexec_b64 s[40:41], s[28:29]
	s_xor_b64 s[36:37], exec, s[40:41]
	s_cbranch_execz .LBB2_3925
; %bb.3916:                             ;   in Loop: Header=BB2_3506 Depth=3
	v_mov_b32_e32 v16, 0
	v_cmp_ne_u32_e64 s[28:29], 0, v1
	s_and_saveexec_b64 s[38:39], s[28:29]
	s_cbranch_execz .LBB2_3924
; %bb.3917:                             ;   in Loop: Header=BB2_3506 Depth=3
	v_bfe_u32 v1, v1, 23, 8
	v_cmp_gt_u32_e64 s[40:41], s44, v1
	v_sub_u32_e32 v16, 0x71, v1
	v_cmp_eq_u32_e64 s[28:29], 0, v1
	v_cndmask_b32_e64 v16, 0, v16, s[40:41]
	v_mov_b32_e32 v39, 0x70
	v_cndmask_b32_e64 v39, v16, v39, s[28:29]
	v_or_b32_e32 v17, 0x800000, v12
	v_add_u32_e32 v16, 21, v39
	v_cndmask_b32_e64 v12, v17, v12, s[28:29]
	v_lshlrev_b64 v[16:17], v16, -1
	v_add_u32_e32 v43, 20, v39
	v_bfi_b32 v16, v16, 0, v12
	v_lshlrev_b64 v[57:58], v43, 1
	v_lshrrev_b64 v[12:13], v39, v[12:13]
	v_bfi_b32 v17, v17, 0, 0
	v_cmp_eq_u64_e64 s[40:41], v[16:17], v[57:58]
	v_mov_b32_e32 v17, v13
	v_mov_b32_e32 v16, v12
	s_and_saveexec_b64 s[48:49], s[40:41]
; %bb.3918:                             ;   in Loop: Header=BB2_3506 Depth=3
	v_bfe_u32 v13, v12, 21, 1
	v_add_co_u32_e64 v13, s[40:41], v12, v13
	v_add_co_u32_e64 v16, s[40:41], -1, v13
; %bb.3919:                             ;   in Loop: Header=BB2_3506 Depth=3
	s_or_b64 exec, exec, s[48:49]
	v_add_u32_e32 v1, 0xffffff81, v1
	v_mov_b32_e32 v13, 0xffffff82
	v_cndmask_b32_e64 v1, v1, v13, s[28:29]
	v_lshrrev_b32_e32 v13, 23, v12
	v_add3_u32 v39, v39, v1, v13
	v_add_u32_e32 v17, 14, v39
	v_and_b32_e32 v1, 0x1fffff, v16
	v_add_u32_e32 v12, v1, v12
	v_mov_b32_e32 v13, v3
	v_cmp_ne_u32_e64 s[28:29], 0, v17
                                        ; implicit-def: $vgpr1
	s_and_saveexec_b64 s[40:41], s[28:29]
	s_xor_b64 s[40:41], exec, s[40:41]
; %bb.3920:                             ;   in Loop: Header=BB2_3506 Depth=3
	v_cmp_lt_u64_e64 s[28:29], s[88:89], v[12:13]
	v_add_u32_e32 v1, 15, v39
	v_cndmask_b32_e64 v16, 0, 1, s[28:29]
	v_cndmask_b32_e64 v1, v17, v1, s[28:29]
	v_lshrrev_b64 v[12:13], v16, v[12:13]
; %bb.3921:                             ;   in Loop: Header=BB2_3506 Depth=3
	s_andn2_saveexec_b64 s[28:29], s[40:41]
; %bb.3922:                             ;   in Loop: Header=BB2_3506 Depth=3
	v_bfe_u32 v1, v12, 23, 1
; %bb.3923:                             ;   in Loop: Header=BB2_3506 Depth=3
	s_or_b64 exec, exec, s[28:29]
	v_lshrrev_b64 v[12:13], 21, v[12:13]
	v_cmp_gt_i32_e64 s[28:29], 32, v1
	v_cndmask_b32_e64 v13, 0, v13, s[28:29]
	v_cndmask_b32_e64 v12, 3, v12, s[28:29]
	v_cmp_eq_u32_e64 s[28:29], 0, v1
	v_min_i32_e32 v1, 31, v1
	v_cmp_eq_u64_e64 s[40:41], 0, v[12:13]
	v_lshlrev_b32_e32 v1, 2, v1
	v_and_b32_e32 v1, 0xfc, v1
	v_and_or_b32 v1, v12, 3, v1
	s_and_b64 s[28:29], s[28:29], s[40:41]
	v_cndmask_b32_e64 v1, v1, 0, s[28:29]
	v_or_b32_e32 v16, v1, v9
.LBB2_3924:                             ;   in Loop: Header=BB2_3506 Depth=3
	s_or_b64 exec, exec, s[38:39]
                                        ; implicit-def: $vgpr9
.LBB2_3925:                             ;   in Loop: Header=BB2_3506 Depth=3
	s_andn2_saveexec_b64 s[28:29], s[36:37]
; %bb.3926:                             ;   in Loop: Header=BB2_3506 Depth=3
	v_or_b32_e32 v16, 0x7b, v9
; %bb.3927:                             ;   in Loop: Header=BB2_3506 Depth=3
	s_or_b64 exec, exec, s[28:29]
                                        ; implicit-def: $vgpr1
                                        ; implicit-def: $vgpr12_vgpr13
.LBB2_3928:                             ;   in Loop: Header=BB2_3506 Depth=3
	s_andn2_saveexec_b64 s[40:41], s[42:43]
	s_cbranch_execz .LBB2_3934
; %bb.3929:                             ;   in Loop: Header=BB2_3506 Depth=3
	v_cmp_ne_u64_e64 s[28:29], 0, v[12:13]
                                        ; implicit-def: $vgpr16
	s_and_saveexec_b64 s[42:43], s[28:29]
	s_xor_b64 s[28:29], exec, s[42:43]
; %bb.3930:                             ;   in Loop: Header=BB2_3506 Depth=3
	v_or_b32_sdwa v16, v1, s81 dst_sel:DWORD dst_unused:UNUSED_PAD src0_sel:BYTE_3 src1_sel:DWORD
                                        ; implicit-def: $vgpr1
; %bb.3931:                             ;   in Loop: Header=BB2_3506 Depth=3
	s_andn2_saveexec_b64 s[42:43], s[28:29]
; %bb.3932:                             ;   in Loop: Header=BB2_3506 Depth=3
	v_cmp_lt_i32_e64 s[28:29], -1, v1
	v_cndmask_b32_e64 v16, v0, v49, s[28:29]
; %bb.3933:                             ;   in Loop: Header=BB2_3506 Depth=3
	s_or_b64 exec, exec, s[42:43]
.LBB2_3934:                             ;   in Loop: Header=BB2_3506 Depth=3
	s_or_b64 exec, exec, s[40:41]
	v_lshrrev_b16_e32 v12, 8, v2
	v_cmp_ne_u16_e64 s[28:29], 0, v12
	v_mov_b32_e32 v1, 0
	s_and_saveexec_b64 s[40:41], s[28:29]
	s_cbranch_execz .LBB2_3942
; %bb.3935:                             ;   in Loop: Header=BB2_3506 Depth=3
	v_cmp_ne_u16_e64 s[28:29], s82, v12
	v_bfrev_b32_e32 v1, 1
	s_and_saveexec_b64 s[42:43], s[28:29]
	s_cbranch_execz .LBB2_3941
; %bb.3936:                             ;   in Loop: Header=BB2_3506 Depth=3
	v_and_b32_e32 v1, 0x7c, v12
	v_and_b32_e32 v9, 3, v12
	v_cmp_ne_u32_e64 s[28:29], s71, v1
                                        ; implicit-def: $vgpr1
	s_and_saveexec_b64 s[36:37], s[28:29]
	s_xor_b64 s[36:37], exec, s[36:37]
	s_cbranch_execz .LBB2_3938
; %bb.3937:                             ;   in Loop: Header=BB2_3506 Depth=3
	v_ffbh_u32_e32 v17, v9
	v_min_u32_e32 v17, 32, v17
	v_mov_b32_e32 v13, v3
	v_subrev_u32_e32 v39, 29, v17
	v_bfe_u32 v1, v12, 2, 5
	v_lshlrev_b64 v[12:13], v39, v[12:13]
	v_sub_u32_e32 v13, 30, v17
	v_cmp_eq_u32_e64 s[28:29], 0, v1
	v_lshlrev_b32_e32 v2, 16, v2
	v_and_b32_e32 v12, 3, v12
	v_cndmask_b32_e64 v1, v1, v13, s[28:29]
	v_and_b32_e32 v2, 0x80000000, v2
	v_cndmask_b32_e64 v9, v9, v12, s[28:29]
	v_lshl_add_u32 v1, v1, 23, v2
	v_lshl_or_b32 v1, v9, 21, v1
	v_add_u32_e32 v1, 0x38000000, v1
                                        ; implicit-def: $vgpr9
.LBB2_3938:                             ;   in Loop: Header=BB2_3506 Depth=3
	s_andn2_saveexec_b64 s[36:37], s[36:37]
; %bb.3939:                             ;   in Loop: Header=BB2_3506 Depth=3
	v_cmp_lt_i16_e64 s[28:29], -1, v2
	v_cndmask_b32_e64 v1, v27, v6, s[28:29]
	v_cmp_eq_u32_e64 s[28:29], 0, v9
	v_cndmask_b32_e64 v1, v7, v1, s[28:29]
; %bb.3940:                             ;   in Loop: Header=BB2_3506 Depth=3
	s_or_b64 exec, exec, s[36:37]
.LBB2_3941:                             ;   in Loop: Header=BB2_3506 Depth=3
	s_or_b64 exec, exec, s[42:43]
.LBB2_3942:                             ;   in Loop: Header=BB2_3506 Depth=3
	s_or_b64 exec, exec, s[40:41]
	v_lshrrev_b16_e32 v2, 8, v8
	v_cmp_lt_i16_e64 s[28:29], s81, v2
	s_mov_b64 s[40:41], 0
	s_and_saveexec_b64 s[42:43], s[28:29]
	s_xor_b64 s[42:43], exec, s[42:43]
	s_cbranch_execz .LBB2_4045
; %bb.3943:                             ;   in Loop: Header=BB2_3506 Depth=3
	v_cmp_eq_u16_e64 s[28:29], s82, v2
	s_mov_b64 s[40:41], -1
	s_and_saveexec_b64 s[36:37], s[28:29]
; %bb.3944:                             ;   in Loop: Header=BB2_3506 Depth=3
	s_xor_b64 s[40:41], exec, -1
; %bb.3945:                             ;   in Loop: Header=BB2_3506 Depth=3
	s_or_b64 exec, exec, s[36:37]
	s_and_b64 s[40:41], s[40:41], exec
	s_or_saveexec_b64 s[42:43], s[42:43]
	v_bfrev_b32_e32 v9, 1
	s_xor_b64 exec, exec, s[42:43]
	s_cbranch_execnz .LBB2_4046
.LBB2_3946:                             ;   in Loop: Header=BB2_3506 Depth=3
	s_or_b64 exec, exec, s[42:43]
	s_and_saveexec_b64 s[36:37], s[40:41]
	s_cbranch_execz .LBB2_3948
.LBB2_3947:                             ;   in Loop: Header=BB2_3506 Depth=3
	v_and_b32_e32 v9, 3, v2
	v_and_b32_e32 v12, 0x7c, v2
	v_cmp_eq_u32_e64 s[28:29], s71, v12
	v_ffbh_u32_e32 v12, v9
	v_min_u32_e32 v39, 32, v12
	v_subrev_u32_e32 v12, 29, v39
	v_bfe_u32 v17, v2, 2, 5
	v_lshlrev_b64 v[12:13], v12, v[2:3]
	v_cmp_eq_u32_e64 s[40:41], 0, v17
	v_sub_u32_e32 v13, 30, v39
	v_lshlrev_b32_e32 v2, 24, v2
	v_and_b32_e32 v12, 3, v12
	v_cndmask_b32_e64 v13, v17, v13, s[40:41]
	v_and_b32_e32 v2, 0x80000000, v2
	v_cndmask_b32_e64 v12, v9, v12, s[40:41]
	v_lshl_add_u32 v2, v13, 23, v2
	v_cmp_lt_i16_e64 s[42:43], -1, v8
	v_lshl_or_b32 v2, v12, 21, v2
	v_cmp_eq_u32_e64 s[40:41], 0, v9
	v_cndmask_b32_e64 v8, v27, v6, s[42:43]
	v_add_u32_e32 v2, 0x38000000, v2
	v_cndmask_b32_e64 v8, v7, v8, s[40:41]
	v_cndmask_b32_e64 v9, v2, v8, s[28:29]
.LBB2_3948:                             ;   in Loop: Header=BB2_3506 Depth=3
	s_or_b64 exec, exec, s[36:37]
	v_mul_f32_e32 v1, v1, v9
	v_and_b32_e32 v8, 0x7f800000, v1
	v_mov_b32_e32 v9, v3
	v_cmp_ne_u64_e64 s[28:29], s[62:63], v[8:9]
	v_and_b32_e32 v2, 0x7fffff, v1
                                        ; implicit-def: $vgpr17
	s_and_saveexec_b64 s[40:41], s[28:29]
	s_xor_b64 s[42:43], exec, s[40:41]
	s_cbranch_execz .LBB2_3962
; %bb.3949:                             ;   in Loop: Header=BB2_3506 Depth=3
	v_and_b32_e32 v8, 0x7fffffff, v1
	v_mov_b32_e32 v9, v3
	v_cmp_gt_u64_e64 s[28:29], s[78:79], v[8:9]
	v_and_b32_sdwa v39, v1, s82 dst_sel:DWORD dst_unused:UNUSED_PAD src0_sel:BYTE_3 src1_sel:DWORD
                                        ; implicit-def: $vgpr17
	s_and_saveexec_b64 s[40:41], s[28:29]
	s_xor_b64 s[36:37], exec, s[40:41]
	s_cbranch_execz .LBB2_3959
; %bb.3950:                             ;   in Loop: Header=BB2_3506 Depth=3
	v_mov_b32_e32 v17, 0
	v_cmp_ne_u32_e64 s[28:29], 0, v1
	s_and_saveexec_b64 s[38:39], s[28:29]
	s_cbranch_execz .LBB2_3958
; %bb.3951:                             ;   in Loop: Header=BB2_3506 Depth=3
	v_bfe_u32 v1, v1, 23, 8
	v_cmp_gt_u32_e64 s[40:41], s44, v1
	v_sub_u32_e32 v8, 0x71, v1
	v_cmp_eq_u32_e64 s[28:29], 0, v1
	v_cndmask_b32_e64 v8, 0, v8, s[40:41]
	v_mov_b32_e32 v12, 0x70
	v_cndmask_b32_e64 v17, v8, v12, s[28:29]
	v_or_b32_e32 v9, 0x800000, v2
	v_add_u32_e32 v8, 21, v17
	v_cndmask_b32_e64 v2, v9, v2, s[28:29]
	v_lshlrev_b64 v[8:9], v8, -1
	v_add_u32_e32 v12, 20, v17
	v_lshlrev_b64 v[12:13], v12, 1
	v_bfi_b32 v9, v9, 0, 0
	v_bfi_b32 v8, v8, 0, v2
	v_cmp_eq_u64_e64 s[40:41], v[8:9], v[12:13]
	v_lshrrev_b64 v[8:9], v17, v[2:3]
	v_mov_b32_e32 v13, v9
	v_mov_b32_e32 v12, v8
	s_and_saveexec_b64 s[48:49], s[40:41]
; %bb.3952:                             ;   in Loop: Header=BB2_3506 Depth=3
	v_bfe_u32 v2, v8, 21, 1
	v_add_co_u32_e64 v2, s[40:41], v8, v2
	v_add_co_u32_e64 v12, s[40:41], -1, v2
; %bb.3953:                             ;   in Loop: Header=BB2_3506 Depth=3
	s_or_b64 exec, exec, s[48:49]
	v_add_u32_e32 v1, 0xffffff81, v1
	v_mov_b32_e32 v2, 0xffffff82
	v_cndmask_b32_e64 v1, v1, v2, s[28:29]
	v_lshrrev_b32_e32 v2, 23, v8
	v_add3_u32 v17, v17, v1, v2
	v_add_u32_e32 v13, 14, v17
	v_and_b32_e32 v1, 0x1fffff, v12
	v_add_u32_e32 v2, v1, v8
	v_cmp_ne_u32_e64 s[28:29], 0, v13
                                        ; implicit-def: $vgpr8_vgpr9
                                        ; implicit-def: $vgpr1
	s_and_saveexec_b64 s[40:41], s[28:29]
	s_xor_b64 s[40:41], exec, s[40:41]
; %bb.3954:                             ;   in Loop: Header=BB2_3506 Depth=3
	v_cmp_lt_u64_e64 s[28:29], s[88:89], v[2:3]
	v_add_u32_e32 v1, 15, v17
	v_cndmask_b32_e64 v8, 0, 1, s[28:29]
	v_cndmask_b32_e64 v1, v13, v1, s[28:29]
	v_lshrrev_b64 v[8:9], v8, v[2:3]
; %bb.3955:                             ;   in Loop: Header=BB2_3506 Depth=3
	s_andn2_saveexec_b64 s[28:29], s[40:41]
; %bb.3956:                             ;   in Loop: Header=BB2_3506 Depth=3
	v_mov_b32_e32 v9, v3
	v_bfe_u32 v1, v2, 23, 1
	v_mov_b32_e32 v8, v2
; %bb.3957:                             ;   in Loop: Header=BB2_3506 Depth=3
	s_or_b64 exec, exec, s[28:29]
	v_lshrrev_b64 v[8:9], 21, v[8:9]
	v_cmp_gt_i32_e64 s[28:29], 32, v1
	v_cndmask_b32_e64 v9, 0, v9, s[28:29]
	v_cndmask_b32_e64 v8, 3, v8, s[28:29]
	v_cmp_eq_u32_e64 s[28:29], 0, v1
	v_min_i32_e32 v1, 31, v1
	v_cmp_eq_u64_e64 s[40:41], 0, v[8:9]
	v_lshlrev_b32_e32 v1, 2, v1
	v_and_b32_e32 v1, 0xfc, v1
	v_and_or_b32 v1, v8, 3, v1
	s_and_b64 s[28:29], s[28:29], s[40:41]
	v_cndmask_b32_e64 v1, v1, 0, s[28:29]
	v_or_b32_e32 v17, v1, v39
.LBB2_3958:                             ;   in Loop: Header=BB2_3506 Depth=3
	s_or_b64 exec, exec, s[38:39]
                                        ; implicit-def: $vgpr39
.LBB2_3959:                             ;   in Loop: Header=BB2_3506 Depth=3
	s_andn2_saveexec_b64 s[28:29], s[36:37]
; %bb.3960:                             ;   in Loop: Header=BB2_3506 Depth=3
	v_or_b32_e32 v17, 0x7b, v39
; %bb.3961:                             ;   in Loop: Header=BB2_3506 Depth=3
	s_or_b64 exec, exec, s[28:29]
                                        ; implicit-def: $vgpr1
.LBB2_3962:                             ;   in Loop: Header=BB2_3506 Depth=3
	s_andn2_saveexec_b64 s[40:41], s[42:43]
	s_cbranch_execz .LBB2_3968
; %bb.3963:                             ;   in Loop: Header=BB2_3506 Depth=3
	v_cmp_ne_u64_e64 s[28:29], 0, v[2:3]
                                        ; implicit-def: $vgpr17
	s_and_saveexec_b64 s[42:43], s[28:29]
	s_xor_b64 s[28:29], exec, s[42:43]
; %bb.3964:                             ;   in Loop: Header=BB2_3506 Depth=3
	v_or_b32_sdwa v17, v1, s81 dst_sel:DWORD dst_unused:UNUSED_PAD src0_sel:BYTE_3 src1_sel:DWORD
                                        ; implicit-def: $vgpr1
; %bb.3965:                             ;   in Loop: Header=BB2_3506 Depth=3
	s_andn2_saveexec_b64 s[42:43], s[28:29]
; %bb.3966:                             ;   in Loop: Header=BB2_3506 Depth=3
	v_cmp_lt_i32_e64 s[28:29], -1, v1
	v_cndmask_b32_e64 v17, v0, v49, s[28:29]
; %bb.3967:                             ;   in Loop: Header=BB2_3506 Depth=3
	s_or_b64 exec, exec, s[42:43]
.LBB2_3968:                             ;   in Loop: Header=BB2_3506 Depth=3
	s_or_b64 exec, exec, s[40:41]
	v_lshrrev_b32_e32 v2, 16, v15
	v_cmp_ne_u16_sdwa s[28:29], v2, v3 src0_sel:BYTE_0 src1_sel:DWORD
	v_mov_b32_e32 v1, 0
	s_and_saveexec_b64 s[40:41], s[28:29]
	s_cbranch_execz .LBB2_3976
; %bb.3969:                             ;   in Loop: Header=BB2_3506 Depth=3
	v_cmp_ne_u16_sdwa s[28:29], v2, s82 src0_sel:BYTE_0 src1_sel:DWORD
	v_bfrev_b32_e32 v1, 1
	s_and_saveexec_b64 s[42:43], s[28:29]
	s_cbranch_execz .LBB2_3975
; %bb.3970:                             ;   in Loop: Header=BB2_3506 Depth=3
	v_and_b32_e32 v1, 0x7c0000, v15
	v_bfe_u32 v8, v15, 16, 2
	v_cmp_ne_u32_e64 s[28:29], s45, v1
                                        ; implicit-def: $vgpr1
	s_and_saveexec_b64 s[36:37], s[28:29]
	s_xor_b64 s[36:37], exec, s[36:37]
	s_cbranch_execz .LBB2_3972
; %bb.3971:                             ;   in Loop: Header=BB2_3506 Depth=3
	v_ffbh_u32_e32 v1, v8
	v_min_u32_e32 v12, 32, v1
	v_subrev_u32_e32 v1, 29, v12
	v_lshlrev_b64 v[1:2], v1, v[2:3]
	v_bfe_u32 v9, v15, 18, 5
	v_and_b32_e32 v1, 3, v1
	v_cmp_eq_u32_e64 s[28:29], 0, v9
	v_sub_u32_e32 v2, 30, v12
	v_cndmask_b32_e64 v1, v8, v1, s[28:29]
	v_lshlrev_b32_e32 v8, 8, v15
	v_cndmask_b32_e64 v2, v9, v2, s[28:29]
	v_and_b32_e32 v8, 0x80000000, v8
	v_lshl_add_u32 v2, v2, 23, v8
	v_lshl_or_b32 v1, v1, 21, v2
	v_add_u32_e32 v1, 0x38000000, v1
                                        ; implicit-def: $vgpr8
                                        ; implicit-def: $vgpr2
.LBB2_3972:                             ;   in Loop: Header=BB2_3506 Depth=3
	s_andn2_saveexec_b64 s[36:37], s[36:37]
; %bb.3973:                             ;   in Loop: Header=BB2_3506 Depth=3
	v_cmp_gt_i16_sdwa s[28:29], sext(v2), v26 src0_sel:BYTE_0 src1_sel:DWORD
	v_cndmask_b32_e64 v1, v27, v6, s[28:29]
	v_cmp_eq_u32_e64 s[28:29], 0, v8
	v_cndmask_b32_e64 v1, v7, v1, s[28:29]
; %bb.3974:                             ;   in Loop: Header=BB2_3506 Depth=3
	s_or_b64 exec, exec, s[36:37]
.LBB2_3975:                             ;   in Loop: Header=BB2_3506 Depth=3
	s_or_b64 exec, exec, s[42:43]
.LBB2_3976:                             ;   in Loop: Header=BB2_3506 Depth=3
	s_or_b64 exec, exec, s[40:41]
	v_lshrrev_b32_e32 v2, 16, v11
	v_cmp_gt_i16_sdwa s[40:41], v2, s81 src0_sel:BYTE_0 src1_sel:DWORD
	s_mov_b64 s[28:29], 0
	s_and_saveexec_b64 s[42:43], s[40:41]
	s_xor_b64 s[40:41], exec, s[42:43]
	s_cbranch_execz .LBB2_4047
; %bb.3977:                             ;   in Loop: Header=BB2_3506 Depth=3
	v_cmp_eq_u16_sdwa s[36:37], v2, s82 src0_sel:BYTE_0 src1_sel:DWORD
	s_mov_b64 s[28:29], -1
	s_and_saveexec_b64 s[42:43], s[36:37]
; %bb.3978:                             ;   in Loop: Header=BB2_3506 Depth=3
	s_xor_b64 s[28:29], exec, -1
; %bb.3979:                             ;   in Loop: Header=BB2_3506 Depth=3
	s_or_b64 exec, exec, s[42:43]
	s_and_b64 s[28:29], s[28:29], exec
	s_or_saveexec_b64 s[40:41], s[40:41]
	v_bfrev_b32_e32 v8, 1
	s_xor_b64 exec, exec, s[40:41]
	s_cbranch_execnz .LBB2_4048
.LBB2_3980:                             ;   in Loop: Header=BB2_3506 Depth=3
	s_or_b64 exec, exec, s[40:41]
	s_and_saveexec_b64 s[36:37], s[28:29]
	s_cbranch_execz .LBB2_3982
.LBB2_3981:                             ;   in Loop: Header=BB2_3506 Depth=3
	v_and_b32_e32 v12, 3, v2
	v_and_b32_e32 v8, 0x7c0000, v11
	v_cmp_eq_u32_e64 s[28:29], s45, v8
	v_ffbh_u32_e32 v8, v12
	v_min_u32_e32 v39, 32, v8
	v_subrev_u32_e32 v8, 29, v39
	v_bfe_u32 v13, v11, 18, 5
	v_lshlrev_b64 v[8:9], v8, v[2:3]
	v_cmp_eq_u32_e64 s[40:41], 0, v13
	v_sub_u32_e32 v9, 30, v39
	v_cndmask_b32_e64 v9, v13, v9, s[40:41]
	v_lshlrev_b32_e32 v13, 24, v2
	v_and_b32_e32 v8, 3, v8
	v_and_b32_e32 v13, 0x80000000, v13
	v_cndmask_b32_e64 v8, v12, v8, s[40:41]
	v_lshl_add_u32 v9, v9, 23, v13
	v_cmp_gt_i16_sdwa s[42:43], sext(v2), v26 src0_sel:BYTE_0 src1_sel:DWORD
	v_lshl_or_b32 v8, v8, 21, v9
	v_cmp_eq_u32_e64 s[40:41], 0, v12
	v_cndmask_b32_e64 v2, v27, v6, s[42:43]
	v_add_u32_e32 v8, 0x38000000, v8
	v_cndmask_b32_e64 v2, v7, v2, s[40:41]
	v_cndmask_b32_e64 v8, v8, v2, s[28:29]
.LBB2_3982:                             ;   in Loop: Header=BB2_3506 Depth=3
	s_or_b64 exec, exec, s[36:37]
	v_mul_f32_e32 v1, v1, v8
	v_and_b32_e32 v8, 0x7f800000, v1
	v_mov_b32_e32 v9, v3
	v_cmp_ne_u64_e64 s[28:29], s[62:63], v[8:9]
	v_and_b32_e32 v2, 0x7fffff, v1
                                        ; implicit-def: $vgpr12
	s_and_saveexec_b64 s[40:41], s[28:29]
	s_xor_b64 s[42:43], exec, s[40:41]
	s_cbranch_execz .LBB2_3996
; %bb.3983:                             ;   in Loop: Header=BB2_3506 Depth=3
	v_and_b32_e32 v8, 0x7fffffff, v1
	v_mov_b32_e32 v9, v3
	v_cmp_gt_u64_e64 s[28:29], s[78:79], v[8:9]
	v_and_b32_sdwa v39, v1, s82 dst_sel:DWORD dst_unused:UNUSED_PAD src0_sel:BYTE_3 src1_sel:DWORD
                                        ; implicit-def: $vgpr12
	s_and_saveexec_b64 s[40:41], s[28:29]
	s_xor_b64 s[36:37], exec, s[40:41]
	s_cbranch_execz .LBB2_3993
; %bb.3984:                             ;   in Loop: Header=BB2_3506 Depth=3
	v_mov_b32_e32 v12, 0
	v_cmp_ne_u32_e64 s[28:29], 0, v1
	s_and_saveexec_b64 s[38:39], s[28:29]
	s_cbranch_execz .LBB2_3992
; %bb.3985:                             ;   in Loop: Header=BB2_3506 Depth=3
	v_bfe_u32 v1, v1, 23, 8
	v_cmp_gt_u32_e64 s[40:41], s44, v1
	v_sub_u32_e32 v8, 0x71, v1
	v_cmp_eq_u32_e64 s[28:29], 0, v1
	v_cndmask_b32_e64 v8, 0, v8, s[40:41]
	v_mov_b32_e32 v12, 0x70
	v_cndmask_b32_e64 v43, v8, v12, s[28:29]
	v_or_b32_e32 v9, 0x800000, v2
	v_add_u32_e32 v8, 21, v43
	v_cndmask_b32_e64 v2, v9, v2, s[28:29]
	v_lshlrev_b64 v[8:9], v8, -1
	v_add_u32_e32 v12, 20, v43
	v_lshlrev_b64 v[12:13], v12, 1
	v_bfi_b32 v9, v9, 0, 0
	v_bfi_b32 v8, v8, 0, v2
	v_cmp_eq_u64_e64 s[40:41], v[8:9], v[12:13]
	v_lshrrev_b64 v[8:9], v43, v[2:3]
	v_mov_b32_e32 v13, v9
	v_mov_b32_e32 v12, v8
	s_and_saveexec_b64 s[48:49], s[40:41]
; %bb.3986:                             ;   in Loop: Header=BB2_3506 Depth=3
	v_bfe_u32 v2, v8, 21, 1
	v_add_co_u32_e64 v2, s[40:41], v8, v2
	v_add_co_u32_e64 v12, s[40:41], -1, v2
; %bb.3987:                             ;   in Loop: Header=BB2_3506 Depth=3
	s_or_b64 exec, exec, s[48:49]
	v_add_u32_e32 v1, 0xffffff81, v1
	v_mov_b32_e32 v2, 0xffffff82
	v_cndmask_b32_e64 v1, v1, v2, s[28:29]
	v_lshrrev_b32_e32 v2, 23, v8
	v_add3_u32 v43, v43, v1, v2
	v_add_u32_e32 v13, 14, v43
	v_and_b32_e32 v1, 0x1fffff, v12
	v_add_u32_e32 v2, v1, v8
	v_cmp_ne_u32_e64 s[28:29], 0, v13
                                        ; implicit-def: $vgpr8_vgpr9
                                        ; implicit-def: $vgpr1
	s_and_saveexec_b64 s[40:41], s[28:29]
	s_xor_b64 s[40:41], exec, s[40:41]
; %bb.3988:                             ;   in Loop: Header=BB2_3506 Depth=3
	v_cmp_lt_u64_e64 s[28:29], s[88:89], v[2:3]
	v_add_u32_e32 v1, 15, v43
	v_cndmask_b32_e64 v8, 0, 1, s[28:29]
	v_cndmask_b32_e64 v1, v13, v1, s[28:29]
	v_lshrrev_b64 v[8:9], v8, v[2:3]
; %bb.3989:                             ;   in Loop: Header=BB2_3506 Depth=3
	s_andn2_saveexec_b64 s[28:29], s[40:41]
; %bb.3990:                             ;   in Loop: Header=BB2_3506 Depth=3
	v_mov_b32_e32 v9, v3
	v_bfe_u32 v1, v2, 23, 1
	v_mov_b32_e32 v8, v2
; %bb.3991:                             ;   in Loop: Header=BB2_3506 Depth=3
	s_or_b64 exec, exec, s[28:29]
	v_lshrrev_b64 v[8:9], 21, v[8:9]
	v_cmp_gt_i32_e64 s[28:29], 32, v1
	v_cndmask_b32_e64 v9, 0, v9, s[28:29]
	v_cndmask_b32_e64 v8, 3, v8, s[28:29]
	v_cmp_eq_u32_e64 s[28:29], 0, v1
	v_min_i32_e32 v1, 31, v1
	v_cmp_eq_u64_e64 s[40:41], 0, v[8:9]
	v_lshlrev_b32_e32 v1, 2, v1
	v_and_b32_e32 v1, 0xfc, v1
	v_and_or_b32 v1, v8, 3, v1
	s_and_b64 s[28:29], s[28:29], s[40:41]
	v_cndmask_b32_e64 v1, v1, 0, s[28:29]
	v_or_b32_e32 v12, v1, v39
.LBB2_3992:                             ;   in Loop: Header=BB2_3506 Depth=3
	s_or_b64 exec, exec, s[38:39]
                                        ; implicit-def: $vgpr39
.LBB2_3993:                             ;   in Loop: Header=BB2_3506 Depth=3
	s_andn2_saveexec_b64 s[28:29], s[36:37]
; %bb.3994:                             ;   in Loop: Header=BB2_3506 Depth=3
	v_or_b32_e32 v12, 0x7b, v39
; %bb.3995:                             ;   in Loop: Header=BB2_3506 Depth=3
	s_or_b64 exec, exec, s[28:29]
                                        ; implicit-def: $vgpr1
.LBB2_3996:                             ;   in Loop: Header=BB2_3506 Depth=3
	s_andn2_saveexec_b64 s[40:41], s[42:43]
	s_cbranch_execz .LBB2_4002
; %bb.3997:                             ;   in Loop: Header=BB2_3506 Depth=3
	v_cmp_ne_u64_e64 s[28:29], 0, v[2:3]
                                        ; implicit-def: $vgpr12
	s_and_saveexec_b64 s[42:43], s[28:29]
	s_xor_b64 s[28:29], exec, s[42:43]
; %bb.3998:                             ;   in Loop: Header=BB2_3506 Depth=3
	v_or_b32_sdwa v12, v1, s81 dst_sel:DWORD dst_unused:UNUSED_PAD src0_sel:BYTE_3 src1_sel:DWORD
                                        ; implicit-def: $vgpr1
; %bb.3999:                             ;   in Loop: Header=BB2_3506 Depth=3
	s_andn2_saveexec_b64 s[42:43], s[28:29]
; %bb.4000:                             ;   in Loop: Header=BB2_3506 Depth=3
	v_cmp_lt_i32_e64 s[28:29], -1, v1
	v_cndmask_b32_e64 v12, v0, v49, s[28:29]
; %bb.4001:                             ;   in Loop: Header=BB2_3506 Depth=3
	s_or_b64 exec, exec, s[42:43]
.LBB2_4002:                             ;   in Loop: Header=BB2_3506 Depth=3
	s_or_b64 exec, exec, s[40:41]
	v_cmp_lt_u64_e64 s[28:29], s[56:57], v[14:15]
	v_mov_b32_e32 v1, 0
	s_and_saveexec_b64 s[40:41], s[28:29]
	s_cbranch_execz .LBB2_4010
; %bb.4003:                             ;   in Loop: Header=BB2_3506 Depth=3
	v_lshrrev_b32_e32 v2, 24, v15
	v_cmp_ne_u32_e64 s[28:29], s82, v2
	v_bfrev_b32_e32 v1, 1
	s_and_saveexec_b64 s[42:43], s[28:29]
	s_cbranch_execz .LBB2_4009
; %bb.4004:                             ;   in Loop: Header=BB2_3506 Depth=3
	v_and_b32_e32 v1, 0x7c000000, v15
	v_bfe_u32 v8, v15, 24, 2
	v_cmp_ne_u32_e64 s[28:29], s83, v1
                                        ; implicit-def: $vgpr1
	s_and_saveexec_b64 s[36:37], s[28:29]
	s_xor_b64 s[36:37], exec, s[36:37]
	s_cbranch_execz .LBB2_4006
; %bb.4005:                             ;   in Loop: Header=BB2_3506 Depth=3
	v_ffbh_u32_e32 v1, v8
	v_min_u32_e32 v13, 32, v1
	v_subrev_u32_e32 v1, 29, v13
	v_lshlrev_b64 v[1:2], v1, v[2:3]
	v_bfe_u32 v9, v15, 26, 5
	v_sub_u32_e32 v2, 30, v13
	v_and_b32_e32 v1, 3, v1
	v_cmp_eq_u32_e64 s[28:29], 0, v9
	v_cndmask_b32_e64 v2, v9, v2, s[28:29]
	v_cndmask_b32_e64 v1, v8, v1, s[28:29]
	v_and_b32_e32 v8, 0x80000000, v15
	v_lshl_add_u32 v2, v2, 23, v8
	v_lshl_or_b32 v1, v1, 21, v2
	v_add_u32_e32 v1, 0x38000000, v1
                                        ; implicit-def: $vgpr8
                                        ; implicit-def: $vgpr14_vgpr15
.LBB2_4006:                             ;   in Loop: Header=BB2_3506 Depth=3
	s_andn2_saveexec_b64 s[36:37], s[36:37]
; %bb.4007:                             ;   in Loop: Header=BB2_3506 Depth=3
	v_cmp_lt_i64_e64 s[28:29], -1, v[14:15]
	v_cndmask_b32_e64 v1, v27, v6, s[28:29]
	v_cmp_eq_u32_e64 s[28:29], 0, v8
	v_cndmask_b32_e64 v1, v7, v1, s[28:29]
; %bb.4008:                             ;   in Loop: Header=BB2_3506 Depth=3
	s_or_b64 exec, exec, s[36:37]
.LBB2_4009:                             ;   in Loop: Header=BB2_3506 Depth=3
	s_or_b64 exec, exec, s[42:43]
.LBB2_4010:                             ;   in Loop: Header=BB2_3506 Depth=3
	s_or_b64 exec, exec, s[40:41]
	v_bfe_u32 v13, v11, 24, 2
	v_and_b32_e32 v8, 0x7c000000, v11
	v_cmp_eq_u32_e64 s[28:29], s83, v8
	v_ffbh_u32_e32 v8, v13
	v_min_u32_e32 v15, 32, v8
	v_lshrrev_b32_e32 v2, 24, v11
	v_subrev_u32_e32 v8, 29, v15
	v_bfe_u32 v14, v11, 26, 5
	v_lshlrev_b64 v[8:9], v8, v[2:3]
	v_cmp_eq_u32_e64 s[40:41], 0, v14
	v_sub_u32_e32 v9, 30, v15
	v_and_b32_e32 v8, 3, v8
	v_cndmask_b32_e64 v9, v14, v9, s[40:41]
	v_and_b32_e32 v14, 0x80000000, v11
	v_cmp_lt_i64_e64 s[42:43], -1, v[10:11]
	v_cndmask_b32_e64 v8, v13, v8, s[40:41]
	v_lshl_add_u32 v9, v9, 23, v14
	v_lshl_or_b32 v8, v8, 21, v9
	v_cmp_eq_u32_e64 s[40:41], 0, v13
	v_cndmask_b32_e64 v9, v27, v6, s[42:43]
	v_add_u32_e32 v8, 0x38000000, v8
	v_cndmask_b32_e64 v9, v7, v9, s[40:41]
	v_cndmask_b32_e64 v8, v8, v9, s[28:29]
	v_cmp_ne_u32_e64 s[28:29], s82, v2
	v_cndmask_b32_e64 v2, v53, v8, s[28:29]
	v_cmp_lt_u64_e64 s[28:29], s[56:57], v[10:11]
	v_mov_b32_e32 v10, v3
	v_cndmask_b32_e64 v2, 0, v2, s[28:29]
	v_mul_f32_e32 v8, v2, v1
	v_and_b32_e32 v9, 0x7f800000, v8
	v_cmp_ne_u64_e64 s[28:29], s[62:63], v[9:10]
	v_and_b32_e32 v2, 0x7fffff, v8
                                        ; implicit-def: $vgpr1
	s_and_saveexec_b64 s[40:41], s[28:29]
	s_xor_b64 s[42:43], exec, s[40:41]
	s_cbranch_execz .LBB2_4024
; %bb.4011:                             ;   in Loop: Header=BB2_3506 Depth=3
	v_and_b32_e32 v9, 0x7fffffff, v8
	v_mov_b32_e32 v10, v3
	v_cmp_gt_u64_e64 s[28:29], s[78:79], v[9:10]
	v_and_b32_sdwa v11, v8, s82 dst_sel:DWORD dst_unused:UNUSED_PAD src0_sel:BYTE_3 src1_sel:DWORD
                                        ; implicit-def: $vgpr1
	s_and_saveexec_b64 s[40:41], s[28:29]
	s_xor_b64 s[36:37], exec, s[40:41]
	s_cbranch_execz .LBB2_4021
; %bb.4012:                             ;   in Loop: Header=BB2_3506 Depth=3
	v_mov_b32_e32 v1, 0
	v_cmp_ne_u32_e64 s[28:29], 0, v8
	s_and_saveexec_b64 s[38:39], s[28:29]
	s_cbranch_execz .LBB2_4020
; %bb.4013:                             ;   in Loop: Header=BB2_3506 Depth=3
	v_bfe_u32 v1, v8, 23, 8
	v_cmp_gt_u32_e64 s[40:41], s44, v1
	v_sub_u32_e32 v8, 0x71, v1
	v_cmp_eq_u32_e64 s[28:29], 0, v1
	v_cndmask_b32_e64 v8, 0, v8, s[40:41]
	v_mov_b32_e32 v10, 0x70
	v_cndmask_b32_e64 v13, v8, v10, s[28:29]
	v_or_b32_e32 v9, 0x800000, v2
	v_add_u32_e32 v8, 21, v13
	v_cndmask_b32_e64 v2, v9, v2, s[28:29]
	v_lshlrev_b64 v[8:9], v8, -1
	v_add_u32_e32 v10, 20, v13
	v_lshlrev_b64 v[14:15], v10, 1
	v_bfi_b32 v9, v9, 0, 0
	v_bfi_b32 v8, v8, 0, v2
	v_cmp_eq_u64_e64 s[40:41], v[8:9], v[14:15]
	v_lshrrev_b64 v[8:9], v13, v[2:3]
	v_mov_b32_e32 v10, v9
	v_mov_b32_e32 v9, v8
	s_and_saveexec_b64 s[48:49], s[40:41]
; %bb.4014:                             ;   in Loop: Header=BB2_3506 Depth=3
	v_bfe_u32 v2, v8, 21, 1
	v_add_co_u32_e64 v2, s[40:41], v8, v2
	v_add_co_u32_e64 v9, s[40:41], -1, v2
; %bb.4015:                             ;   in Loop: Header=BB2_3506 Depth=3
	s_or_b64 exec, exec, s[48:49]
	v_add_u32_e32 v1, 0xffffff81, v1
	v_mov_b32_e32 v2, 0xffffff82
	v_cndmask_b32_e64 v1, v1, v2, s[28:29]
	v_lshrrev_b32_e32 v2, 23, v8
	v_add3_u32 v13, v13, v1, v2
	v_add_u32_e32 v10, 14, v13
	v_and_b32_e32 v1, 0x1fffff, v9
	v_add_u32_e32 v2, v1, v8
	v_cmp_ne_u32_e64 s[28:29], 0, v10
                                        ; implicit-def: $vgpr8_vgpr9
                                        ; implicit-def: $vgpr1
	s_and_saveexec_b64 s[40:41], s[28:29]
	s_xor_b64 s[40:41], exec, s[40:41]
; %bb.4016:                             ;   in Loop: Header=BB2_3506 Depth=3
	v_cmp_lt_u64_e64 s[28:29], s[88:89], v[2:3]
	v_add_u32_e32 v1, 15, v13
	v_cndmask_b32_e64 v8, 0, 1, s[28:29]
	v_cndmask_b32_e64 v1, v10, v1, s[28:29]
	v_lshrrev_b64 v[8:9], v8, v[2:3]
; %bb.4017:                             ;   in Loop: Header=BB2_3506 Depth=3
	s_andn2_saveexec_b64 s[28:29], s[40:41]
; %bb.4018:                             ;   in Loop: Header=BB2_3506 Depth=3
	v_mov_b32_e32 v9, v3
	v_bfe_u32 v1, v2, 23, 1
	v_mov_b32_e32 v8, v2
; %bb.4019:                             ;   in Loop: Header=BB2_3506 Depth=3
	s_or_b64 exec, exec, s[28:29]
	v_lshrrev_b64 v[8:9], 21, v[8:9]
	v_cmp_gt_i32_e64 s[28:29], 32, v1
	v_cndmask_b32_e64 v9, 0, v9, s[28:29]
	v_cndmask_b32_e64 v8, 3, v8, s[28:29]
	v_cmp_eq_u32_e64 s[28:29], 0, v1
	v_min_i32_e32 v1, 31, v1
	v_cmp_eq_u64_e64 s[40:41], 0, v[8:9]
	v_lshlrev_b32_e32 v1, 2, v1
	v_and_b32_e32 v1, 0xfc, v1
	v_and_or_b32 v1, v8, 3, v1
	s_and_b64 s[28:29], s[28:29], s[40:41]
	v_cndmask_b32_e64 v1, v1, 0, s[28:29]
	v_or_b32_e32 v1, v1, v11
.LBB2_4020:                             ;   in Loop: Header=BB2_3506 Depth=3
	s_or_b64 exec, exec, s[38:39]
                                        ; implicit-def: $vgpr11
.LBB2_4021:                             ;   in Loop: Header=BB2_3506 Depth=3
	s_andn2_saveexec_b64 s[28:29], s[36:37]
; %bb.4022:                             ;   in Loop: Header=BB2_3506 Depth=3
	v_or_b32_e32 v1, 0x7b, v11
; %bb.4023:                             ;   in Loop: Header=BB2_3506 Depth=3
	s_or_b64 exec, exec, s[28:29]
                                        ; implicit-def: $vgpr8
.LBB2_4024:                             ;   in Loop: Header=BB2_3506 Depth=3
	s_andn2_saveexec_b64 s[40:41], s[42:43]
	s_cbranch_execz .LBB2_3505
; %bb.4025:                             ;   in Loop: Header=BB2_3506 Depth=3
	v_cmp_ne_u64_e64 s[28:29], 0, v[2:3]
                                        ; implicit-def: $vgpr1
	s_and_saveexec_b64 s[42:43], s[28:29]
	s_xor_b64 s[28:29], exec, s[42:43]
; %bb.4026:                             ;   in Loop: Header=BB2_3506 Depth=3
	v_or_b32_sdwa v1, v8, s81 dst_sel:DWORD dst_unused:UNUSED_PAD src0_sel:BYTE_3 src1_sel:DWORD
                                        ; implicit-def: $vgpr8
; %bb.4027:                             ;   in Loop: Header=BB2_3506 Depth=3
	s_andn2_saveexec_b64 s[42:43], s[28:29]
	s_cbranch_execz .LBB2_3504
; %bb.4028:                             ;   in Loop: Header=BB2_3506 Depth=3
	v_cmp_lt_i32_e64 s[28:29], -1, v8
	v_cndmask_b32_e64 v1, v0, v49, s[28:29]
	s_branch .LBB2_3504
.LBB2_4029:                             ;   in Loop: Header=BB2_3506 Depth=3
	s_or_saveexec_b64 s[40:41], s[40:41]
	v_bfrev_b32_e32 v2, 1
	s_xor_b64 exec, exec, s[40:41]
	s_cbranch_execz .LBB2_3518
.LBB2_4030:                             ;   in Loop: Header=BB2_3506 Depth=3
	v_cmp_ne_u16_sdwa s[42:43], v8, v3 src0_sel:BYTE_0 src1_sel:DWORD
	s_andn2_b64 s[28:29], s[28:29], exec
	s_and_b64 s[42:43], s[42:43], exec
	v_mov_b32_e32 v2, 0
	s_or_b64 s[28:29], s[28:29], s[42:43]
	s_or_b64 exec, exec, s[40:41]
	s_and_saveexec_b64 s[36:37], s[28:29]
	s_cbranch_execnz .LBB2_3519
	s_branch .LBB2_3520
.LBB2_4031:                             ;   in Loop: Header=BB2_3506 Depth=3
	s_or_saveexec_b64 s[42:43], s[42:43]
	v_bfrev_b32_e32 v16, 1
	s_xor_b64 exec, exec, s[42:43]
	s_cbranch_execz .LBB2_3552
.LBB2_4032:                             ;   in Loop: Header=BB2_3506 Depth=3
	v_cmp_ne_u16_e64 s[28:29], 0, v2
	s_andn2_b64 s[40:41], s[40:41], exec
	s_and_b64 s[28:29], s[28:29], exec
	v_mov_b32_e32 v16, 0
	s_or_b64 s[40:41], s[40:41], s[28:29]
	s_or_b64 exec, exec, s[42:43]
	s_and_saveexec_b64 s[36:37], s[40:41]
	s_cbranch_execnz .LBB2_3553
	s_branch .LBB2_3554
.LBB2_4033:                             ;   in Loop: Header=BB2_3506 Depth=3
	s_or_saveexec_b64 s[40:41], s[40:41]
	v_bfrev_b32_e32 v16, 1
	s_xor_b64 exec, exec, s[40:41]
	s_cbranch_execz .LBB2_3586
.LBB2_4034:                             ;   in Loop: Header=BB2_3506 Depth=3
	v_cmp_ne_u16_sdwa s[42:43], v2, v3 src0_sel:BYTE_0 src1_sel:DWORD
	s_andn2_b64 s[28:29], s[28:29], exec
	s_and_b64 s[42:43], s[42:43], exec
	v_mov_b32_e32 v16, 0
	s_or_b64 s[28:29], s[28:29], s[42:43]
	s_or_b64 exec, exec, s[40:41]
	s_and_saveexec_b64 s[36:37], s[28:29]
	s_cbranch_execnz .LBB2_3587
	s_branch .LBB2_3588
.LBB2_4035:                             ;   in Loop: Header=BB2_3506 Depth=3
	s_or_saveexec_b64 s[42:43], s[42:43]
	v_bfrev_b32_e32 v17, 1
	s_xor_b64 exec, exec, s[42:43]
	s_cbranch_execz .LBB2_3684
.LBB2_4036:                             ;   in Loop: Header=BB2_3506 Depth=3
	v_cmp_ne_u16_e64 s[28:29], 0, v2
	s_andn2_b64 s[40:41], s[40:41], exec
	s_and_b64 s[28:29], s[28:29], exec
	v_mov_b32_e32 v17, 0
	s_or_b64 s[40:41], s[40:41], s[28:29]
	s_or_b64 exec, exec, s[42:43]
	s_and_saveexec_b64 s[36:37], s[40:41]
	s_cbranch_execnz .LBB2_3685
	s_branch .LBB2_3686
.LBB2_4037:                             ;   in Loop: Header=BB2_3506 Depth=3
	s_or_saveexec_b64 s[40:41], s[40:41]
	v_bfrev_b32_e32 v16, 1
	s_xor_b64 exec, exec, s[40:41]
	s_cbranch_execz .LBB2_3718
.LBB2_4038:                             ;   in Loop: Header=BB2_3506 Depth=3
	v_cmp_ne_u16_sdwa s[42:43], v2, v3 src0_sel:BYTE_0 src1_sel:DWORD
	s_andn2_b64 s[28:29], s[28:29], exec
	s_and_b64 s[42:43], s[42:43], exec
	v_mov_b32_e32 v16, 0
	s_or_b64 s[28:29], s[28:29], s[42:43]
	s_or_b64 exec, exec, s[40:41]
	s_and_saveexec_b64 s[36:37], s[28:29]
	s_cbranch_execnz .LBB2_3719
	s_branch .LBB2_3720
.LBB2_4039:                             ;   in Loop: Header=BB2_3506 Depth=3
	s_or_saveexec_b64 s[40:41], s[40:41]
	v_bfrev_b32_e32 v2, 1
	s_xor_b64 exec, exec, s[40:41]
	s_cbranch_execz .LBB2_3780
.LBB2_4040:                             ;   in Loop: Header=BB2_3506 Depth=3
	v_cmp_ne_u16_sdwa s[42:43], v10, v3 src0_sel:BYTE_0 src1_sel:DWORD
	s_andn2_b64 s[28:29], s[28:29], exec
	s_and_b64 s[42:43], s[42:43], exec
	v_mov_b32_e32 v2, 0
	s_or_b64 s[28:29], s[28:29], s[42:43]
	s_or_b64 exec, exec, s[40:41]
	s_and_saveexec_b64 s[36:37], s[28:29]
	s_cbranch_execnz .LBB2_3781
	s_branch .LBB2_3782
.LBB2_4041:                             ;   in Loop: Header=BB2_3506 Depth=3
	s_or_saveexec_b64 s[42:43], s[42:43]
	v_bfrev_b32_e32 v8, 1
	s_xor_b64 exec, exec, s[42:43]
	s_cbranch_execz .LBB2_3814
.LBB2_4042:                             ;   in Loop: Header=BB2_3506 Depth=3
	v_cmp_ne_u16_e64 s[28:29], 0, v2
	s_andn2_b64 s[40:41], s[40:41], exec
	s_and_b64 s[28:29], s[28:29], exec
	v_mov_b32_e32 v8, 0
	s_or_b64 s[40:41], s[40:41], s[28:29]
	s_or_b64 exec, exec, s[42:43]
	s_and_saveexec_b64 s[36:37], s[40:41]
	s_cbranch_execnz .LBB2_3815
	s_branch .LBB2_3816
.LBB2_4043:                             ;   in Loop: Header=BB2_3506 Depth=3
	s_or_saveexec_b64 s[40:41], s[40:41]
	v_bfrev_b32_e32 v8, 1
	s_xor_b64 exec, exec, s[40:41]
	s_cbranch_execz .LBB2_3848
.LBB2_4044:                             ;   in Loop: Header=BB2_3506 Depth=3
	v_cmp_ne_u16_sdwa s[42:43], v2, v3 src0_sel:BYTE_0 src1_sel:DWORD
	s_andn2_b64 s[28:29], s[28:29], exec
	s_and_b64 s[42:43], s[42:43], exec
	v_mov_b32_e32 v8, 0
	s_or_b64 s[28:29], s[28:29], s[42:43]
	s_or_b64 exec, exec, s[40:41]
	s_and_saveexec_b64 s[36:37], s[28:29]
	s_cbranch_execnz .LBB2_3849
	s_branch .LBB2_3850
.LBB2_4045:                             ;   in Loop: Header=BB2_3506 Depth=3
	s_or_saveexec_b64 s[42:43], s[42:43]
	v_bfrev_b32_e32 v9, 1
	s_xor_b64 exec, exec, s[42:43]
	s_cbranch_execz .LBB2_3946
.LBB2_4046:                             ;   in Loop: Header=BB2_3506 Depth=3
	v_cmp_ne_u16_e64 s[28:29], 0, v2
	s_andn2_b64 s[40:41], s[40:41], exec
	s_and_b64 s[28:29], s[28:29], exec
	v_mov_b32_e32 v9, 0
	s_or_b64 s[40:41], s[40:41], s[28:29]
	s_or_b64 exec, exec, s[42:43]
	s_and_saveexec_b64 s[36:37], s[40:41]
	s_cbranch_execnz .LBB2_3947
	s_branch .LBB2_3948
.LBB2_4047:                             ;   in Loop: Header=BB2_3506 Depth=3
	s_or_saveexec_b64 s[40:41], s[40:41]
	v_bfrev_b32_e32 v8, 1
	s_xor_b64 exec, exec, s[40:41]
	s_cbranch_execz .LBB2_3980
.LBB2_4048:                             ;   in Loop: Header=BB2_3506 Depth=3
	v_cmp_ne_u16_sdwa s[42:43], v2, v3 src0_sel:BYTE_0 src1_sel:DWORD
	s_andn2_b64 s[28:29], s[28:29], exec
	s_and_b64 s[42:43], s[42:43], exec
	v_mov_b32_e32 v8, 0
	s_or_b64 s[28:29], s[28:29], s[42:43]
	s_or_b64 exec, exec, s[40:41]
	s_and_saveexec_b64 s[36:37], s[28:29]
	s_cbranch_execnz .LBB2_3981
	s_branch .LBB2_3982
.LBB2_4049:                             ;   in Loop: Header=BB2_1943 Depth=2
	s_or_b64 exec, exec, s[34:35]
	buffer_load_dword v47, off, s[0:3], s33 offset:168 ; 4-byte Folded Reload
	buffer_load_dword v56, off, s[0:3], s33 offset:172 ; 4-byte Folded Reload
	;; [unrolled: 1-line block ×8, first 2 shown]
.LBB2_4050:                             ;   in Loop: Header=BB2_1943 Depth=2
	s_or_b64 exec, exec, s[30:31]
	s_waitcnt vmcnt(0)
	v_and_b32_e32 v2, 15, v44
	v_cndmask_b32_e32 v4, v21, v2, vcc
	v_mov_b32_e32 v24, 0
	v_cmp_ne_u32_e64 s[28:29], 0, v4
	s_mov_b64 s[42:43], 0
                                        ; implicit-def: $vgpr25
                                        ; implicit-def: $vgpr36
                                        ; implicit-def: $vgpr1
	s_and_saveexec_b64 s[30:31], s[28:29]
	s_cbranch_execz .LBB2_4602
; %bb.4051:                             ;   in Loop: Header=BB2_1943 Depth=2
	v_sub_u32_e32 v1, v21, v2
	buffer_load_dword v2, off, s[0:3], s33 offset:184 ; 4-byte Folded Reload
	v_cndmask_b32_e32 v1, 0, v1, vcc
	v_cmp_lt_i32_e32 vcc, 0, v20
	v_add_u32_e32 v5, v1, v5
	v_cndmask_b32_e32 v1, 0, v35, vcc
	v_sub_u32_e32 v1, v1, v20
	s_waitcnt vmcnt(0)
	v_lshl_add_u32 v1, v1, 6, v2
	v_ashrrev_i32_e32 v2, 31, v1
	v_lshrrev_b32_e32 v2, 26, v2
	v_add_u32_e32 v2, v1, v2
	v_ashrrev_i32_e32 v8, 6, v2
	v_and_b32_e32 v2, 0xffffffc0, v2
	v_sub_u32_e32 v20, v1, v2
	v_ashrrev_i32_e32 v2, 31, v4
	v_lshrrev_b32_e32 v2, 22, v2
	v_add_u32_e32 v2, v4, v2
	v_and_b32_e32 v21, 0xfffffc00, v2
	v_lshlrev_b32_e32 v1, 4, v20
	v_sub_u32_e32 v31, v4, v21
	v_lshl_add_u32 v1, v8, 10, v1
	v_ashrrev_i32_e32 v9, 10, v2
	v_cmp_lt_i32_e32 vcc, 15, v31
	v_sub_u32_e32 v36, v4, v1
	v_addc_co_u32_e64 v2, s[28:29], 0, v9, vcc
	v_sub_u32_e32 v30, v2, v8
	v_cmp_lt_i32_e64 s[28:29], 15, v36
	s_and_saveexec_b64 s[34:35], s[28:29]
	s_cbranch_execz .LBB2_4599
; %bb.4052:                             ;   in Loop: Header=BB2_1943 Depth=2
	v_add_u32_e32 v10, v1, v5
	s_trap 2
	ds_read_b64 v[1:2], v0
	buffer_load_dword v8, off, s[0:3], s33 offset:176 ; 4-byte Folded Reload
	buffer_load_dword v9, off, s[0:3], s33 offset:180 ; 4-byte Folded Reload
	v_ashrrev_i32_e32 v11, 31, v10
	s_mov_b64 s[36:37], 0
	s_waitcnt vmcnt(0)
	v_add_co_u32_e64 v44, s[28:29], v10, v8
	v_addc_co_u32_e64 v45, s[28:29], v11, v9, s[28:29]
	s_waitcnt lgkmcnt(0)
	v_add_co_u32_e64 v46, s[28:29], v1, v10
	v_addc_co_u32_e64 v47, s[28:29], v2, v11, s[28:29]
	buffer_load_dword v1, off, s[0:3], s33 offset:188 ; 4-byte Folded Reload
	buffer_load_dword v2, off, s[0:3], s33 offset:192 ; 4-byte Folded Reload
	s_waitcnt vmcnt(1)
	v_add_co_u32_e64 v55, s[28:29], v10, v1
	s_waitcnt vmcnt(0)
	v_addc_co_u32_e64 v56, s[28:29], v11, v2, s[28:29]
	s_branch .LBB2_4055
.LBB2_4053:                             ;   in Loop: Header=BB2_4055 Depth=3
	s_or_b64 exec, exec, s[42:43]
.LBB2_4054:                             ;   in Loop: Header=BB2_4055 Depth=3
	s_or_b64 exec, exec, s[40:41]
	v_lshl_or_b32 v2, v24, 8, v19
	v_lshlrev_b32_e32 v8, 16, v18
	v_lshlrev_b32_e32 v9, 24, v25
	v_or3_b32 v9, v2, v8, v9
	v_lshl_or_b32 v2, v57, 8, v37
	v_lshlrev_b32_e32 v8, 16, v58
	v_lshlrev_b32_e32 v10, 24, v59
	v_add_co_u32_e64 v44, s[28:29], v44, v34
	v_or3_b32 v8, v2, v8, v10
	v_lshl_or_b32 v2, v40, 8, v52
	v_lshlrev_b32_e32 v10, 16, v41
	v_lshlrev_b32_e32 v11, 24, v42
	v_addc_co_u32_e64 v45, s[28:29], 0, v45, s[28:29]
	v_or3_b32 v10, v2, v10, v11
	v_lshlrev_b32_e32 v1, 24, v1
	v_lshlrev_b32_e32 v2, 16, v12
	v_lshl_or_b32 v11, v17, 8, v16
	v_add_co_u32_e64 v46, s[28:29], v46, v34
	v_or3_b32 v11, v11, v2, v1
	v_addc_co_u32_e64 v47, s[28:29], 0, v47, s[28:29]
	global_store_dwordx4 v[55:56], v[8:11], off glc slc
	v_add_co_u32_e64 v55, s[28:29], v55, v34
	v_addc_co_u32_e64 v56, s[28:29], 0, v56, s[28:29]
	v_sub_u32_e32 v36, v36, v34
	v_cmp_gt_i32_e64 s[28:29], 16, v36
	s_or_b64 s[36:37], s[28:29], s[36:37]
	v_sub_u32_e32 v30, v30, v35
	s_andn2_b64 exec, exec, s[36:37]
	s_cbranch_execz .LBB2_4598
.LBB2_4055:                             ;   Parent Loop BB2_47 Depth=1
                                        ;     Parent Loop BB2_1943 Depth=2
                                        ; =>    This Inner Loop Header: Depth=3
	global_load_dwordx4 v[12:15], v[44:45], off glc slc
	global_load_dwordx4 v[8:11], v[46:47], off glc slc
	v_mov_b32_e32 v1, 0
	s_waitcnt vmcnt(1)
	v_cmp_ne_u16_sdwa s[28:29], v12, v3 src0_sel:BYTE_0 src1_sel:DWORD
	s_and_saveexec_b64 s[40:41], s[28:29]
	s_cbranch_execz .LBB2_4063
; %bb.4056:                             ;   in Loop: Header=BB2_4055 Depth=3
	v_cmp_ne_u16_sdwa s[28:29], sext(v12), s70 src0_sel:BYTE_0 src1_sel:DWORD
	v_bfrev_b32_e32 v1, 1
	s_and_saveexec_b64 s[42:43], s[28:29]
	s_cbranch_execz .LBB2_4062
; %bb.4057:                             ;   in Loop: Header=BB2_4055 Depth=3
	v_and_b32_e32 v1, 0x7c, v12
	v_and_b32_e32 v2, 3, v12
	v_cmp_ne_u32_e64 s[28:29], s71, v1
                                        ; implicit-def: $vgpr1
	s_and_saveexec_b64 s[38:39], s[28:29]
	s_xor_b64 s[38:39], exec, s[38:39]
	s_cbranch_execz .LBB2_4059
; %bb.4058:                             ;   in Loop: Header=BB2_4055 Depth=3
	v_ffbh_u32_e32 v16, v2
	v_min_u32_e32 v18, 32, v16
	v_subrev_u32_e32 v16, 29, v18
	v_lshlrev_b64 v[16:17], v16, v[12:13]
	v_bfe_u32 v1, v12, 2, 5
	v_and_b32_e32 v16, 3, v16
	v_cmp_eq_u32_e64 s[28:29], 0, v1
	v_sub_u32_e32 v17, 30, v18
	v_cndmask_b32_e64 v2, v2, v16, s[28:29]
	v_lshlrev_b32_e32 v16, 24, v12
	v_cndmask_b32_e64 v1, v1, v17, s[28:29]
	v_and_b32_e32 v16, 0x80000000, v16
	v_lshl_add_u32 v1, v1, 23, v16
	v_lshl_or_b32 v1, v2, 21, v1
	v_add_u32_e32 v1, 0x38000000, v1
                                        ; implicit-def: $vgpr2
.LBB2_4059:                             ;   in Loop: Header=BB2_4055 Depth=3
	s_andn2_saveexec_b64 s[38:39], s[38:39]
; %bb.4060:                             ;   in Loop: Header=BB2_4055 Depth=3
	v_cmp_gt_i16_sdwa s[28:29], sext(v12), v26 src0_sel:BYTE_0 src1_sel:DWORD
	v_cndmask_b32_e64 v1, v27, v6, s[28:29]
	v_cmp_eq_u32_e64 s[28:29], 0, v2
	v_cndmask_b32_e64 v1, v7, v1, s[28:29]
; %bb.4061:                             ;   in Loop: Header=BB2_4055 Depth=3
	s_or_b64 exec, exec, s[38:39]
.LBB2_4062:                             ;   in Loop: Header=BB2_4055 Depth=3
	s_or_b64 exec, exec, s[42:43]
.LBB2_4063:                             ;   in Loop: Header=BB2_4055 Depth=3
	s_or_b64 exec, exec, s[40:41]
	s_waitcnt vmcnt(0)
	v_cmp_gt_i16_sdwa s[40:41], v8, s81 src0_sel:BYTE_0 src1_sel:DWORD
	s_mov_b64 s[28:29], 0
	s_and_saveexec_b64 s[42:43], s[40:41]
	s_xor_b64 s[40:41], exec, s[42:43]
	s_cbranch_execz .LBB2_4578
; %bb.4064:                             ;   in Loop: Header=BB2_4055 Depth=3
	v_cmp_eq_u16_sdwa s[38:39], v8, s82 src0_sel:BYTE_0 src1_sel:DWORD
	s_mov_b64 s[28:29], -1
	s_and_saveexec_b64 s[42:43], s[38:39]
; %bb.4065:                             ;   in Loop: Header=BB2_4055 Depth=3
	s_xor_b64 s[28:29], exec, -1
; %bb.4066:                             ;   in Loop: Header=BB2_4055 Depth=3
	s_or_b64 exec, exec, s[42:43]
	s_and_b64 s[28:29], s[28:29], exec
	s_or_saveexec_b64 s[40:41], s[40:41]
	v_bfrev_b32_e32 v2, 1
	s_xor_b64 exec, exec, s[40:41]
	s_cbranch_execnz .LBB2_4579
.LBB2_4067:                             ;   in Loop: Header=BB2_4055 Depth=3
	s_or_b64 exec, exec, s[40:41]
	s_and_saveexec_b64 s[38:39], s[28:29]
	s_cbranch_execz .LBB2_4069
.LBB2_4068:                             ;   in Loop: Header=BB2_4055 Depth=3
	v_and_b32_e32 v2, 3, v8
	v_and_b32_e32 v16, 0x7c, v8
	v_cmp_eq_u32_e64 s[28:29], s71, v16
	v_ffbh_u32_e32 v16, v2
	v_min_u32_e32 v19, 32, v16
	v_subrev_u32_e32 v16, 29, v19
	v_bfe_u32 v18, v8, 2, 5
	v_lshlrev_b64 v[16:17], v16, v[8:9]
	v_cmp_eq_u32_e64 s[40:41], 0, v18
	v_sub_u32_e32 v17, 30, v19
	v_cndmask_b32_e64 v17, v18, v17, s[40:41]
	v_lshlrev_b32_e32 v18, 24, v8
	v_and_b32_e32 v16, 3, v16
	v_and_b32_e32 v18, 0x80000000, v18
	v_cndmask_b32_e64 v16, v2, v16, s[40:41]
	v_lshl_add_u32 v17, v17, 23, v18
	v_cmp_gt_i16_sdwa s[42:43], sext(v8), v26 src0_sel:BYTE_0 src1_sel:DWORD
	v_lshl_or_b32 v16, v16, 21, v17
	v_cmp_eq_u32_e64 s[40:41], 0, v2
	v_cndmask_b32_e64 v2, v27, v6, s[42:43]
	v_add_u32_e32 v16, 0x38000000, v16
	v_cndmask_b32_e64 v2, v7, v2, s[40:41]
	v_cndmask_b32_e64 v2, v16, v2, s[28:29]
.LBB2_4069:                             ;   in Loop: Header=BB2_4055 Depth=3
	s_or_b64 exec, exec, s[38:39]
	v_mul_f32_e32 v1, v1, v2
	v_and_b32_e32 v16, 0x7f800000, v1
	v_mov_b32_e32 v17, v3
	v_cmp_ne_u64_e64 s[28:29], s[62:63], v[16:17]
	v_and_b32_e32 v2, 0x7fffff, v1
                                        ; implicit-def: $vgpr37
	s_and_saveexec_b64 s[40:41], s[28:29]
	s_xor_b64 s[42:43], exec, s[40:41]
	s_cbranch_execz .LBB2_4083
; %bb.4070:                             ;   in Loop: Header=BB2_4055 Depth=3
	v_and_b32_e32 v16, 0x7fffffff, v1
	v_mov_b32_e32 v17, v3
	v_cmp_gt_u64_e64 s[28:29], s[78:79], v[16:17]
	v_and_b32_sdwa v19, v1, s82 dst_sel:DWORD dst_unused:UNUSED_PAD src0_sel:BYTE_3 src1_sel:DWORD
                                        ; implicit-def: $vgpr37
	s_and_saveexec_b64 s[40:41], s[28:29]
	s_xor_b64 s[38:39], exec, s[40:41]
	s_cbranch_execz .LBB2_4080
; %bb.4071:                             ;   in Loop: Header=BB2_4055 Depth=3
	v_mov_b32_e32 v37, 0
	v_cmp_ne_u32_e64 s[28:29], 0, v1
	s_and_saveexec_b64 s[48:49], s[28:29]
	s_cbranch_execz .LBB2_4079
; %bb.4072:                             ;   in Loop: Header=BB2_4055 Depth=3
	v_bfe_u32 v1, v1, 23, 8
	v_cmp_gt_u32_e64 s[40:41], s44, v1
	v_sub_u32_e32 v16, 0x71, v1
	v_cmp_eq_u32_e64 s[28:29], 0, v1
	v_cndmask_b32_e64 v16, 0, v16, s[40:41]
	v_mov_b32_e32 v18, 0x70
	v_cndmask_b32_e64 v24, v16, v18, s[28:29]
	v_or_b32_e32 v17, 0x800000, v2
	v_add_u32_e32 v16, 21, v24
	v_cndmask_b32_e64 v2, v17, v2, s[28:29]
	v_lshlrev_b64 v[16:17], v16, -1
	v_add_u32_e32 v18, 20, v24
	v_lshlrev_b64 v[39:40], v18, 1
	v_bfi_b32 v17, v17, 0, 0
	v_bfi_b32 v16, v16, 0, v2
	v_cmp_eq_u64_e64 s[40:41], v[16:17], v[39:40]
	v_lshrrev_b64 v[16:17], v24, v[2:3]
	v_mov_b32_e32 v18, v17
	v_mov_b32_e32 v17, v16
	s_and_saveexec_b64 s[50:51], s[40:41]
; %bb.4073:                             ;   in Loop: Header=BB2_4055 Depth=3
	v_bfe_u32 v2, v16, 21, 1
	v_add_co_u32_e64 v2, s[40:41], v16, v2
	v_add_co_u32_e64 v17, s[40:41], -1, v2
; %bb.4074:                             ;   in Loop: Header=BB2_4055 Depth=3
	s_or_b64 exec, exec, s[50:51]
	v_add_u32_e32 v1, 0xffffff81, v1
	v_mov_b32_e32 v2, 0xffffff82
	v_cndmask_b32_e64 v1, v1, v2, s[28:29]
	v_lshrrev_b32_e32 v2, 23, v16
	v_add3_u32 v24, v24, v1, v2
	v_add_u32_e32 v18, 14, v24
	v_and_b32_e32 v1, 0x1fffff, v17
	v_add_u32_e32 v2, v1, v16
	v_cmp_ne_u32_e64 s[28:29], 0, v18
                                        ; implicit-def: $vgpr16_vgpr17
                                        ; implicit-def: $vgpr1
	s_and_saveexec_b64 s[40:41], s[28:29]
	s_xor_b64 s[40:41], exec, s[40:41]
; %bb.4075:                             ;   in Loop: Header=BB2_4055 Depth=3
	v_cmp_lt_u64_e64 s[28:29], s[88:89], v[2:3]
	v_add_u32_e32 v1, 15, v24
	v_cndmask_b32_e64 v16, 0, 1, s[28:29]
	v_cndmask_b32_e64 v1, v18, v1, s[28:29]
	v_lshrrev_b64 v[16:17], v16, v[2:3]
; %bb.4076:                             ;   in Loop: Header=BB2_4055 Depth=3
	s_andn2_saveexec_b64 s[28:29], s[40:41]
; %bb.4077:                             ;   in Loop: Header=BB2_4055 Depth=3
	v_mov_b32_e32 v17, v3
	v_bfe_u32 v1, v2, 23, 1
	v_mov_b32_e32 v16, v2
; %bb.4078:                             ;   in Loop: Header=BB2_4055 Depth=3
	s_or_b64 exec, exec, s[28:29]
	v_lshrrev_b64 v[16:17], 21, v[16:17]
	v_cmp_gt_i32_e64 s[28:29], 32, v1
	v_cndmask_b32_e64 v17, 0, v17, s[28:29]
	v_cndmask_b32_e64 v16, 3, v16, s[28:29]
	v_cmp_eq_u32_e64 s[28:29], 0, v1
	v_min_i32_e32 v1, 31, v1
	v_cmp_eq_u64_e64 s[40:41], 0, v[16:17]
	v_lshlrev_b32_e32 v1, 2, v1
	v_and_b32_e32 v1, 0xfc, v1
	v_and_or_b32 v1, v16, 3, v1
	s_and_b64 s[28:29], s[28:29], s[40:41]
	v_cndmask_b32_e64 v1, v1, 0, s[28:29]
	v_or_b32_e32 v37, v1, v19
.LBB2_4079:                             ;   in Loop: Header=BB2_4055 Depth=3
	s_or_b64 exec, exec, s[48:49]
                                        ; implicit-def: $vgpr19
.LBB2_4080:                             ;   in Loop: Header=BB2_4055 Depth=3
	s_andn2_saveexec_b64 s[28:29], s[38:39]
; %bb.4081:                             ;   in Loop: Header=BB2_4055 Depth=3
	v_or_b32_e32 v37, 0x7b, v19
; %bb.4082:                             ;   in Loop: Header=BB2_4055 Depth=3
	s_or_b64 exec, exec, s[28:29]
                                        ; implicit-def: $vgpr1
.LBB2_4083:                             ;   in Loop: Header=BB2_4055 Depth=3
	s_andn2_saveexec_b64 s[40:41], s[42:43]
	s_cbranch_execz .LBB2_4089
; %bb.4084:                             ;   in Loop: Header=BB2_4055 Depth=3
	v_cmp_ne_u64_e64 s[28:29], 0, v[2:3]
                                        ; implicit-def: $vgpr37
	s_and_saveexec_b64 s[42:43], s[28:29]
	s_xor_b64 s[28:29], exec, s[42:43]
; %bb.4085:                             ;   in Loop: Header=BB2_4055 Depth=3
	v_or_b32_sdwa v37, v1, s81 dst_sel:DWORD dst_unused:UNUSED_PAD src0_sel:BYTE_3 src1_sel:DWORD
                                        ; implicit-def: $vgpr1
; %bb.4086:                             ;   in Loop: Header=BB2_4055 Depth=3
	s_andn2_saveexec_b64 s[42:43], s[28:29]
; %bb.4087:                             ;   in Loop: Header=BB2_4055 Depth=3
	v_cmp_lt_i32_e64 s[28:29], -1, v1
	v_cndmask_b32_e64 v37, v0, v49, s[28:29]
; %bb.4088:                             ;   in Loop: Header=BB2_4055 Depth=3
	s_or_b64 exec, exec, s[42:43]
.LBB2_4089:                             ;   in Loop: Header=BB2_4055 Depth=3
	s_or_b64 exec, exec, s[40:41]
	v_lshrrev_b16_e32 v2, 8, v12
	v_cmp_ne_u16_e64 s[28:29], 0, v2
	v_mov_b32_e32 v1, 0
	s_and_saveexec_b64 s[40:41], s[28:29]
	s_cbranch_execz .LBB2_4097
; %bb.4090:                             ;   in Loop: Header=BB2_4055 Depth=3
	v_cmp_ne_u16_e64 s[28:29], s82, v2
	v_bfrev_b32_e32 v1, 1
	s_and_saveexec_b64 s[42:43], s[28:29]
	s_cbranch_execz .LBB2_4096
; %bb.4091:                             ;   in Loop: Header=BB2_4055 Depth=3
	v_and_b32_e32 v1, 0x7c, v2
	v_and_b32_e32 v16, 3, v2
	v_cmp_ne_u32_e64 s[28:29], s71, v1
                                        ; implicit-def: $vgpr1
	s_and_saveexec_b64 s[38:39], s[28:29]
	s_xor_b64 s[38:39], exec, s[38:39]
	s_cbranch_execz .LBB2_4093
; %bb.4092:                             ;   in Loop: Header=BB2_4055 Depth=3
	v_ffbh_u32_e32 v1, v16
	v_min_u32_e32 v18, 32, v1
	v_subrev_u32_e32 v1, 29, v18
	v_bfe_u32 v17, v2, 2, 5
	v_lshlrev_b64 v[1:2], v1, v[2:3]
	v_cmp_eq_u32_e64 s[28:29], 0, v17
	v_and_b32_e32 v1, 3, v1
	v_sub_u32_e32 v2, 30, v18
	v_cndmask_b32_e64 v1, v16, v1, s[28:29]
	v_lshlrev_b32_e32 v16, 16, v12
	v_cndmask_b32_e64 v2, v17, v2, s[28:29]
	v_and_b32_e32 v16, 0x80000000, v16
	v_lshl_add_u32 v2, v2, 23, v16
	v_lshl_or_b32 v1, v1, 21, v2
	v_add_u32_e32 v1, 0x38000000, v1
                                        ; implicit-def: $vgpr16
.LBB2_4093:                             ;   in Loop: Header=BB2_4055 Depth=3
	s_andn2_saveexec_b64 s[38:39], s[38:39]
; %bb.4094:                             ;   in Loop: Header=BB2_4055 Depth=3
	v_cmp_lt_i16_e64 s[28:29], -1, v12
	v_cndmask_b32_e64 v1, v27, v6, s[28:29]
	v_cmp_eq_u32_e64 s[28:29], 0, v16
	v_cndmask_b32_e64 v1, v7, v1, s[28:29]
; %bb.4095:                             ;   in Loop: Header=BB2_4055 Depth=3
	s_or_b64 exec, exec, s[38:39]
.LBB2_4096:                             ;   in Loop: Header=BB2_4055 Depth=3
	s_or_b64 exec, exec, s[42:43]
.LBB2_4097:                             ;   in Loop: Header=BB2_4055 Depth=3
	s_or_b64 exec, exec, s[40:41]
	v_lshrrev_b16_e32 v2, 8, v8
	v_cmp_lt_i16_e64 s[28:29], s81, v2
	s_mov_b64 s[40:41], 0
	s_and_saveexec_b64 s[42:43], s[28:29]
	s_xor_b64 s[42:43], exec, s[42:43]
	s_cbranch_execz .LBB2_4580
; %bb.4098:                             ;   in Loop: Header=BB2_4055 Depth=3
	v_cmp_eq_u16_e64 s[28:29], s82, v2
	s_mov_b64 s[40:41], -1
	s_and_saveexec_b64 s[38:39], s[28:29]
; %bb.4099:                             ;   in Loop: Header=BB2_4055 Depth=3
	s_xor_b64 s[40:41], exec, -1
; %bb.4100:                             ;   in Loop: Header=BB2_4055 Depth=3
	s_or_b64 exec, exec, s[38:39]
	s_and_b64 s[40:41], s[40:41], exec
	s_or_saveexec_b64 s[42:43], s[42:43]
	v_bfrev_b32_e32 v16, 1
	s_xor_b64 exec, exec, s[42:43]
	s_cbranch_execnz .LBB2_4581
.LBB2_4101:                             ;   in Loop: Header=BB2_4055 Depth=3
	s_or_b64 exec, exec, s[42:43]
	s_and_saveexec_b64 s[38:39], s[40:41]
	s_cbranch_execz .LBB2_4103
.LBB2_4102:                             ;   in Loop: Header=BB2_4055 Depth=3
	v_and_b32_e32 v18, 3, v2
	v_and_b32_e32 v16, 0x7c, v2
	v_cmp_eq_u32_e64 s[28:29], s71, v16
	v_ffbh_u32_e32 v16, v18
	v_min_u32_e32 v24, 32, v16
	v_subrev_u32_e32 v16, 29, v24
	v_bfe_u32 v19, v2, 2, 5
	v_lshlrev_b64 v[16:17], v16, v[2:3]
	v_cmp_eq_u32_e64 s[40:41], 0, v19
	v_sub_u32_e32 v17, 30, v24
	v_lshlrev_b32_e32 v2, 24, v2
	v_and_b32_e32 v16, 3, v16
	v_cndmask_b32_e64 v17, v19, v17, s[40:41]
	v_and_b32_e32 v2, 0x80000000, v2
	v_cndmask_b32_e64 v16, v18, v16, s[40:41]
	v_lshl_add_u32 v2, v17, 23, v2
	v_cmp_lt_i16_e64 s[42:43], -1, v8
	v_lshl_or_b32 v2, v16, 21, v2
	v_cmp_eq_u32_e64 s[40:41], 0, v18
	v_cndmask_b32_e64 v16, v27, v6, s[42:43]
	v_add_u32_e32 v2, 0x38000000, v2
	v_cndmask_b32_e64 v16, v7, v16, s[40:41]
	v_cndmask_b32_e64 v16, v2, v16, s[28:29]
.LBB2_4103:                             ;   in Loop: Header=BB2_4055 Depth=3
	s_or_b64 exec, exec, s[38:39]
	v_mul_f32_e32 v1, v1, v16
	v_and_b32_e32 v16, 0x7f800000, v1
	v_mov_b32_e32 v17, v3
	v_cmp_ne_u64_e64 s[28:29], s[62:63], v[16:17]
	v_and_b32_e32 v2, 0x7fffff, v1
                                        ; implicit-def: $vgpr57
	s_and_saveexec_b64 s[40:41], s[28:29]
	s_xor_b64 s[42:43], exec, s[40:41]
	s_cbranch_execz .LBB2_4117
; %bb.4104:                             ;   in Loop: Header=BB2_4055 Depth=3
	v_and_b32_e32 v16, 0x7fffffff, v1
	v_mov_b32_e32 v17, v3
	v_cmp_gt_u64_e64 s[28:29], s[78:79], v[16:17]
	v_and_b32_sdwa v19, v1, s82 dst_sel:DWORD dst_unused:UNUSED_PAD src0_sel:BYTE_3 src1_sel:DWORD
                                        ; implicit-def: $vgpr57
	s_and_saveexec_b64 s[40:41], s[28:29]
	s_xor_b64 s[38:39], exec, s[40:41]
	s_cbranch_execz .LBB2_4114
; %bb.4105:                             ;   in Loop: Header=BB2_4055 Depth=3
	v_mov_b32_e32 v57, 0
	v_cmp_ne_u32_e64 s[28:29], 0, v1
	s_and_saveexec_b64 s[48:49], s[28:29]
	s_cbranch_execz .LBB2_4113
; %bb.4106:                             ;   in Loop: Header=BB2_4055 Depth=3
	v_bfe_u32 v1, v1, 23, 8
	v_cmp_gt_u32_e64 s[40:41], s44, v1
	v_sub_u32_e32 v16, 0x71, v1
	v_cmp_eq_u32_e64 s[28:29], 0, v1
	v_cndmask_b32_e64 v16, 0, v16, s[40:41]
	v_mov_b32_e32 v18, 0x70
	v_cndmask_b32_e64 v24, v16, v18, s[28:29]
	v_or_b32_e32 v17, 0x800000, v2
	v_add_u32_e32 v16, 21, v24
	v_cndmask_b32_e64 v2, v17, v2, s[28:29]
	v_lshlrev_b64 v[16:17], v16, -1
	v_add_u32_e32 v18, 20, v24
	v_lshlrev_b64 v[39:40], v18, 1
	v_bfi_b32 v17, v17, 0, 0
	v_bfi_b32 v16, v16, 0, v2
	v_cmp_eq_u64_e64 s[40:41], v[16:17], v[39:40]
	v_lshrrev_b64 v[16:17], v24, v[2:3]
	v_mov_b32_e32 v18, v17
	v_mov_b32_e32 v17, v16
	s_and_saveexec_b64 s[50:51], s[40:41]
; %bb.4107:                             ;   in Loop: Header=BB2_4055 Depth=3
	v_bfe_u32 v2, v16, 21, 1
	v_add_co_u32_e64 v2, s[40:41], v16, v2
	v_add_co_u32_e64 v17, s[40:41], -1, v2
; %bb.4108:                             ;   in Loop: Header=BB2_4055 Depth=3
	s_or_b64 exec, exec, s[50:51]
	v_add_u32_e32 v1, 0xffffff81, v1
	v_mov_b32_e32 v2, 0xffffff82
	v_cndmask_b32_e64 v1, v1, v2, s[28:29]
	v_lshrrev_b32_e32 v2, 23, v16
	v_add3_u32 v24, v24, v1, v2
	v_add_u32_e32 v18, 14, v24
	v_and_b32_e32 v1, 0x1fffff, v17
	v_add_u32_e32 v2, v1, v16
	v_cmp_ne_u32_e64 s[28:29], 0, v18
                                        ; implicit-def: $vgpr16_vgpr17
                                        ; implicit-def: $vgpr1
	s_and_saveexec_b64 s[40:41], s[28:29]
	s_xor_b64 s[40:41], exec, s[40:41]
; %bb.4109:                             ;   in Loop: Header=BB2_4055 Depth=3
	v_cmp_lt_u64_e64 s[28:29], s[88:89], v[2:3]
	v_add_u32_e32 v1, 15, v24
	v_cndmask_b32_e64 v16, 0, 1, s[28:29]
	v_cndmask_b32_e64 v1, v18, v1, s[28:29]
	v_lshrrev_b64 v[16:17], v16, v[2:3]
; %bb.4110:                             ;   in Loop: Header=BB2_4055 Depth=3
	s_andn2_saveexec_b64 s[28:29], s[40:41]
; %bb.4111:                             ;   in Loop: Header=BB2_4055 Depth=3
	v_mov_b32_e32 v17, v3
	v_bfe_u32 v1, v2, 23, 1
	v_mov_b32_e32 v16, v2
; %bb.4112:                             ;   in Loop: Header=BB2_4055 Depth=3
	s_or_b64 exec, exec, s[28:29]
	v_lshrrev_b64 v[16:17], 21, v[16:17]
	v_cmp_gt_i32_e64 s[28:29], 32, v1
	v_cndmask_b32_e64 v17, 0, v17, s[28:29]
	v_cndmask_b32_e64 v16, 3, v16, s[28:29]
	v_cmp_eq_u32_e64 s[28:29], 0, v1
	v_min_i32_e32 v1, 31, v1
	v_cmp_eq_u64_e64 s[40:41], 0, v[16:17]
	v_lshlrev_b32_e32 v1, 2, v1
	v_and_b32_e32 v1, 0xfc, v1
	v_and_or_b32 v1, v16, 3, v1
	s_and_b64 s[28:29], s[28:29], s[40:41]
	v_cndmask_b32_e64 v1, v1, 0, s[28:29]
	v_or_b32_e32 v57, v1, v19
.LBB2_4113:                             ;   in Loop: Header=BB2_4055 Depth=3
	s_or_b64 exec, exec, s[48:49]
                                        ; implicit-def: $vgpr19
.LBB2_4114:                             ;   in Loop: Header=BB2_4055 Depth=3
	s_andn2_saveexec_b64 s[28:29], s[38:39]
; %bb.4115:                             ;   in Loop: Header=BB2_4055 Depth=3
	v_or_b32_e32 v57, 0x7b, v19
; %bb.4116:                             ;   in Loop: Header=BB2_4055 Depth=3
	s_or_b64 exec, exec, s[28:29]
                                        ; implicit-def: $vgpr1
.LBB2_4117:                             ;   in Loop: Header=BB2_4055 Depth=3
	s_andn2_saveexec_b64 s[40:41], s[42:43]
	s_cbranch_execz .LBB2_4123
; %bb.4118:                             ;   in Loop: Header=BB2_4055 Depth=3
	v_cmp_ne_u64_e64 s[28:29], 0, v[2:3]
                                        ; implicit-def: $vgpr57
	s_and_saveexec_b64 s[42:43], s[28:29]
	s_xor_b64 s[28:29], exec, s[42:43]
; %bb.4119:                             ;   in Loop: Header=BB2_4055 Depth=3
	v_or_b32_sdwa v57, v1, s81 dst_sel:DWORD dst_unused:UNUSED_PAD src0_sel:BYTE_3 src1_sel:DWORD
                                        ; implicit-def: $vgpr1
; %bb.4120:                             ;   in Loop: Header=BB2_4055 Depth=3
	s_andn2_saveexec_b64 s[42:43], s[28:29]
; %bb.4121:                             ;   in Loop: Header=BB2_4055 Depth=3
	v_cmp_lt_i32_e64 s[28:29], -1, v1
	v_cndmask_b32_e64 v57, v0, v49, s[28:29]
; %bb.4122:                             ;   in Loop: Header=BB2_4055 Depth=3
	s_or_b64 exec, exec, s[42:43]
.LBB2_4123:                             ;   in Loop: Header=BB2_4055 Depth=3
	s_or_b64 exec, exec, s[40:41]
	v_lshrrev_b32_e32 v2, 16, v12
	v_cmp_ne_u16_sdwa s[28:29], v2, v3 src0_sel:BYTE_0 src1_sel:DWORD
	v_mov_b32_e32 v1, 0
	s_and_saveexec_b64 s[40:41], s[28:29]
	s_cbranch_execz .LBB2_4131
; %bb.4124:                             ;   in Loop: Header=BB2_4055 Depth=3
	v_cmp_ne_u16_sdwa s[28:29], v2, s82 src0_sel:BYTE_0 src1_sel:DWORD
	v_bfrev_b32_e32 v1, 1
	s_and_saveexec_b64 s[42:43], s[28:29]
	s_cbranch_execz .LBB2_4130
; %bb.4125:                             ;   in Loop: Header=BB2_4055 Depth=3
	v_and_b32_e32 v1, 0x7c0000, v12
	v_bfe_u32 v16, v12, 16, 2
	v_cmp_ne_u32_e64 s[28:29], s45, v1
                                        ; implicit-def: $vgpr1
	s_and_saveexec_b64 s[38:39], s[28:29]
	s_xor_b64 s[38:39], exec, s[38:39]
	s_cbranch_execz .LBB2_4127
; %bb.4126:                             ;   in Loop: Header=BB2_4055 Depth=3
	v_ffbh_u32_e32 v1, v16
	v_min_u32_e32 v18, 32, v1
	v_subrev_u32_e32 v1, 29, v18
	v_lshlrev_b64 v[1:2], v1, v[2:3]
	v_bfe_u32 v17, v12, 18, 5
	v_and_b32_e32 v1, 3, v1
	v_cmp_eq_u32_e64 s[28:29], 0, v17
	v_sub_u32_e32 v2, 30, v18
	v_cndmask_b32_e64 v1, v16, v1, s[28:29]
	v_lshlrev_b32_e32 v16, 8, v12
	v_cndmask_b32_e64 v2, v17, v2, s[28:29]
	v_and_b32_e32 v16, 0x80000000, v16
	v_lshl_add_u32 v2, v2, 23, v16
	v_lshl_or_b32 v1, v1, 21, v2
	v_add_u32_e32 v1, 0x38000000, v1
                                        ; implicit-def: $vgpr16
                                        ; implicit-def: $vgpr2
.LBB2_4127:                             ;   in Loop: Header=BB2_4055 Depth=3
	s_andn2_saveexec_b64 s[38:39], s[38:39]
; %bb.4128:                             ;   in Loop: Header=BB2_4055 Depth=3
	v_cmp_gt_i16_sdwa s[28:29], sext(v2), v26 src0_sel:BYTE_0 src1_sel:DWORD
	v_cndmask_b32_e64 v1, v27, v6, s[28:29]
	v_cmp_eq_u32_e64 s[28:29], 0, v16
	v_cndmask_b32_e64 v1, v7, v1, s[28:29]
; %bb.4129:                             ;   in Loop: Header=BB2_4055 Depth=3
	s_or_b64 exec, exec, s[38:39]
.LBB2_4130:                             ;   in Loop: Header=BB2_4055 Depth=3
	s_or_b64 exec, exec, s[42:43]
.LBB2_4131:                             ;   in Loop: Header=BB2_4055 Depth=3
	s_or_b64 exec, exec, s[40:41]
	v_lshrrev_b32_e32 v2, 16, v8
	v_cmp_gt_i16_sdwa s[40:41], v2, s81 src0_sel:BYTE_0 src1_sel:DWORD
	s_mov_b64 s[28:29], 0
	s_and_saveexec_b64 s[42:43], s[40:41]
	s_xor_b64 s[40:41], exec, s[42:43]
	s_cbranch_execz .LBB2_4582
; %bb.4132:                             ;   in Loop: Header=BB2_4055 Depth=3
	v_cmp_eq_u16_sdwa s[38:39], v2, s82 src0_sel:BYTE_0 src1_sel:DWORD
	s_mov_b64 s[28:29], -1
	s_and_saveexec_b64 s[42:43], s[38:39]
; %bb.4133:                             ;   in Loop: Header=BB2_4055 Depth=3
	s_xor_b64 s[28:29], exec, -1
; %bb.4134:                             ;   in Loop: Header=BB2_4055 Depth=3
	s_or_b64 exec, exec, s[42:43]
	s_and_b64 s[28:29], s[28:29], exec
	s_or_saveexec_b64 s[40:41], s[40:41]
	v_bfrev_b32_e32 v16, 1
	s_xor_b64 exec, exec, s[40:41]
	s_cbranch_execnz .LBB2_4583
.LBB2_4135:                             ;   in Loop: Header=BB2_4055 Depth=3
	s_or_b64 exec, exec, s[40:41]
	s_and_saveexec_b64 s[38:39], s[28:29]
	s_cbranch_execz .LBB2_4137
.LBB2_4136:                             ;   in Loop: Header=BB2_4055 Depth=3
	v_and_b32_e32 v18, 3, v2
	v_and_b32_e32 v16, 0x7c0000, v8
	v_cmp_eq_u32_e64 s[28:29], s45, v16
	v_ffbh_u32_e32 v16, v18
	v_min_u32_e32 v24, 32, v16
	v_subrev_u32_e32 v16, 29, v24
	v_bfe_u32 v19, v8, 18, 5
	v_lshlrev_b64 v[16:17], v16, v[2:3]
	v_cmp_eq_u32_e64 s[40:41], 0, v19
	v_sub_u32_e32 v17, 30, v24
	v_cndmask_b32_e64 v17, v19, v17, s[40:41]
	v_lshlrev_b32_e32 v19, 24, v2
	v_and_b32_e32 v16, 3, v16
	v_and_b32_e32 v19, 0x80000000, v19
	v_cndmask_b32_e64 v16, v18, v16, s[40:41]
	v_lshl_add_u32 v17, v17, 23, v19
	v_cmp_gt_i16_sdwa s[42:43], sext(v2), v26 src0_sel:BYTE_0 src1_sel:DWORD
	v_lshl_or_b32 v16, v16, 21, v17
	v_cmp_eq_u32_e64 s[40:41], 0, v18
	v_cndmask_b32_e64 v2, v27, v6, s[42:43]
	v_add_u32_e32 v16, 0x38000000, v16
	v_cndmask_b32_e64 v2, v7, v2, s[40:41]
	v_cndmask_b32_e64 v16, v16, v2, s[28:29]
.LBB2_4137:                             ;   in Loop: Header=BB2_4055 Depth=3
	s_or_b64 exec, exec, s[38:39]
	v_mul_f32_e32 v1, v1, v16
	v_and_b32_e32 v16, 0x7f800000, v1
	v_mov_b32_e32 v17, v3
	v_cmp_ne_u64_e64 s[28:29], s[62:63], v[16:17]
	v_and_b32_e32 v2, 0x7fffff, v1
                                        ; implicit-def: $vgpr58
	s_and_saveexec_b64 s[40:41], s[28:29]
	s_xor_b64 s[42:43], exec, s[40:41]
	s_cbranch_execz .LBB2_4151
; %bb.4138:                             ;   in Loop: Header=BB2_4055 Depth=3
	v_and_b32_e32 v16, 0x7fffffff, v1
	v_mov_b32_e32 v17, v3
	v_cmp_gt_u64_e64 s[28:29], s[78:79], v[16:17]
	v_and_b32_sdwa v19, v1, s82 dst_sel:DWORD dst_unused:UNUSED_PAD src0_sel:BYTE_3 src1_sel:DWORD
                                        ; implicit-def: $vgpr58
	s_and_saveexec_b64 s[40:41], s[28:29]
	s_xor_b64 s[38:39], exec, s[40:41]
	s_cbranch_execz .LBB2_4148
; %bb.4139:                             ;   in Loop: Header=BB2_4055 Depth=3
	v_mov_b32_e32 v58, 0
	v_cmp_ne_u32_e64 s[28:29], 0, v1
	s_and_saveexec_b64 s[48:49], s[28:29]
	s_cbranch_execz .LBB2_4147
; %bb.4140:                             ;   in Loop: Header=BB2_4055 Depth=3
	v_bfe_u32 v1, v1, 23, 8
	v_cmp_gt_u32_e64 s[40:41], s44, v1
	v_sub_u32_e32 v16, 0x71, v1
	v_cmp_eq_u32_e64 s[28:29], 0, v1
	v_cndmask_b32_e64 v16, 0, v16, s[40:41]
	v_mov_b32_e32 v18, 0x70
	v_cndmask_b32_e64 v24, v16, v18, s[28:29]
	v_or_b32_e32 v17, 0x800000, v2
	v_add_u32_e32 v16, 21, v24
	v_cndmask_b32_e64 v2, v17, v2, s[28:29]
	v_lshlrev_b64 v[16:17], v16, -1
	v_add_u32_e32 v18, 20, v24
	v_lshlrev_b64 v[39:40], v18, 1
	v_bfi_b32 v17, v17, 0, 0
	v_bfi_b32 v16, v16, 0, v2
	v_cmp_eq_u64_e64 s[40:41], v[16:17], v[39:40]
	v_lshrrev_b64 v[16:17], v24, v[2:3]
	v_mov_b32_e32 v18, v17
	v_mov_b32_e32 v17, v16
	s_and_saveexec_b64 s[50:51], s[40:41]
; %bb.4141:                             ;   in Loop: Header=BB2_4055 Depth=3
	v_bfe_u32 v2, v16, 21, 1
	v_add_co_u32_e64 v2, s[40:41], v16, v2
	v_add_co_u32_e64 v17, s[40:41], -1, v2
; %bb.4142:                             ;   in Loop: Header=BB2_4055 Depth=3
	s_or_b64 exec, exec, s[50:51]
	v_add_u32_e32 v1, 0xffffff81, v1
	v_mov_b32_e32 v2, 0xffffff82
	v_cndmask_b32_e64 v1, v1, v2, s[28:29]
	v_lshrrev_b32_e32 v2, 23, v16
	v_add3_u32 v24, v24, v1, v2
	v_add_u32_e32 v18, 14, v24
	v_and_b32_e32 v1, 0x1fffff, v17
	v_add_u32_e32 v2, v1, v16
	v_cmp_ne_u32_e64 s[28:29], 0, v18
                                        ; implicit-def: $vgpr16_vgpr17
                                        ; implicit-def: $vgpr1
	s_and_saveexec_b64 s[40:41], s[28:29]
	s_xor_b64 s[40:41], exec, s[40:41]
; %bb.4143:                             ;   in Loop: Header=BB2_4055 Depth=3
	v_cmp_lt_u64_e64 s[28:29], s[88:89], v[2:3]
	v_add_u32_e32 v1, 15, v24
	v_cndmask_b32_e64 v16, 0, 1, s[28:29]
	v_cndmask_b32_e64 v1, v18, v1, s[28:29]
	v_lshrrev_b64 v[16:17], v16, v[2:3]
; %bb.4144:                             ;   in Loop: Header=BB2_4055 Depth=3
	s_andn2_saveexec_b64 s[28:29], s[40:41]
; %bb.4145:                             ;   in Loop: Header=BB2_4055 Depth=3
	v_mov_b32_e32 v17, v3
	v_bfe_u32 v1, v2, 23, 1
	v_mov_b32_e32 v16, v2
; %bb.4146:                             ;   in Loop: Header=BB2_4055 Depth=3
	s_or_b64 exec, exec, s[28:29]
	v_lshrrev_b64 v[16:17], 21, v[16:17]
	v_cmp_gt_i32_e64 s[28:29], 32, v1
	v_cndmask_b32_e64 v17, 0, v17, s[28:29]
	v_cndmask_b32_e64 v16, 3, v16, s[28:29]
	v_cmp_eq_u32_e64 s[28:29], 0, v1
	v_min_i32_e32 v1, 31, v1
	v_cmp_eq_u64_e64 s[40:41], 0, v[16:17]
	v_lshlrev_b32_e32 v1, 2, v1
	v_and_b32_e32 v1, 0xfc, v1
	v_and_or_b32 v1, v16, 3, v1
	s_and_b64 s[28:29], s[28:29], s[40:41]
	v_cndmask_b32_e64 v1, v1, 0, s[28:29]
	v_or_b32_e32 v58, v1, v19
.LBB2_4147:                             ;   in Loop: Header=BB2_4055 Depth=3
	s_or_b64 exec, exec, s[48:49]
                                        ; implicit-def: $vgpr19
.LBB2_4148:                             ;   in Loop: Header=BB2_4055 Depth=3
	s_andn2_saveexec_b64 s[28:29], s[38:39]
; %bb.4149:                             ;   in Loop: Header=BB2_4055 Depth=3
	v_or_b32_e32 v58, 0x7b, v19
; %bb.4150:                             ;   in Loop: Header=BB2_4055 Depth=3
	s_or_b64 exec, exec, s[28:29]
                                        ; implicit-def: $vgpr1
.LBB2_4151:                             ;   in Loop: Header=BB2_4055 Depth=3
	s_andn2_saveexec_b64 s[40:41], s[42:43]
	s_cbranch_execz .LBB2_4157
; %bb.4152:                             ;   in Loop: Header=BB2_4055 Depth=3
	v_cmp_ne_u64_e64 s[28:29], 0, v[2:3]
                                        ; implicit-def: $vgpr58
	s_and_saveexec_b64 s[42:43], s[28:29]
	s_xor_b64 s[28:29], exec, s[42:43]
; %bb.4153:                             ;   in Loop: Header=BB2_4055 Depth=3
	v_or_b32_sdwa v58, v1, s81 dst_sel:DWORD dst_unused:UNUSED_PAD src0_sel:BYTE_3 src1_sel:DWORD
                                        ; implicit-def: $vgpr1
; %bb.4154:                             ;   in Loop: Header=BB2_4055 Depth=3
	s_andn2_saveexec_b64 s[42:43], s[28:29]
; %bb.4155:                             ;   in Loop: Header=BB2_4055 Depth=3
	v_cmp_lt_i32_e64 s[28:29], -1, v1
	v_cndmask_b32_e64 v58, v0, v49, s[28:29]
; %bb.4156:                             ;   in Loop: Header=BB2_4055 Depth=3
	s_or_b64 exec, exec, s[42:43]
.LBB2_4157:                             ;   in Loop: Header=BB2_4055 Depth=3
	s_or_b64 exec, exec, s[40:41]
	v_cmp_lt_u32_e64 s[28:29], s57, v12
	v_mov_b32_e32 v1, 0
	s_and_saveexec_b64 s[40:41], s[28:29]
	s_cbranch_execz .LBB2_4165
; %bb.4158:                             ;   in Loop: Header=BB2_4055 Depth=3
	v_lshrrev_b32_e32 v2, 24, v12
	v_cmp_ne_u32_e64 s[28:29], s82, v2
	v_bfrev_b32_e32 v1, 1
	s_and_saveexec_b64 s[42:43], s[28:29]
	s_cbranch_execz .LBB2_4164
; %bb.4159:                             ;   in Loop: Header=BB2_4055 Depth=3
	v_and_b32_e32 v1, 0x7c000000, v12
	v_bfe_u32 v16, v12, 24, 2
	v_cmp_ne_u32_e64 s[28:29], s83, v1
                                        ; implicit-def: $vgpr1
	s_and_saveexec_b64 s[38:39], s[28:29]
	s_xor_b64 s[38:39], exec, s[38:39]
	s_cbranch_execz .LBB2_4161
; %bb.4160:                             ;   in Loop: Header=BB2_4055 Depth=3
	v_ffbh_u32_e32 v1, v16
	v_min_u32_e32 v18, 32, v1
	v_subrev_u32_e32 v1, 29, v18
	v_lshlrev_b64 v[1:2], v1, v[2:3]
	v_bfe_u32 v17, v12, 26, 5
	v_sub_u32_e32 v2, 30, v18
	v_and_b32_e32 v1, 3, v1
	v_cmp_eq_u32_e64 s[28:29], 0, v17
	v_cndmask_b32_e64 v2, v17, v2, s[28:29]
	v_cndmask_b32_e64 v1, v16, v1, s[28:29]
	v_and_b32_e32 v16, 0x80000000, v12
	v_lshl_add_u32 v2, v2, 23, v16
	v_lshl_or_b32 v1, v1, 21, v2
	v_add_u32_e32 v1, 0x38000000, v1
                                        ; implicit-def: $vgpr16
.LBB2_4161:                             ;   in Loop: Header=BB2_4055 Depth=3
	s_andn2_saveexec_b64 s[38:39], s[38:39]
; %bb.4162:                             ;   in Loop: Header=BB2_4055 Depth=3
	v_cmp_lt_i32_e64 s[28:29], -1, v12
	v_cndmask_b32_e64 v1, v27, v6, s[28:29]
	v_cmp_eq_u32_e64 s[28:29], 0, v16
	v_cndmask_b32_e64 v1, v7, v1, s[28:29]
; %bb.4163:                             ;   in Loop: Header=BB2_4055 Depth=3
	s_or_b64 exec, exec, s[38:39]
.LBB2_4164:                             ;   in Loop: Header=BB2_4055 Depth=3
	s_or_b64 exec, exec, s[42:43]
.LBB2_4165:                             ;   in Loop: Header=BB2_4055 Depth=3
	s_or_b64 exec, exec, s[40:41]
	v_bfe_u32 v18, v8, 24, 2
	v_and_b32_e32 v16, 0x7c000000, v8
	v_cmp_eq_u32_e64 s[28:29], s83, v16
	v_ffbh_u32_e32 v16, v18
	v_min_u32_e32 v24, 32, v16
	v_lshrrev_b32_e32 v2, 24, v8
	v_subrev_u32_e32 v16, 29, v24
	v_bfe_u32 v19, v8, 26, 5
	v_lshlrev_b64 v[16:17], v16, v[2:3]
	v_cmp_eq_u32_e64 s[40:41], 0, v19
	v_sub_u32_e32 v17, 30, v24
	v_and_b32_e32 v16, 3, v16
	v_cndmask_b32_e64 v17, v19, v17, s[40:41]
	v_and_b32_e32 v19, 0x80000000, v8
	v_cndmask_b32_e64 v16, v18, v16, s[40:41]
	v_lshl_add_u32 v17, v17, 23, v19
	v_cmp_lt_i32_e64 s[42:43], -1, v8
	v_lshl_or_b32 v16, v16, 21, v17
	v_cmp_eq_u32_e64 s[40:41], 0, v18
	v_cndmask_b32_e64 v17, v27, v6, s[42:43]
	v_add_u32_e32 v16, 0x38000000, v16
	v_cndmask_b32_e64 v17, v7, v17, s[40:41]
	v_cndmask_b32_e64 v16, v16, v17, s[28:29]
	v_cmp_ne_u32_e64 s[28:29], s82, v2
	v_cndmask_b32_e64 v2, v53, v16, s[28:29]
	v_cmp_lt_u32_e64 s[28:29], s57, v8
	v_cndmask_b32_e64 v2, 0, v2, s[28:29]
	v_mul_f32_e32 v1, v2, v1
	v_and_b32_e32 v16, 0x7f800000, v1
	v_mov_b32_e32 v17, v3
	v_cmp_ne_u64_e64 s[28:29], s[62:63], v[16:17]
	v_and_b32_e32 v2, 0x7fffff, v1
                                        ; implicit-def: $vgpr59
	s_and_saveexec_b64 s[40:41], s[28:29]
	s_xor_b64 s[42:43], exec, s[40:41]
	s_cbranch_execz .LBB2_4179
; %bb.4166:                             ;   in Loop: Header=BB2_4055 Depth=3
	v_and_b32_e32 v16, 0x7fffffff, v1
	v_mov_b32_e32 v17, v3
	v_cmp_gt_u64_e64 s[28:29], s[78:79], v[16:17]
	v_and_b32_sdwa v19, v1, s82 dst_sel:DWORD dst_unused:UNUSED_PAD src0_sel:BYTE_3 src1_sel:DWORD
                                        ; implicit-def: $vgpr59
	s_and_saveexec_b64 s[40:41], s[28:29]
	s_xor_b64 s[38:39], exec, s[40:41]
	s_cbranch_execz .LBB2_4176
; %bb.4167:                             ;   in Loop: Header=BB2_4055 Depth=3
	v_mov_b32_e32 v59, 0
	v_cmp_ne_u32_e64 s[28:29], 0, v1
	s_and_saveexec_b64 s[48:49], s[28:29]
	s_cbranch_execz .LBB2_4175
; %bb.4168:                             ;   in Loop: Header=BB2_4055 Depth=3
	v_bfe_u32 v1, v1, 23, 8
	v_cmp_gt_u32_e64 s[40:41], s44, v1
	v_sub_u32_e32 v16, 0x71, v1
	v_cmp_eq_u32_e64 s[28:29], 0, v1
	v_cndmask_b32_e64 v16, 0, v16, s[40:41]
	v_mov_b32_e32 v18, 0x70
	v_cndmask_b32_e64 v24, v16, v18, s[28:29]
	v_or_b32_e32 v17, 0x800000, v2
	v_add_u32_e32 v16, 21, v24
	v_cndmask_b32_e64 v2, v17, v2, s[28:29]
	v_lshlrev_b64 v[16:17], v16, -1
	v_add_u32_e32 v18, 20, v24
	v_lshlrev_b64 v[39:40], v18, 1
	v_bfi_b32 v17, v17, 0, 0
	v_bfi_b32 v16, v16, 0, v2
	v_cmp_eq_u64_e64 s[40:41], v[16:17], v[39:40]
	v_lshrrev_b64 v[16:17], v24, v[2:3]
	v_mov_b32_e32 v18, v17
	v_mov_b32_e32 v17, v16
	s_and_saveexec_b64 s[50:51], s[40:41]
; %bb.4169:                             ;   in Loop: Header=BB2_4055 Depth=3
	v_bfe_u32 v2, v16, 21, 1
	v_add_co_u32_e64 v2, s[40:41], v16, v2
	v_add_co_u32_e64 v17, s[40:41], -1, v2
; %bb.4170:                             ;   in Loop: Header=BB2_4055 Depth=3
	s_or_b64 exec, exec, s[50:51]
	v_add_u32_e32 v1, 0xffffff81, v1
	v_mov_b32_e32 v2, 0xffffff82
	v_cndmask_b32_e64 v1, v1, v2, s[28:29]
	v_lshrrev_b32_e32 v2, 23, v16
	v_add3_u32 v24, v24, v1, v2
	v_add_u32_e32 v18, 14, v24
	v_and_b32_e32 v1, 0x1fffff, v17
	v_add_u32_e32 v2, v1, v16
	v_cmp_ne_u32_e64 s[28:29], 0, v18
                                        ; implicit-def: $vgpr16_vgpr17
                                        ; implicit-def: $vgpr1
	s_and_saveexec_b64 s[40:41], s[28:29]
	s_xor_b64 s[40:41], exec, s[40:41]
; %bb.4171:                             ;   in Loop: Header=BB2_4055 Depth=3
	v_cmp_lt_u64_e64 s[28:29], s[88:89], v[2:3]
	v_add_u32_e32 v1, 15, v24
	v_cndmask_b32_e64 v16, 0, 1, s[28:29]
	v_cndmask_b32_e64 v1, v18, v1, s[28:29]
	v_lshrrev_b64 v[16:17], v16, v[2:3]
; %bb.4172:                             ;   in Loop: Header=BB2_4055 Depth=3
	s_andn2_saveexec_b64 s[28:29], s[40:41]
; %bb.4173:                             ;   in Loop: Header=BB2_4055 Depth=3
	v_mov_b32_e32 v17, v3
	v_bfe_u32 v1, v2, 23, 1
	v_mov_b32_e32 v16, v2
; %bb.4174:                             ;   in Loop: Header=BB2_4055 Depth=3
	s_or_b64 exec, exec, s[28:29]
	v_lshrrev_b64 v[16:17], 21, v[16:17]
	v_cmp_gt_i32_e64 s[28:29], 32, v1
	v_cndmask_b32_e64 v17, 0, v17, s[28:29]
	v_cndmask_b32_e64 v16, 3, v16, s[28:29]
	v_cmp_eq_u32_e64 s[28:29], 0, v1
	v_min_i32_e32 v1, 31, v1
	v_cmp_eq_u64_e64 s[40:41], 0, v[16:17]
	v_lshlrev_b32_e32 v1, 2, v1
	v_and_b32_e32 v1, 0xfc, v1
	v_and_or_b32 v1, v16, 3, v1
	s_and_b64 s[28:29], s[28:29], s[40:41]
	v_cndmask_b32_e64 v1, v1, 0, s[28:29]
	v_or_b32_e32 v59, v1, v19
.LBB2_4175:                             ;   in Loop: Header=BB2_4055 Depth=3
	s_or_b64 exec, exec, s[48:49]
                                        ; implicit-def: $vgpr19
.LBB2_4176:                             ;   in Loop: Header=BB2_4055 Depth=3
	s_andn2_saveexec_b64 s[28:29], s[38:39]
; %bb.4177:                             ;   in Loop: Header=BB2_4055 Depth=3
	v_or_b32_e32 v59, 0x7b, v19
; %bb.4178:                             ;   in Loop: Header=BB2_4055 Depth=3
	s_or_b64 exec, exec, s[28:29]
                                        ; implicit-def: $vgpr1
.LBB2_4179:                             ;   in Loop: Header=BB2_4055 Depth=3
	s_andn2_saveexec_b64 s[40:41], s[42:43]
	s_cbranch_execz .LBB2_4185
; %bb.4180:                             ;   in Loop: Header=BB2_4055 Depth=3
	v_cmp_ne_u64_e64 s[28:29], 0, v[2:3]
                                        ; implicit-def: $vgpr59
	s_and_saveexec_b64 s[42:43], s[28:29]
	s_xor_b64 s[28:29], exec, s[42:43]
; %bb.4181:                             ;   in Loop: Header=BB2_4055 Depth=3
	v_or_b32_sdwa v59, v1, s81 dst_sel:DWORD dst_unused:UNUSED_PAD src0_sel:BYTE_3 src1_sel:DWORD
                                        ; implicit-def: $vgpr1
; %bb.4182:                             ;   in Loop: Header=BB2_4055 Depth=3
	s_andn2_saveexec_b64 s[42:43], s[28:29]
; %bb.4183:                             ;   in Loop: Header=BB2_4055 Depth=3
	v_cmp_lt_i32_e64 s[28:29], -1, v1
	v_cndmask_b32_e64 v59, v0, v49, s[28:29]
; %bb.4184:                             ;   in Loop: Header=BB2_4055 Depth=3
	s_or_b64 exec, exec, s[42:43]
.LBB2_4185:                             ;   in Loop: Header=BB2_4055 Depth=3
	s_or_b64 exec, exec, s[40:41]
	v_mov_b32_e32 v2, v13
	v_cmp_ne_u16_sdwa s[28:29], v13, v3 src0_sel:BYTE_0 src1_sel:DWORD
	v_mov_b32_e32 v1, 0
	s_and_saveexec_b64 s[40:41], s[28:29]
	s_cbranch_execz .LBB2_4193
; %bb.4186:                             ;   in Loop: Header=BB2_4055 Depth=3
	v_cmp_ne_u16_sdwa s[28:29], v13, s82 src0_sel:BYTE_0 src1_sel:DWORD
	v_bfrev_b32_e32 v1, 1
	s_and_saveexec_b64 s[42:43], s[28:29]
	s_cbranch_execz .LBB2_4192
; %bb.4187:                             ;   in Loop: Header=BB2_4055 Depth=3
	v_and_b32_e32 v1, 0x7c, v13
	v_and_b32_e32 v16, 3, v13
	v_cmp_ne_u32_e64 s[28:29], s71, v1
                                        ; implicit-def: $vgpr1
	s_and_saveexec_b64 s[38:39], s[28:29]
	s_xor_b64 s[38:39], exec, s[38:39]
	s_cbranch_execz .LBB2_4189
; %bb.4188:                             ;   in Loop: Header=BB2_4055 Depth=3
	v_ffbh_u32_e32 v17, v16
	v_min_u32_e32 v19, 32, v17
	v_subrev_u32_e32 v17, 29, v19
	v_lshlrev_b64 v[17:18], v17, v[2:3]
	v_bfe_u32 v1, v13, 2, 5
	v_and_b32_e32 v17, 3, v17
	v_cmp_eq_u32_e64 s[28:29], 0, v1
	v_sub_u32_e32 v18, 30, v19
	v_cndmask_b32_e64 v16, v16, v17, s[28:29]
	v_lshlrev_b32_e32 v17, 24, v13
	v_cndmask_b32_e64 v1, v1, v18, s[28:29]
	v_and_b32_e32 v17, 0x80000000, v17
	v_lshl_add_u32 v1, v1, 23, v17
	v_lshl_or_b32 v1, v16, 21, v1
	v_add_u32_e32 v1, 0x38000000, v1
                                        ; implicit-def: $vgpr16
.LBB2_4189:                             ;   in Loop: Header=BB2_4055 Depth=3
	s_andn2_saveexec_b64 s[38:39], s[38:39]
; %bb.4190:                             ;   in Loop: Header=BB2_4055 Depth=3
	v_cmp_gt_i16_sdwa s[28:29], sext(v13), v26 src0_sel:BYTE_0 src1_sel:DWORD
	v_cndmask_b32_e64 v1, v27, v6, s[28:29]
	v_cmp_eq_u32_e64 s[28:29], 0, v16
	v_cndmask_b32_e64 v1, v7, v1, s[28:29]
; %bb.4191:                             ;   in Loop: Header=BB2_4055 Depth=3
	s_or_b64 exec, exec, s[38:39]
.LBB2_4192:                             ;   in Loop: Header=BB2_4055 Depth=3
	s_or_b64 exec, exec, s[42:43]
.LBB2_4193:                             ;   in Loop: Header=BB2_4055 Depth=3
	s_or_b64 exec, exec, s[40:41]
	v_cmp_gt_i16_sdwa s[40:41], v9, s81 src0_sel:BYTE_0 src1_sel:DWORD
	s_mov_b64 s[28:29], 0
	s_and_saveexec_b64 s[42:43], s[40:41]
	s_xor_b64 s[40:41], exec, s[42:43]
	s_cbranch_execz .LBB2_4197
; %bb.4194:                             ;   in Loop: Header=BB2_4055 Depth=3
	v_cmp_eq_u16_sdwa s[38:39], v9, s82 src0_sel:BYTE_0 src1_sel:DWORD
	s_mov_b64 s[28:29], -1
	s_and_saveexec_b64 s[42:43], s[38:39]
; %bb.4195:                             ;   in Loop: Header=BB2_4055 Depth=3
	s_xor_b64 s[28:29], exec, -1
; %bb.4196:                             ;   in Loop: Header=BB2_4055 Depth=3
	s_or_b64 exec, exec, s[42:43]
	s_and_b64 s[28:29], s[28:29], exec
.LBB2_4197:                             ;   in Loop: Header=BB2_4055 Depth=3
	s_or_saveexec_b64 s[40:41], s[40:41]
	v_bfrev_b32_e32 v18, 1
	s_xor_b64 exec, exec, s[40:41]
; %bb.4198:                             ;   in Loop: Header=BB2_4055 Depth=3
	v_cmp_ne_u16_sdwa s[42:43], v9, v3 src0_sel:BYTE_0 src1_sel:DWORD
	s_andn2_b64 s[28:29], s[28:29], exec
	s_and_b64 s[42:43], s[42:43], exec
	v_mov_b32_e32 v18, 0
	s_or_b64 s[28:29], s[28:29], s[42:43]
; %bb.4199:                             ;   in Loop: Header=BB2_4055 Depth=3
	s_or_b64 exec, exec, s[40:41]
	v_mov_b32_e32 v16, v9
	v_mov_b32_e32 v17, v3
	s_and_saveexec_b64 s[38:39], s[28:29]
	s_cbranch_execz .LBB2_4201
; %bb.4200:                             ;   in Loop: Header=BB2_4055 Depth=3
	v_and_b32_e32 v19, 3, v9
	v_and_b32_e32 v18, 0x7c, v9
	v_cmp_eq_u32_e64 s[28:29], s71, v18
	v_ffbh_u32_e32 v18, v19
	v_min_u32_e32 v25, 32, v18
	v_subrev_u32_e32 v18, 29, v25
	v_bfe_u32 v24, v9, 2, 5
	v_lshlrev_b64 v[17:18], v18, v[16:17]
	v_cmp_eq_u32_e64 s[40:41], 0, v24
	v_sub_u32_e32 v18, 30, v25
	v_cndmask_b32_e64 v18, v24, v18, s[40:41]
	v_lshlrev_b32_e32 v24, 24, v9
	v_and_b32_e32 v17, 3, v17
	v_and_b32_e32 v24, 0x80000000, v24
	v_cndmask_b32_e64 v17, v19, v17, s[40:41]
	v_lshl_add_u32 v18, v18, 23, v24
	v_cmp_gt_i16_sdwa s[42:43], sext(v9), v26 src0_sel:BYTE_0 src1_sel:DWORD
	v_lshl_or_b32 v17, v17, 21, v18
	v_cmp_eq_u32_e64 s[40:41], 0, v19
	v_cndmask_b32_e64 v18, v27, v6, s[42:43]
	v_add_u32_e32 v17, 0x38000000, v17
	v_cndmask_b32_e64 v18, v7, v18, s[40:41]
	v_cndmask_b32_e64 v18, v17, v18, s[28:29]
.LBB2_4201:                             ;   in Loop: Header=BB2_4055 Depth=3
	s_or_b64 exec, exec, s[38:39]
	v_mul_f32_e32 v1, v1, v18
	v_and_b32_e32 v18, 0x7f800000, v1
	v_mov_b32_e32 v19, v3
	v_cmp_ne_u64_e64 s[28:29], s[62:63], v[18:19]
	v_and_b32_e32 v17, 0x7fffff, v1
	v_mov_b32_e32 v18, v3
                                        ; implicit-def: $vgpr19
	s_and_saveexec_b64 s[40:41], s[28:29]
	s_xor_b64 s[42:43], exec, s[40:41]
	s_cbranch_execz .LBB2_4215
; %bb.4202:                             ;   in Loop: Header=BB2_4055 Depth=3
	v_and_b32_e32 v24, 0x7fffffff, v1
	v_mov_b32_e32 v25, v3
	v_cmp_gt_u64_e64 s[28:29], s[78:79], v[24:25]
	v_and_b32_sdwa v24, v1, s82 dst_sel:DWORD dst_unused:UNUSED_PAD src0_sel:BYTE_3 src1_sel:DWORD
                                        ; implicit-def: $vgpr19
	s_and_saveexec_b64 s[40:41], s[28:29]
	s_xor_b64 s[38:39], exec, s[40:41]
	s_cbranch_execz .LBB2_4212
; %bb.4203:                             ;   in Loop: Header=BB2_4055 Depth=3
	v_mov_b32_e32 v19, 0
	v_cmp_ne_u32_e64 s[28:29], 0, v1
	s_and_saveexec_b64 s[48:49], s[28:29]
	s_cbranch_execz .LBB2_4211
; %bb.4204:                             ;   in Loop: Header=BB2_4055 Depth=3
	v_bfe_u32 v1, v1, 23, 8
	v_cmp_gt_u32_e64 s[40:41], s44, v1
	v_sub_u32_e32 v19, 0x71, v1
	v_cmp_eq_u32_e64 s[28:29], 0, v1
	v_cndmask_b32_e64 v19, 0, v19, s[40:41]
	v_mov_b32_e32 v25, 0x70
	v_cndmask_b32_e64 v25, v19, v25, s[28:29]
	v_or_b32_e32 v39, 0x800000, v17
	v_add_u32_e32 v19, 21, v25
	v_cndmask_b32_e64 v17, v39, v17, s[28:29]
	v_lshlrev_b64 v[39:40], v19, -1
	v_add_u32_e32 v19, 20, v25
	v_bfi_b32 v39, v39, 0, v17
	v_lshlrev_b64 v[41:42], v19, 1
	v_lshrrev_b64 v[17:18], v25, v[17:18]
	v_bfi_b32 v40, v40, 0, 0
	v_cmp_eq_u64_e64 s[40:41], v[39:40], v[41:42]
	v_mov_b32_e32 v19, v18
	v_mov_b32_e32 v18, v17
	s_and_saveexec_b64 s[50:51], s[40:41]
; %bb.4205:                             ;   in Loop: Header=BB2_4055 Depth=3
	v_bfe_u32 v18, v17, 21, 1
	v_add_co_u32_e64 v18, s[40:41], v17, v18
	v_add_co_u32_e64 v18, s[40:41], -1, v18
; %bb.4206:                             ;   in Loop: Header=BB2_4055 Depth=3
	s_or_b64 exec, exec, s[50:51]
	v_add_u32_e32 v1, 0xffffff81, v1
	v_mov_b32_e32 v19, 0xffffff82
	v_cndmask_b32_e64 v1, v1, v19, s[28:29]
	v_lshrrev_b32_e32 v19, 23, v17
	v_add3_u32 v25, v25, v1, v19
	v_add_u32_e32 v19, 14, v25
	v_and_b32_e32 v1, 0x1fffff, v18
	v_add_u32_e32 v17, v1, v17
	v_mov_b32_e32 v18, v3
	v_cmp_ne_u32_e64 s[28:29], 0, v19
                                        ; implicit-def: $vgpr1
	s_and_saveexec_b64 s[40:41], s[28:29]
	s_xor_b64 s[40:41], exec, s[40:41]
; %bb.4207:                             ;   in Loop: Header=BB2_4055 Depth=3
	v_cmp_lt_u64_e64 s[28:29], s[88:89], v[17:18]
	v_add_u32_e32 v1, 15, v25
	v_cndmask_b32_e64 v1, v19, v1, s[28:29]
	v_cndmask_b32_e64 v19, 0, 1, s[28:29]
	v_lshrrev_b64 v[17:18], v19, v[17:18]
; %bb.4208:                             ;   in Loop: Header=BB2_4055 Depth=3
	s_andn2_saveexec_b64 s[28:29], s[40:41]
; %bb.4209:                             ;   in Loop: Header=BB2_4055 Depth=3
	v_bfe_u32 v1, v17, 23, 1
; %bb.4210:                             ;   in Loop: Header=BB2_4055 Depth=3
	s_or_b64 exec, exec, s[28:29]
	v_lshrrev_b64 v[17:18], 21, v[17:18]
	v_cmp_gt_i32_e64 s[28:29], 32, v1
	v_cndmask_b32_e64 v18, 0, v18, s[28:29]
	v_cndmask_b32_e64 v17, 3, v17, s[28:29]
	v_cmp_eq_u32_e64 s[28:29], 0, v1
	v_min_i32_e32 v1, 31, v1
	v_cmp_eq_u64_e64 s[40:41], 0, v[17:18]
	v_lshlrev_b32_e32 v1, 2, v1
	v_and_b32_e32 v1, 0xfc, v1
	v_and_or_b32 v1, v17, 3, v1
	s_and_b64 s[28:29], s[28:29], s[40:41]
	v_cndmask_b32_e64 v1, v1, 0, s[28:29]
	v_or_b32_e32 v19, v1, v24
.LBB2_4211:                             ;   in Loop: Header=BB2_4055 Depth=3
	s_or_b64 exec, exec, s[48:49]
                                        ; implicit-def: $vgpr24
.LBB2_4212:                             ;   in Loop: Header=BB2_4055 Depth=3
	s_andn2_saveexec_b64 s[28:29], s[38:39]
; %bb.4213:                             ;   in Loop: Header=BB2_4055 Depth=3
	v_or_b32_e32 v19, 0x7b, v24
; %bb.4214:                             ;   in Loop: Header=BB2_4055 Depth=3
	s_or_b64 exec, exec, s[28:29]
                                        ; implicit-def: $vgpr1
                                        ; implicit-def: $vgpr17_vgpr18
.LBB2_4215:                             ;   in Loop: Header=BB2_4055 Depth=3
	s_andn2_saveexec_b64 s[40:41], s[42:43]
	s_cbranch_execz .LBB2_4221
; %bb.4216:                             ;   in Loop: Header=BB2_4055 Depth=3
	v_cmp_ne_u64_e64 s[28:29], 0, v[17:18]
                                        ; implicit-def: $vgpr19
	s_and_saveexec_b64 s[42:43], s[28:29]
	s_xor_b64 s[28:29], exec, s[42:43]
; %bb.4217:                             ;   in Loop: Header=BB2_4055 Depth=3
	v_or_b32_sdwa v19, v1, s81 dst_sel:DWORD dst_unused:UNUSED_PAD src0_sel:BYTE_3 src1_sel:DWORD
                                        ; implicit-def: $vgpr1
; %bb.4218:                             ;   in Loop: Header=BB2_4055 Depth=3
	s_andn2_saveexec_b64 s[42:43], s[28:29]
; %bb.4219:                             ;   in Loop: Header=BB2_4055 Depth=3
	v_cmp_lt_i32_e64 s[28:29], -1, v1
	v_cndmask_b32_e64 v19, v0, v49, s[28:29]
; %bb.4220:                             ;   in Loop: Header=BB2_4055 Depth=3
	s_or_b64 exec, exec, s[42:43]
.LBB2_4221:                             ;   in Loop: Header=BB2_4055 Depth=3
	s_or_b64 exec, exec, s[40:41]
	v_lshrrev_b16_e32 v17, 8, v2
	v_cmp_ne_u16_e64 s[28:29], 0, v17
	v_mov_b32_e32 v1, 0
	s_and_saveexec_b64 s[40:41], s[28:29]
	s_cbranch_execz .LBB2_4229
; %bb.4222:                             ;   in Loop: Header=BB2_4055 Depth=3
	v_cmp_ne_u16_e64 s[28:29], s82, v17
	v_bfrev_b32_e32 v1, 1
	s_and_saveexec_b64 s[42:43], s[28:29]
	s_cbranch_execz .LBB2_4228
; %bb.4223:                             ;   in Loop: Header=BB2_4055 Depth=3
	v_and_b32_e32 v1, 0x7c, v17
	v_and_b32_e32 v24, 3, v17
	v_cmp_ne_u32_e64 s[28:29], s71, v1
                                        ; implicit-def: $vgpr1
	s_and_saveexec_b64 s[38:39], s[28:29]
	s_xor_b64 s[38:39], exec, s[38:39]
	s_cbranch_execz .LBB2_4225
; %bb.4224:                             ;   in Loop: Header=BB2_4055 Depth=3
	v_ffbh_u32_e32 v25, v24
	v_min_u32_e32 v25, 32, v25
	v_mov_b32_e32 v18, v3
	v_subrev_u32_e32 v39, 29, v25
	v_bfe_u32 v1, v17, 2, 5
	v_lshlrev_b64 v[17:18], v39, v[17:18]
	v_sub_u32_e32 v18, 30, v25
	v_cmp_eq_u32_e64 s[28:29], 0, v1
	v_lshlrev_b32_e32 v2, 16, v2
	v_and_b32_e32 v17, 3, v17
	v_cndmask_b32_e64 v1, v1, v18, s[28:29]
	v_and_b32_e32 v2, 0x80000000, v2
	v_cndmask_b32_e64 v17, v24, v17, s[28:29]
	v_lshl_add_u32 v1, v1, 23, v2
	v_lshl_or_b32 v1, v17, 21, v1
	v_add_u32_e32 v1, 0x38000000, v1
                                        ; implicit-def: $vgpr24
.LBB2_4225:                             ;   in Loop: Header=BB2_4055 Depth=3
	s_andn2_saveexec_b64 s[38:39], s[38:39]
; %bb.4226:                             ;   in Loop: Header=BB2_4055 Depth=3
	v_cmp_lt_i16_e64 s[28:29], -1, v2
	v_cndmask_b32_e64 v1, v27, v6, s[28:29]
	v_cmp_eq_u32_e64 s[28:29], 0, v24
	v_cndmask_b32_e64 v1, v7, v1, s[28:29]
; %bb.4227:                             ;   in Loop: Header=BB2_4055 Depth=3
	s_or_b64 exec, exec, s[38:39]
.LBB2_4228:                             ;   in Loop: Header=BB2_4055 Depth=3
	s_or_b64 exec, exec, s[42:43]
.LBB2_4229:                             ;   in Loop: Header=BB2_4055 Depth=3
	s_or_b64 exec, exec, s[40:41]
	v_lshrrev_b16_e32 v2, 8, v16
	v_cmp_lt_i16_e64 s[28:29], s81, v2
	s_mov_b64 s[40:41], 0
	s_and_saveexec_b64 s[42:43], s[28:29]
	s_xor_b64 s[42:43], exec, s[42:43]
	s_cbranch_execz .LBB2_4584
; %bb.4230:                             ;   in Loop: Header=BB2_4055 Depth=3
	v_cmp_eq_u16_e64 s[28:29], s82, v2
	s_mov_b64 s[40:41], -1
	s_and_saveexec_b64 s[38:39], s[28:29]
; %bb.4231:                             ;   in Loop: Header=BB2_4055 Depth=3
	s_xor_b64 s[40:41], exec, -1
; %bb.4232:                             ;   in Loop: Header=BB2_4055 Depth=3
	s_or_b64 exec, exec, s[38:39]
	s_and_b64 s[40:41], s[40:41], exec
	s_or_saveexec_b64 s[42:43], s[42:43]
	v_bfrev_b32_e32 v17, 1
	s_xor_b64 exec, exec, s[42:43]
	s_cbranch_execnz .LBB2_4585
.LBB2_4233:                             ;   in Loop: Header=BB2_4055 Depth=3
	s_or_b64 exec, exec, s[42:43]
	s_and_saveexec_b64 s[38:39], s[40:41]
	s_cbranch_execz .LBB2_4235
.LBB2_4234:                             ;   in Loop: Header=BB2_4055 Depth=3
	v_and_b32_e32 v24, 3, v2
	v_and_b32_e32 v17, 0x7c, v2
	v_cmp_eq_u32_e64 s[28:29], s71, v17
	v_ffbh_u32_e32 v17, v24
	v_min_u32_e32 v39, 32, v17
	v_subrev_u32_e32 v17, 29, v39
	v_bfe_u32 v25, v2, 2, 5
	v_lshlrev_b64 v[17:18], v17, v[2:3]
	v_cmp_eq_u32_e64 s[40:41], 0, v25
	v_sub_u32_e32 v18, 30, v39
	v_lshlrev_b32_e32 v2, 24, v2
	v_and_b32_e32 v17, 3, v17
	v_cndmask_b32_e64 v18, v25, v18, s[40:41]
	v_and_b32_e32 v2, 0x80000000, v2
	v_cndmask_b32_e64 v17, v24, v17, s[40:41]
	v_lshl_add_u32 v2, v18, 23, v2
	v_cmp_lt_i16_e64 s[42:43], -1, v16
	v_lshl_or_b32 v2, v17, 21, v2
	v_cmp_eq_u32_e64 s[40:41], 0, v24
	v_cndmask_b32_e64 v16, v27, v6, s[42:43]
	v_add_u32_e32 v2, 0x38000000, v2
	v_cndmask_b32_e64 v16, v7, v16, s[40:41]
	v_cndmask_b32_e64 v17, v2, v16, s[28:29]
.LBB2_4235:                             ;   in Loop: Header=BB2_4055 Depth=3
	s_or_b64 exec, exec, s[38:39]
	v_mul_f32_e32 v1, v1, v17
	v_and_b32_e32 v16, 0x7f800000, v1
	v_mov_b32_e32 v17, v3
	v_cmp_ne_u64_e64 s[28:29], s[62:63], v[16:17]
	v_and_b32_e32 v2, 0x7fffff, v1
                                        ; implicit-def: $vgpr24
	s_and_saveexec_b64 s[40:41], s[28:29]
	s_xor_b64 s[42:43], exec, s[40:41]
	s_cbranch_execz .LBB2_4249
; %bb.4236:                             ;   in Loop: Header=BB2_4055 Depth=3
	v_and_b32_e32 v16, 0x7fffffff, v1
	v_mov_b32_e32 v17, v3
	v_cmp_gt_u64_e64 s[28:29], s[78:79], v[16:17]
	v_and_b32_sdwa v25, v1, s82 dst_sel:DWORD dst_unused:UNUSED_PAD src0_sel:BYTE_3 src1_sel:DWORD
                                        ; implicit-def: $vgpr24
	s_and_saveexec_b64 s[40:41], s[28:29]
	s_xor_b64 s[38:39], exec, s[40:41]
	s_cbranch_execz .LBB2_4246
; %bb.4237:                             ;   in Loop: Header=BB2_4055 Depth=3
	v_mov_b32_e32 v24, 0
	v_cmp_ne_u32_e64 s[28:29], 0, v1
	s_and_saveexec_b64 s[48:49], s[28:29]
	s_cbranch_execz .LBB2_4245
; %bb.4238:                             ;   in Loop: Header=BB2_4055 Depth=3
	v_bfe_u32 v1, v1, 23, 8
	v_cmp_gt_u32_e64 s[40:41], s44, v1
	v_sub_u32_e32 v16, 0x71, v1
	v_cmp_eq_u32_e64 s[28:29], 0, v1
	v_cndmask_b32_e64 v16, 0, v16, s[40:41]
	v_mov_b32_e32 v18, 0x70
	v_cndmask_b32_e64 v24, v16, v18, s[28:29]
	v_or_b32_e32 v17, 0x800000, v2
	v_add_u32_e32 v16, 21, v24
	v_cndmask_b32_e64 v2, v17, v2, s[28:29]
	v_lshlrev_b64 v[16:17], v16, -1
	v_add_u32_e32 v18, 20, v24
	v_lshlrev_b64 v[39:40], v18, 1
	v_bfi_b32 v17, v17, 0, 0
	v_bfi_b32 v16, v16, 0, v2
	v_cmp_eq_u64_e64 s[40:41], v[16:17], v[39:40]
	v_lshrrev_b64 v[16:17], v24, v[2:3]
	v_mov_b32_e32 v18, v17
	v_mov_b32_e32 v17, v16
	s_and_saveexec_b64 s[50:51], s[40:41]
; %bb.4239:                             ;   in Loop: Header=BB2_4055 Depth=3
	v_bfe_u32 v2, v16, 21, 1
	v_add_co_u32_e64 v2, s[40:41], v16, v2
	v_add_co_u32_e64 v17, s[40:41], -1, v2
; %bb.4240:                             ;   in Loop: Header=BB2_4055 Depth=3
	s_or_b64 exec, exec, s[50:51]
	v_add_u32_e32 v1, 0xffffff81, v1
	v_mov_b32_e32 v2, 0xffffff82
	v_cndmask_b32_e64 v1, v1, v2, s[28:29]
	v_lshrrev_b32_e32 v2, 23, v16
	v_add3_u32 v24, v24, v1, v2
	v_add_u32_e32 v18, 14, v24
	v_and_b32_e32 v1, 0x1fffff, v17
	v_add_u32_e32 v2, v1, v16
	v_cmp_ne_u32_e64 s[28:29], 0, v18
                                        ; implicit-def: $vgpr16_vgpr17
                                        ; implicit-def: $vgpr1
	s_and_saveexec_b64 s[40:41], s[28:29]
	s_xor_b64 s[40:41], exec, s[40:41]
; %bb.4241:                             ;   in Loop: Header=BB2_4055 Depth=3
	v_cmp_lt_u64_e64 s[28:29], s[88:89], v[2:3]
	v_add_u32_e32 v1, 15, v24
	v_cndmask_b32_e64 v16, 0, 1, s[28:29]
	v_cndmask_b32_e64 v1, v18, v1, s[28:29]
	v_lshrrev_b64 v[16:17], v16, v[2:3]
; %bb.4242:                             ;   in Loop: Header=BB2_4055 Depth=3
	s_andn2_saveexec_b64 s[28:29], s[40:41]
; %bb.4243:                             ;   in Loop: Header=BB2_4055 Depth=3
	v_mov_b32_e32 v17, v3
	v_bfe_u32 v1, v2, 23, 1
	v_mov_b32_e32 v16, v2
; %bb.4244:                             ;   in Loop: Header=BB2_4055 Depth=3
	s_or_b64 exec, exec, s[28:29]
	v_lshrrev_b64 v[16:17], 21, v[16:17]
	v_cmp_gt_i32_e64 s[28:29], 32, v1
	v_cndmask_b32_e64 v17, 0, v17, s[28:29]
	v_cndmask_b32_e64 v16, 3, v16, s[28:29]
	v_cmp_eq_u32_e64 s[28:29], 0, v1
	v_min_i32_e32 v1, 31, v1
	v_cmp_eq_u64_e64 s[40:41], 0, v[16:17]
	v_lshlrev_b32_e32 v1, 2, v1
	v_and_b32_e32 v1, 0xfc, v1
	v_and_or_b32 v1, v16, 3, v1
	s_and_b64 s[28:29], s[28:29], s[40:41]
	v_cndmask_b32_e64 v1, v1, 0, s[28:29]
	v_or_b32_e32 v24, v1, v25
.LBB2_4245:                             ;   in Loop: Header=BB2_4055 Depth=3
	s_or_b64 exec, exec, s[48:49]
                                        ; implicit-def: $vgpr25
.LBB2_4246:                             ;   in Loop: Header=BB2_4055 Depth=3
	s_andn2_saveexec_b64 s[28:29], s[38:39]
; %bb.4247:                             ;   in Loop: Header=BB2_4055 Depth=3
	v_or_b32_e32 v24, 0x7b, v25
; %bb.4248:                             ;   in Loop: Header=BB2_4055 Depth=3
	s_or_b64 exec, exec, s[28:29]
                                        ; implicit-def: $vgpr1
.LBB2_4249:                             ;   in Loop: Header=BB2_4055 Depth=3
	s_andn2_saveexec_b64 s[40:41], s[42:43]
	s_cbranch_execz .LBB2_4255
; %bb.4250:                             ;   in Loop: Header=BB2_4055 Depth=3
	v_cmp_ne_u64_e64 s[28:29], 0, v[2:3]
                                        ; implicit-def: $vgpr24
	s_and_saveexec_b64 s[42:43], s[28:29]
	s_xor_b64 s[28:29], exec, s[42:43]
; %bb.4251:                             ;   in Loop: Header=BB2_4055 Depth=3
	v_or_b32_sdwa v24, v1, s81 dst_sel:DWORD dst_unused:UNUSED_PAD src0_sel:BYTE_3 src1_sel:DWORD
                                        ; implicit-def: $vgpr1
; %bb.4252:                             ;   in Loop: Header=BB2_4055 Depth=3
	s_andn2_saveexec_b64 s[42:43], s[28:29]
; %bb.4253:                             ;   in Loop: Header=BB2_4055 Depth=3
	v_cmp_lt_i32_e64 s[28:29], -1, v1
	v_cndmask_b32_e64 v24, v0, v49, s[28:29]
; %bb.4254:                             ;   in Loop: Header=BB2_4055 Depth=3
	s_or_b64 exec, exec, s[42:43]
.LBB2_4255:                             ;   in Loop: Header=BB2_4055 Depth=3
	s_or_b64 exec, exec, s[40:41]
	v_lshrrev_b32_e32 v2, 16, v13
	v_cmp_ne_u16_sdwa s[28:29], v2, v3 src0_sel:BYTE_0 src1_sel:DWORD
	v_mov_b32_e32 v1, 0
	s_and_saveexec_b64 s[40:41], s[28:29]
	s_cbranch_execz .LBB2_4263
; %bb.4256:                             ;   in Loop: Header=BB2_4055 Depth=3
	v_cmp_ne_u16_sdwa s[28:29], v2, s82 src0_sel:BYTE_0 src1_sel:DWORD
	v_bfrev_b32_e32 v1, 1
	s_and_saveexec_b64 s[42:43], s[28:29]
	s_cbranch_execz .LBB2_4262
; %bb.4257:                             ;   in Loop: Header=BB2_4055 Depth=3
	v_and_b32_e32 v1, 0x7c0000, v13
	v_bfe_u32 v16, v13, 16, 2
	v_cmp_ne_u32_e64 s[28:29], s45, v1
                                        ; implicit-def: $vgpr1
	s_and_saveexec_b64 s[38:39], s[28:29]
	s_xor_b64 s[38:39], exec, s[38:39]
	s_cbranch_execz .LBB2_4259
; %bb.4258:                             ;   in Loop: Header=BB2_4055 Depth=3
	v_ffbh_u32_e32 v1, v16
	v_min_u32_e32 v18, 32, v1
	v_subrev_u32_e32 v1, 29, v18
	v_lshlrev_b64 v[1:2], v1, v[2:3]
	v_bfe_u32 v17, v13, 18, 5
	v_and_b32_e32 v1, 3, v1
	v_cmp_eq_u32_e64 s[28:29], 0, v17
	v_sub_u32_e32 v2, 30, v18
	v_cndmask_b32_e64 v1, v16, v1, s[28:29]
	v_lshlrev_b32_e32 v16, 8, v13
	v_cndmask_b32_e64 v2, v17, v2, s[28:29]
	v_and_b32_e32 v16, 0x80000000, v16
	v_lshl_add_u32 v2, v2, 23, v16
	v_lshl_or_b32 v1, v1, 21, v2
	v_add_u32_e32 v1, 0x38000000, v1
                                        ; implicit-def: $vgpr16
                                        ; implicit-def: $vgpr2
.LBB2_4259:                             ;   in Loop: Header=BB2_4055 Depth=3
	s_andn2_saveexec_b64 s[38:39], s[38:39]
; %bb.4260:                             ;   in Loop: Header=BB2_4055 Depth=3
	v_cmp_gt_i16_sdwa s[28:29], sext(v2), v26 src0_sel:BYTE_0 src1_sel:DWORD
	v_cndmask_b32_e64 v1, v27, v6, s[28:29]
	v_cmp_eq_u32_e64 s[28:29], 0, v16
	v_cndmask_b32_e64 v1, v7, v1, s[28:29]
; %bb.4261:                             ;   in Loop: Header=BB2_4055 Depth=3
	s_or_b64 exec, exec, s[38:39]
.LBB2_4262:                             ;   in Loop: Header=BB2_4055 Depth=3
	s_or_b64 exec, exec, s[42:43]
.LBB2_4263:                             ;   in Loop: Header=BB2_4055 Depth=3
	s_or_b64 exec, exec, s[40:41]
	v_lshrrev_b32_e32 v2, 16, v9
	v_cmp_gt_i16_sdwa s[40:41], v2, s81 src0_sel:BYTE_0 src1_sel:DWORD
	s_mov_b64 s[28:29], 0
	s_and_saveexec_b64 s[42:43], s[40:41]
	s_xor_b64 s[40:41], exec, s[42:43]
	s_cbranch_execz .LBB2_4586
; %bb.4264:                             ;   in Loop: Header=BB2_4055 Depth=3
	v_cmp_eq_u16_sdwa s[38:39], v2, s82 src0_sel:BYTE_0 src1_sel:DWORD
	s_mov_b64 s[28:29], -1
	s_and_saveexec_b64 s[42:43], s[38:39]
; %bb.4265:                             ;   in Loop: Header=BB2_4055 Depth=3
	s_xor_b64 s[28:29], exec, -1
; %bb.4266:                             ;   in Loop: Header=BB2_4055 Depth=3
	s_or_b64 exec, exec, s[42:43]
	s_and_b64 s[28:29], s[28:29], exec
	s_or_saveexec_b64 s[40:41], s[40:41]
	v_bfrev_b32_e32 v16, 1
	s_xor_b64 exec, exec, s[40:41]
	s_cbranch_execnz .LBB2_4587
.LBB2_4267:                             ;   in Loop: Header=BB2_4055 Depth=3
	s_or_b64 exec, exec, s[40:41]
	s_and_saveexec_b64 s[38:39], s[28:29]
	s_cbranch_execz .LBB2_4269
.LBB2_4268:                             ;   in Loop: Header=BB2_4055 Depth=3
	v_and_b32_e32 v18, 3, v2
	v_and_b32_e32 v16, 0x7c0000, v9
	v_cmp_eq_u32_e64 s[28:29], s45, v16
	v_ffbh_u32_e32 v16, v18
	v_min_u32_e32 v39, 32, v16
	v_subrev_u32_e32 v16, 29, v39
	v_bfe_u32 v25, v9, 18, 5
	v_lshlrev_b64 v[16:17], v16, v[2:3]
	v_cmp_eq_u32_e64 s[40:41], 0, v25
	v_sub_u32_e32 v17, 30, v39
	v_cndmask_b32_e64 v17, v25, v17, s[40:41]
	v_lshlrev_b32_e32 v25, 24, v2
	v_and_b32_e32 v16, 3, v16
	v_and_b32_e32 v25, 0x80000000, v25
	v_cndmask_b32_e64 v16, v18, v16, s[40:41]
	v_lshl_add_u32 v17, v17, 23, v25
	v_cmp_gt_i16_sdwa s[42:43], sext(v2), v26 src0_sel:BYTE_0 src1_sel:DWORD
	v_lshl_or_b32 v16, v16, 21, v17
	v_cmp_eq_u32_e64 s[40:41], 0, v18
	v_cndmask_b32_e64 v2, v27, v6, s[42:43]
	v_add_u32_e32 v16, 0x38000000, v16
	v_cndmask_b32_e64 v2, v7, v2, s[40:41]
	v_cndmask_b32_e64 v16, v16, v2, s[28:29]
.LBB2_4269:                             ;   in Loop: Header=BB2_4055 Depth=3
	s_or_b64 exec, exec, s[38:39]
	v_mul_f32_e32 v1, v1, v16
	v_and_b32_e32 v16, 0x7f800000, v1
	v_mov_b32_e32 v17, v3
	v_cmp_ne_u64_e64 s[28:29], s[62:63], v[16:17]
	v_and_b32_e32 v2, 0x7fffff, v1
                                        ; implicit-def: $vgpr18
	s_and_saveexec_b64 s[40:41], s[28:29]
	s_xor_b64 s[42:43], exec, s[40:41]
	s_cbranch_execz .LBB2_4283
; %bb.4270:                             ;   in Loop: Header=BB2_4055 Depth=3
	v_and_b32_e32 v16, 0x7fffffff, v1
	v_mov_b32_e32 v17, v3
	v_cmp_gt_u64_e64 s[28:29], s[78:79], v[16:17]
	v_and_b32_sdwa v25, v1, s82 dst_sel:DWORD dst_unused:UNUSED_PAD src0_sel:BYTE_3 src1_sel:DWORD
                                        ; implicit-def: $vgpr18
	s_and_saveexec_b64 s[40:41], s[28:29]
	s_xor_b64 s[38:39], exec, s[40:41]
	s_cbranch_execz .LBB2_4280
; %bb.4271:                             ;   in Loop: Header=BB2_4055 Depth=3
	v_mov_b32_e32 v18, 0
	v_cmp_ne_u32_e64 s[28:29], 0, v1
	s_and_saveexec_b64 s[48:49], s[28:29]
	s_cbranch_execz .LBB2_4279
; %bb.4272:                             ;   in Loop: Header=BB2_4055 Depth=3
	v_bfe_u32 v1, v1, 23, 8
	v_cmp_gt_u32_e64 s[40:41], s44, v1
	v_sub_u32_e32 v16, 0x71, v1
	v_cmp_eq_u32_e64 s[28:29], 0, v1
	v_cndmask_b32_e64 v16, 0, v16, s[40:41]
	v_mov_b32_e32 v18, 0x70
	v_cndmask_b32_e64 v39, v16, v18, s[28:29]
	v_or_b32_e32 v17, 0x800000, v2
	v_add_u32_e32 v16, 21, v39
	v_cndmask_b32_e64 v2, v17, v2, s[28:29]
	v_lshlrev_b64 v[16:17], v16, -1
	v_add_u32_e32 v18, 20, v39
	v_lshlrev_b64 v[40:41], v18, 1
	v_bfi_b32 v17, v17, 0, 0
	v_bfi_b32 v16, v16, 0, v2
	v_cmp_eq_u64_e64 s[40:41], v[16:17], v[40:41]
	v_lshrrev_b64 v[16:17], v39, v[2:3]
	v_mov_b32_e32 v18, v17
	v_mov_b32_e32 v17, v16
	s_and_saveexec_b64 s[50:51], s[40:41]
; %bb.4273:                             ;   in Loop: Header=BB2_4055 Depth=3
	v_bfe_u32 v2, v16, 21, 1
	v_add_co_u32_e64 v2, s[40:41], v16, v2
	v_add_co_u32_e64 v17, s[40:41], -1, v2
; %bb.4274:                             ;   in Loop: Header=BB2_4055 Depth=3
	s_or_b64 exec, exec, s[50:51]
	v_add_u32_e32 v1, 0xffffff81, v1
	v_mov_b32_e32 v2, 0xffffff82
	v_cndmask_b32_e64 v1, v1, v2, s[28:29]
	v_lshrrev_b32_e32 v2, 23, v16
	v_add3_u32 v39, v39, v1, v2
	v_add_u32_e32 v18, 14, v39
	v_and_b32_e32 v1, 0x1fffff, v17
	v_add_u32_e32 v2, v1, v16
	v_cmp_ne_u32_e64 s[28:29], 0, v18
                                        ; implicit-def: $vgpr16_vgpr17
                                        ; implicit-def: $vgpr1
	s_and_saveexec_b64 s[40:41], s[28:29]
	s_xor_b64 s[40:41], exec, s[40:41]
; %bb.4275:                             ;   in Loop: Header=BB2_4055 Depth=3
	v_cmp_lt_u64_e64 s[28:29], s[88:89], v[2:3]
	v_add_u32_e32 v1, 15, v39
	v_cndmask_b32_e64 v16, 0, 1, s[28:29]
	v_cndmask_b32_e64 v1, v18, v1, s[28:29]
	v_lshrrev_b64 v[16:17], v16, v[2:3]
; %bb.4276:                             ;   in Loop: Header=BB2_4055 Depth=3
	s_andn2_saveexec_b64 s[28:29], s[40:41]
; %bb.4277:                             ;   in Loop: Header=BB2_4055 Depth=3
	v_mov_b32_e32 v17, v3
	v_bfe_u32 v1, v2, 23, 1
	v_mov_b32_e32 v16, v2
; %bb.4278:                             ;   in Loop: Header=BB2_4055 Depth=3
	s_or_b64 exec, exec, s[28:29]
	v_lshrrev_b64 v[16:17], 21, v[16:17]
	v_cmp_gt_i32_e64 s[28:29], 32, v1
	v_cndmask_b32_e64 v17, 0, v17, s[28:29]
	v_cndmask_b32_e64 v16, 3, v16, s[28:29]
	v_cmp_eq_u32_e64 s[28:29], 0, v1
	v_min_i32_e32 v1, 31, v1
	v_cmp_eq_u64_e64 s[40:41], 0, v[16:17]
	v_lshlrev_b32_e32 v1, 2, v1
	v_and_b32_e32 v1, 0xfc, v1
	v_and_or_b32 v1, v16, 3, v1
	s_and_b64 s[28:29], s[28:29], s[40:41]
	v_cndmask_b32_e64 v1, v1, 0, s[28:29]
	v_or_b32_e32 v18, v1, v25
.LBB2_4279:                             ;   in Loop: Header=BB2_4055 Depth=3
	s_or_b64 exec, exec, s[48:49]
                                        ; implicit-def: $vgpr25
.LBB2_4280:                             ;   in Loop: Header=BB2_4055 Depth=3
	s_andn2_saveexec_b64 s[28:29], s[38:39]
; %bb.4281:                             ;   in Loop: Header=BB2_4055 Depth=3
	v_or_b32_e32 v18, 0x7b, v25
; %bb.4282:                             ;   in Loop: Header=BB2_4055 Depth=3
	s_or_b64 exec, exec, s[28:29]
                                        ; implicit-def: $vgpr1
.LBB2_4283:                             ;   in Loop: Header=BB2_4055 Depth=3
	s_andn2_saveexec_b64 s[40:41], s[42:43]
	s_cbranch_execz .LBB2_4289
; %bb.4284:                             ;   in Loop: Header=BB2_4055 Depth=3
	v_cmp_ne_u64_e64 s[28:29], 0, v[2:3]
                                        ; implicit-def: $vgpr18
	s_and_saveexec_b64 s[42:43], s[28:29]
	s_xor_b64 s[28:29], exec, s[42:43]
; %bb.4285:                             ;   in Loop: Header=BB2_4055 Depth=3
	v_or_b32_sdwa v18, v1, s81 dst_sel:DWORD dst_unused:UNUSED_PAD src0_sel:BYTE_3 src1_sel:DWORD
                                        ; implicit-def: $vgpr1
; %bb.4286:                             ;   in Loop: Header=BB2_4055 Depth=3
	s_andn2_saveexec_b64 s[42:43], s[28:29]
; %bb.4287:                             ;   in Loop: Header=BB2_4055 Depth=3
	v_cmp_lt_i32_e64 s[28:29], -1, v1
	v_cndmask_b32_e64 v18, v0, v49, s[28:29]
; %bb.4288:                             ;   in Loop: Header=BB2_4055 Depth=3
	s_or_b64 exec, exec, s[42:43]
.LBB2_4289:                             ;   in Loop: Header=BB2_4055 Depth=3
	s_or_b64 exec, exec, s[40:41]
	v_cmp_lt_u64_e64 s[28:29], s[56:57], v[12:13]
	v_mov_b32_e32 v1, 0
	s_and_saveexec_b64 s[40:41], s[28:29]
	s_cbranch_execz .LBB2_4297
; %bb.4290:                             ;   in Loop: Header=BB2_4055 Depth=3
	v_lshrrev_b32_e32 v2, 24, v13
	v_cmp_ne_u32_e64 s[28:29], s82, v2
	v_bfrev_b32_e32 v1, 1
	s_and_saveexec_b64 s[42:43], s[28:29]
	s_cbranch_execz .LBB2_4296
; %bb.4291:                             ;   in Loop: Header=BB2_4055 Depth=3
	v_and_b32_e32 v1, 0x7c000000, v13
	v_bfe_u32 v16, v13, 24, 2
	v_cmp_ne_u32_e64 s[28:29], s83, v1
                                        ; implicit-def: $vgpr1
	s_and_saveexec_b64 s[38:39], s[28:29]
	s_xor_b64 s[38:39], exec, s[38:39]
	s_cbranch_execz .LBB2_4293
; %bb.4292:                             ;   in Loop: Header=BB2_4055 Depth=3
	v_ffbh_u32_e32 v1, v16
	v_min_u32_e32 v25, 32, v1
	v_subrev_u32_e32 v1, 29, v25
	v_lshlrev_b64 v[1:2], v1, v[2:3]
	v_bfe_u32 v17, v13, 26, 5
	v_sub_u32_e32 v2, 30, v25
	v_and_b32_e32 v1, 3, v1
	v_cmp_eq_u32_e64 s[28:29], 0, v17
	v_cndmask_b32_e64 v2, v17, v2, s[28:29]
	v_cndmask_b32_e64 v1, v16, v1, s[28:29]
	v_and_b32_e32 v16, 0x80000000, v13
	v_lshl_add_u32 v2, v2, 23, v16
	v_lshl_or_b32 v1, v1, 21, v2
	v_add_u32_e32 v1, 0x38000000, v1
                                        ; implicit-def: $vgpr16
.LBB2_4293:                             ;   in Loop: Header=BB2_4055 Depth=3
	s_andn2_saveexec_b64 s[38:39], s[38:39]
; %bb.4294:                             ;   in Loop: Header=BB2_4055 Depth=3
	v_cmp_lt_i64_e64 s[28:29], -1, v[12:13]
	v_cndmask_b32_e64 v1, v27, v6, s[28:29]
	v_cmp_eq_u32_e64 s[28:29], 0, v16
	v_cndmask_b32_e64 v1, v7, v1, s[28:29]
; %bb.4295:                             ;   in Loop: Header=BB2_4055 Depth=3
	s_or_b64 exec, exec, s[38:39]
.LBB2_4296:                             ;   in Loop: Header=BB2_4055 Depth=3
	s_or_b64 exec, exec, s[42:43]
.LBB2_4297:                             ;   in Loop: Header=BB2_4055 Depth=3
	s_or_b64 exec, exec, s[40:41]
	v_bfe_u32 v16, v9, 24, 2
	v_and_b32_e32 v12, 0x7c000000, v9
	v_cmp_eq_u32_e64 s[28:29], s83, v12
	v_ffbh_u32_e32 v12, v16
	v_min_u32_e32 v25, 32, v12
	v_lshrrev_b32_e32 v2, 24, v9
	v_subrev_u32_e32 v12, 29, v25
	v_bfe_u32 v17, v9, 26, 5
	v_lshlrev_b64 v[12:13], v12, v[2:3]
	v_cmp_eq_u32_e64 s[40:41], 0, v17
	v_sub_u32_e32 v13, 30, v25
	v_and_b32_e32 v12, 3, v12
	v_cndmask_b32_e64 v13, v17, v13, s[40:41]
	v_and_b32_e32 v17, 0x80000000, v9
	v_cmp_lt_i64_e64 s[42:43], -1, v[8:9]
	v_cndmask_b32_e64 v12, v16, v12, s[40:41]
	v_lshl_add_u32 v13, v13, 23, v17
	v_lshl_or_b32 v12, v12, 21, v13
	v_cmp_eq_u32_e64 s[40:41], 0, v16
	v_cndmask_b32_e64 v13, v27, v6, s[42:43]
	v_add_u32_e32 v12, 0x38000000, v12
	v_cndmask_b32_e64 v13, v7, v13, s[40:41]
	v_cndmask_b32_e64 v12, v12, v13, s[28:29]
	v_cmp_ne_u32_e64 s[28:29], s82, v2
	v_cndmask_b32_e64 v2, v53, v12, s[28:29]
	v_cmp_lt_u64_e64 s[28:29], s[56:57], v[8:9]
	v_mov_b32_e32 v9, v3
	v_cndmask_b32_e64 v2, 0, v2, s[28:29]
	v_mul_f32_e32 v1, v2, v1
	v_and_b32_e32 v8, 0x7f800000, v1
	v_cmp_ne_u64_e64 s[28:29], s[62:63], v[8:9]
	v_and_b32_e32 v2, 0x7fffff, v1
                                        ; implicit-def: $vgpr25
	s_and_saveexec_b64 s[40:41], s[28:29]
	s_xor_b64 s[42:43], exec, s[40:41]
	s_cbranch_execz .LBB2_4311
; %bb.4298:                             ;   in Loop: Header=BB2_4055 Depth=3
	v_and_b32_e32 v8, 0x7fffffff, v1
	v_mov_b32_e32 v9, v3
	v_cmp_gt_u64_e64 s[28:29], s[78:79], v[8:9]
	v_and_b32_sdwa v16, v1, s82 dst_sel:DWORD dst_unused:UNUSED_PAD src0_sel:BYTE_3 src1_sel:DWORD
                                        ; implicit-def: $vgpr25
	s_and_saveexec_b64 s[40:41], s[28:29]
	s_xor_b64 s[38:39], exec, s[40:41]
	s_cbranch_execz .LBB2_4308
; %bb.4299:                             ;   in Loop: Header=BB2_4055 Depth=3
	v_mov_b32_e32 v25, 0
	v_cmp_ne_u32_e64 s[28:29], 0, v1
	s_and_saveexec_b64 s[48:49], s[28:29]
	s_cbranch_execz .LBB2_4307
; %bb.4300:                             ;   in Loop: Header=BB2_4055 Depth=3
	v_bfe_u32 v1, v1, 23, 8
	v_cmp_gt_u32_e64 s[40:41], s44, v1
	v_sub_u32_e32 v8, 0x71, v1
	v_cmp_eq_u32_e64 s[28:29], 0, v1
	v_cndmask_b32_e64 v8, 0, v8, s[40:41]
	v_mov_b32_e32 v12, 0x70
	v_cndmask_b32_e64 v17, v8, v12, s[28:29]
	v_or_b32_e32 v9, 0x800000, v2
	v_add_u32_e32 v8, 21, v17
	v_cndmask_b32_e64 v2, v9, v2, s[28:29]
	v_lshlrev_b64 v[8:9], v8, -1
	v_add_u32_e32 v12, 20, v17
	v_lshlrev_b64 v[12:13], v12, 1
	v_bfi_b32 v9, v9, 0, 0
	v_bfi_b32 v8, v8, 0, v2
	v_cmp_eq_u64_e64 s[40:41], v[8:9], v[12:13]
	v_lshrrev_b64 v[8:9], v17, v[2:3]
	v_mov_b32_e32 v13, v9
	v_mov_b32_e32 v12, v8
	s_and_saveexec_b64 s[50:51], s[40:41]
; %bb.4301:                             ;   in Loop: Header=BB2_4055 Depth=3
	v_bfe_u32 v2, v8, 21, 1
	v_add_co_u32_e64 v2, s[40:41], v8, v2
	v_add_co_u32_e64 v12, s[40:41], -1, v2
; %bb.4302:                             ;   in Loop: Header=BB2_4055 Depth=3
	s_or_b64 exec, exec, s[50:51]
	v_add_u32_e32 v1, 0xffffff81, v1
	v_mov_b32_e32 v2, 0xffffff82
	v_cndmask_b32_e64 v1, v1, v2, s[28:29]
	v_lshrrev_b32_e32 v2, 23, v8
	v_add3_u32 v17, v17, v1, v2
	v_add_u32_e32 v13, 14, v17
	v_and_b32_e32 v1, 0x1fffff, v12
	v_add_u32_e32 v2, v1, v8
	v_cmp_ne_u32_e64 s[28:29], 0, v13
                                        ; implicit-def: $vgpr8_vgpr9
                                        ; implicit-def: $vgpr1
	s_and_saveexec_b64 s[40:41], s[28:29]
	s_xor_b64 s[40:41], exec, s[40:41]
; %bb.4303:                             ;   in Loop: Header=BB2_4055 Depth=3
	v_cmp_lt_u64_e64 s[28:29], s[88:89], v[2:3]
	v_add_u32_e32 v1, 15, v17
	v_cndmask_b32_e64 v8, 0, 1, s[28:29]
	v_cndmask_b32_e64 v1, v13, v1, s[28:29]
	v_lshrrev_b64 v[8:9], v8, v[2:3]
; %bb.4304:                             ;   in Loop: Header=BB2_4055 Depth=3
	s_andn2_saveexec_b64 s[28:29], s[40:41]
; %bb.4305:                             ;   in Loop: Header=BB2_4055 Depth=3
	v_mov_b32_e32 v9, v3
	v_bfe_u32 v1, v2, 23, 1
	v_mov_b32_e32 v8, v2
; %bb.4306:                             ;   in Loop: Header=BB2_4055 Depth=3
	s_or_b64 exec, exec, s[28:29]
	v_lshrrev_b64 v[8:9], 21, v[8:9]
	v_cmp_gt_i32_e64 s[28:29], 32, v1
	v_cndmask_b32_e64 v9, 0, v9, s[28:29]
	v_cndmask_b32_e64 v8, 3, v8, s[28:29]
	v_cmp_eq_u32_e64 s[28:29], 0, v1
	v_min_i32_e32 v1, 31, v1
	v_cmp_eq_u64_e64 s[40:41], 0, v[8:9]
	v_lshlrev_b32_e32 v1, 2, v1
	v_and_b32_e32 v1, 0xfc, v1
	v_and_or_b32 v1, v8, 3, v1
	s_and_b64 s[28:29], s[28:29], s[40:41]
	v_cndmask_b32_e64 v1, v1, 0, s[28:29]
	v_or_b32_e32 v25, v1, v16
.LBB2_4307:                             ;   in Loop: Header=BB2_4055 Depth=3
	s_or_b64 exec, exec, s[48:49]
                                        ; implicit-def: $vgpr16
.LBB2_4308:                             ;   in Loop: Header=BB2_4055 Depth=3
	s_andn2_saveexec_b64 s[28:29], s[38:39]
; %bb.4309:                             ;   in Loop: Header=BB2_4055 Depth=3
	v_or_b32_e32 v25, 0x7b, v16
; %bb.4310:                             ;   in Loop: Header=BB2_4055 Depth=3
	s_or_b64 exec, exec, s[28:29]
                                        ; implicit-def: $vgpr1
.LBB2_4311:                             ;   in Loop: Header=BB2_4055 Depth=3
	s_andn2_saveexec_b64 s[40:41], s[42:43]
	s_cbranch_execz .LBB2_4317
; %bb.4312:                             ;   in Loop: Header=BB2_4055 Depth=3
	v_cmp_ne_u64_e64 s[28:29], 0, v[2:3]
                                        ; implicit-def: $vgpr25
	s_and_saveexec_b64 s[42:43], s[28:29]
	s_xor_b64 s[28:29], exec, s[42:43]
; %bb.4313:                             ;   in Loop: Header=BB2_4055 Depth=3
	v_or_b32_sdwa v25, v1, s81 dst_sel:DWORD dst_unused:UNUSED_PAD src0_sel:BYTE_3 src1_sel:DWORD
                                        ; implicit-def: $vgpr1
; %bb.4314:                             ;   in Loop: Header=BB2_4055 Depth=3
	s_andn2_saveexec_b64 s[42:43], s[28:29]
; %bb.4315:                             ;   in Loop: Header=BB2_4055 Depth=3
	v_cmp_lt_i32_e64 s[28:29], -1, v1
	v_cndmask_b32_e64 v25, v0, v49, s[28:29]
; %bb.4316:                             ;   in Loop: Header=BB2_4055 Depth=3
	s_or_b64 exec, exec, s[42:43]
.LBB2_4317:                             ;   in Loop: Header=BB2_4055 Depth=3
	s_or_b64 exec, exec, s[40:41]
	v_cmp_ne_u16_sdwa s[28:29], v14, v3 src0_sel:BYTE_0 src1_sel:DWORD
	v_mov_b32_e32 v1, 0
	s_and_saveexec_b64 s[40:41], s[28:29]
	s_cbranch_execz .LBB2_4325
; %bb.4318:                             ;   in Loop: Header=BB2_4055 Depth=3
	v_cmp_ne_u16_sdwa s[28:29], sext(v14), s70 src0_sel:BYTE_0 src1_sel:DWORD
	v_bfrev_b32_e32 v1, 1
	s_and_saveexec_b64 s[42:43], s[28:29]
	s_cbranch_execz .LBB2_4324
; %bb.4319:                             ;   in Loop: Header=BB2_4055 Depth=3
	v_and_b32_e32 v1, 0x7c, v14
	v_and_b32_e32 v2, 3, v14
	v_cmp_ne_u32_e64 s[28:29], s71, v1
                                        ; implicit-def: $vgpr1
	s_and_saveexec_b64 s[38:39], s[28:29]
	s_xor_b64 s[38:39], exec, s[38:39]
	s_cbranch_execz .LBB2_4321
; %bb.4320:                             ;   in Loop: Header=BB2_4055 Depth=3
	v_ffbh_u32_e32 v8, v2
	v_min_u32_e32 v12, 32, v8
	v_subrev_u32_e32 v8, 29, v12
	v_lshlrev_b64 v[8:9], v8, v[14:15]
	v_bfe_u32 v1, v14, 2, 5
	v_and_b32_e32 v8, 3, v8
	v_cmp_eq_u32_e64 s[28:29], 0, v1
	v_sub_u32_e32 v9, 30, v12
	v_cndmask_b32_e64 v2, v2, v8, s[28:29]
	v_lshlrev_b32_e32 v8, 24, v14
	v_cndmask_b32_e64 v1, v1, v9, s[28:29]
	v_and_b32_e32 v8, 0x80000000, v8
	v_lshl_add_u32 v1, v1, 23, v8
	v_lshl_or_b32 v1, v2, 21, v1
	v_add_u32_e32 v1, 0x38000000, v1
                                        ; implicit-def: $vgpr2
.LBB2_4321:                             ;   in Loop: Header=BB2_4055 Depth=3
	s_andn2_saveexec_b64 s[38:39], s[38:39]
; %bb.4322:                             ;   in Loop: Header=BB2_4055 Depth=3
	v_cmp_gt_i16_sdwa s[28:29], sext(v14), v26 src0_sel:BYTE_0 src1_sel:DWORD
	v_cndmask_b32_e64 v1, v27, v6, s[28:29]
	v_cmp_eq_u32_e64 s[28:29], 0, v2
	v_cndmask_b32_e64 v1, v7, v1, s[28:29]
; %bb.4323:                             ;   in Loop: Header=BB2_4055 Depth=3
	s_or_b64 exec, exec, s[38:39]
.LBB2_4324:                             ;   in Loop: Header=BB2_4055 Depth=3
	s_or_b64 exec, exec, s[42:43]
.LBB2_4325:                             ;   in Loop: Header=BB2_4055 Depth=3
	s_or_b64 exec, exec, s[40:41]
	v_cmp_gt_i16_sdwa s[40:41], v10, s81 src0_sel:BYTE_0 src1_sel:DWORD
	s_mov_b64 s[28:29], 0
	s_and_saveexec_b64 s[42:43], s[40:41]
	s_xor_b64 s[40:41], exec, s[42:43]
	s_cbranch_execz .LBB2_4588
; %bb.4326:                             ;   in Loop: Header=BB2_4055 Depth=3
	v_cmp_eq_u16_sdwa s[38:39], v10, s82 src0_sel:BYTE_0 src1_sel:DWORD
	s_mov_b64 s[28:29], -1
	s_and_saveexec_b64 s[42:43], s[38:39]
; %bb.4327:                             ;   in Loop: Header=BB2_4055 Depth=3
	s_xor_b64 s[28:29], exec, -1
; %bb.4328:                             ;   in Loop: Header=BB2_4055 Depth=3
	s_or_b64 exec, exec, s[42:43]
	s_and_b64 s[28:29], s[28:29], exec
	s_or_saveexec_b64 s[40:41], s[40:41]
	v_bfrev_b32_e32 v2, 1
	s_xor_b64 exec, exec, s[40:41]
	s_cbranch_execnz .LBB2_4589
.LBB2_4329:                             ;   in Loop: Header=BB2_4055 Depth=3
	s_or_b64 exec, exec, s[40:41]
	s_and_saveexec_b64 s[38:39], s[28:29]
	s_cbranch_execz .LBB2_4331
.LBB2_4330:                             ;   in Loop: Header=BB2_4055 Depth=3
	v_and_b32_e32 v2, 3, v10
	v_and_b32_e32 v8, 0x7c, v10
	v_cmp_eq_u32_e64 s[28:29], s71, v8
	v_ffbh_u32_e32 v8, v2
	v_min_u32_e32 v13, 32, v8
	v_subrev_u32_e32 v8, 29, v13
	v_bfe_u32 v12, v10, 2, 5
	v_lshlrev_b64 v[8:9], v8, v[10:11]
	v_cmp_eq_u32_e64 s[40:41], 0, v12
	v_sub_u32_e32 v9, 30, v13
	v_cndmask_b32_e64 v9, v12, v9, s[40:41]
	v_lshlrev_b32_e32 v12, 24, v10
	v_and_b32_e32 v8, 3, v8
	v_and_b32_e32 v12, 0x80000000, v12
	v_cndmask_b32_e64 v8, v2, v8, s[40:41]
	v_lshl_add_u32 v9, v9, 23, v12
	v_cmp_gt_i16_sdwa s[42:43], sext(v10), v26 src0_sel:BYTE_0 src1_sel:DWORD
	v_lshl_or_b32 v8, v8, 21, v9
	v_cmp_eq_u32_e64 s[40:41], 0, v2
	v_cndmask_b32_e64 v2, v27, v6, s[42:43]
	v_add_u32_e32 v8, 0x38000000, v8
	v_cndmask_b32_e64 v2, v7, v2, s[40:41]
	v_cndmask_b32_e64 v2, v8, v2, s[28:29]
.LBB2_4331:                             ;   in Loop: Header=BB2_4055 Depth=3
	s_or_b64 exec, exec, s[38:39]
	v_mul_f32_e32 v1, v1, v2
	v_and_b32_e32 v8, 0x7f800000, v1
	v_mov_b32_e32 v9, v3
	v_cmp_ne_u64_e64 s[28:29], s[62:63], v[8:9]
	v_and_b32_e32 v2, 0x7fffff, v1
                                        ; implicit-def: $vgpr52
	s_and_saveexec_b64 s[40:41], s[28:29]
	s_xor_b64 s[42:43], exec, s[40:41]
	s_cbranch_execz .LBB2_4345
; %bb.4332:                             ;   in Loop: Header=BB2_4055 Depth=3
	v_and_b32_e32 v8, 0x7fffffff, v1
	v_mov_b32_e32 v9, v3
	v_cmp_gt_u64_e64 s[28:29], s[78:79], v[8:9]
	v_and_b32_sdwa v16, v1, s82 dst_sel:DWORD dst_unused:UNUSED_PAD src0_sel:BYTE_3 src1_sel:DWORD
                                        ; implicit-def: $vgpr52
	s_and_saveexec_b64 s[40:41], s[28:29]
	s_xor_b64 s[38:39], exec, s[40:41]
	s_cbranch_execz .LBB2_4342
; %bb.4333:                             ;   in Loop: Header=BB2_4055 Depth=3
	v_mov_b32_e32 v52, 0
	v_cmp_ne_u32_e64 s[28:29], 0, v1
	s_and_saveexec_b64 s[48:49], s[28:29]
	s_cbranch_execz .LBB2_4341
; %bb.4334:                             ;   in Loop: Header=BB2_4055 Depth=3
	v_bfe_u32 v1, v1, 23, 8
	v_cmp_gt_u32_e64 s[40:41], s44, v1
	v_sub_u32_e32 v8, 0x71, v1
	v_cmp_eq_u32_e64 s[28:29], 0, v1
	v_cndmask_b32_e64 v8, 0, v8, s[40:41]
	v_mov_b32_e32 v12, 0x70
	v_cndmask_b32_e64 v17, v8, v12, s[28:29]
	v_or_b32_e32 v9, 0x800000, v2
	v_add_u32_e32 v8, 21, v17
	v_cndmask_b32_e64 v2, v9, v2, s[28:29]
	v_lshlrev_b64 v[8:9], v8, -1
	v_add_u32_e32 v12, 20, v17
	v_lshlrev_b64 v[12:13], v12, 1
	v_bfi_b32 v9, v9, 0, 0
	v_bfi_b32 v8, v8, 0, v2
	v_cmp_eq_u64_e64 s[40:41], v[8:9], v[12:13]
	v_lshrrev_b64 v[8:9], v17, v[2:3]
	v_mov_b32_e32 v13, v9
	v_mov_b32_e32 v12, v8
	s_and_saveexec_b64 s[50:51], s[40:41]
; %bb.4335:                             ;   in Loop: Header=BB2_4055 Depth=3
	v_bfe_u32 v2, v8, 21, 1
	v_add_co_u32_e64 v2, s[40:41], v8, v2
	v_add_co_u32_e64 v12, s[40:41], -1, v2
; %bb.4336:                             ;   in Loop: Header=BB2_4055 Depth=3
	s_or_b64 exec, exec, s[50:51]
	v_add_u32_e32 v1, 0xffffff81, v1
	v_mov_b32_e32 v2, 0xffffff82
	v_cndmask_b32_e64 v1, v1, v2, s[28:29]
	v_lshrrev_b32_e32 v2, 23, v8
	v_add3_u32 v17, v17, v1, v2
	v_add_u32_e32 v13, 14, v17
	v_and_b32_e32 v1, 0x1fffff, v12
	v_add_u32_e32 v2, v1, v8
	v_cmp_ne_u32_e64 s[28:29], 0, v13
                                        ; implicit-def: $vgpr8_vgpr9
                                        ; implicit-def: $vgpr1
	s_and_saveexec_b64 s[40:41], s[28:29]
	s_xor_b64 s[40:41], exec, s[40:41]
; %bb.4337:                             ;   in Loop: Header=BB2_4055 Depth=3
	v_cmp_lt_u64_e64 s[28:29], s[88:89], v[2:3]
	v_add_u32_e32 v1, 15, v17
	v_cndmask_b32_e64 v8, 0, 1, s[28:29]
	v_cndmask_b32_e64 v1, v13, v1, s[28:29]
	v_lshrrev_b64 v[8:9], v8, v[2:3]
; %bb.4338:                             ;   in Loop: Header=BB2_4055 Depth=3
	s_andn2_saveexec_b64 s[28:29], s[40:41]
; %bb.4339:                             ;   in Loop: Header=BB2_4055 Depth=3
	v_mov_b32_e32 v9, v3
	v_bfe_u32 v1, v2, 23, 1
	v_mov_b32_e32 v8, v2
; %bb.4340:                             ;   in Loop: Header=BB2_4055 Depth=3
	s_or_b64 exec, exec, s[28:29]
	v_lshrrev_b64 v[8:9], 21, v[8:9]
	v_cmp_gt_i32_e64 s[28:29], 32, v1
	v_cndmask_b32_e64 v9, 0, v9, s[28:29]
	v_cndmask_b32_e64 v8, 3, v8, s[28:29]
	v_cmp_eq_u32_e64 s[28:29], 0, v1
	v_min_i32_e32 v1, 31, v1
	v_cmp_eq_u64_e64 s[40:41], 0, v[8:9]
	v_lshlrev_b32_e32 v1, 2, v1
	v_and_b32_e32 v1, 0xfc, v1
	v_and_or_b32 v1, v8, 3, v1
	s_and_b64 s[28:29], s[28:29], s[40:41]
	v_cndmask_b32_e64 v1, v1, 0, s[28:29]
	v_or_b32_e32 v52, v1, v16
.LBB2_4341:                             ;   in Loop: Header=BB2_4055 Depth=3
	s_or_b64 exec, exec, s[48:49]
                                        ; implicit-def: $vgpr16
.LBB2_4342:                             ;   in Loop: Header=BB2_4055 Depth=3
	s_andn2_saveexec_b64 s[28:29], s[38:39]
; %bb.4343:                             ;   in Loop: Header=BB2_4055 Depth=3
	v_or_b32_e32 v52, 0x7b, v16
; %bb.4344:                             ;   in Loop: Header=BB2_4055 Depth=3
	s_or_b64 exec, exec, s[28:29]
                                        ; implicit-def: $vgpr1
.LBB2_4345:                             ;   in Loop: Header=BB2_4055 Depth=3
	s_andn2_saveexec_b64 s[40:41], s[42:43]
	s_cbranch_execz .LBB2_4351
; %bb.4346:                             ;   in Loop: Header=BB2_4055 Depth=3
	v_cmp_ne_u64_e64 s[28:29], 0, v[2:3]
                                        ; implicit-def: $vgpr52
	s_and_saveexec_b64 s[42:43], s[28:29]
	s_xor_b64 s[28:29], exec, s[42:43]
; %bb.4347:                             ;   in Loop: Header=BB2_4055 Depth=3
	v_or_b32_sdwa v52, v1, s81 dst_sel:DWORD dst_unused:UNUSED_PAD src0_sel:BYTE_3 src1_sel:DWORD
                                        ; implicit-def: $vgpr1
; %bb.4348:                             ;   in Loop: Header=BB2_4055 Depth=3
	s_andn2_saveexec_b64 s[42:43], s[28:29]
; %bb.4349:                             ;   in Loop: Header=BB2_4055 Depth=3
	v_cmp_lt_i32_e64 s[28:29], -1, v1
	v_cndmask_b32_e64 v52, v0, v49, s[28:29]
; %bb.4350:                             ;   in Loop: Header=BB2_4055 Depth=3
	s_or_b64 exec, exec, s[42:43]
.LBB2_4351:                             ;   in Loop: Header=BB2_4055 Depth=3
	s_or_b64 exec, exec, s[40:41]
	v_lshrrev_b16_e32 v2, 8, v14
	v_cmp_ne_u16_e64 s[28:29], 0, v2
	v_mov_b32_e32 v1, 0
	s_and_saveexec_b64 s[40:41], s[28:29]
	s_cbranch_execz .LBB2_4359
; %bb.4352:                             ;   in Loop: Header=BB2_4055 Depth=3
	v_cmp_ne_u16_e64 s[28:29], s82, v2
	v_bfrev_b32_e32 v1, 1
	s_and_saveexec_b64 s[42:43], s[28:29]
	s_cbranch_execz .LBB2_4358
; %bb.4353:                             ;   in Loop: Header=BB2_4055 Depth=3
	v_and_b32_e32 v1, 0x7c, v2
	v_and_b32_e32 v8, 3, v2
	v_cmp_ne_u32_e64 s[28:29], s71, v1
                                        ; implicit-def: $vgpr1
	s_and_saveexec_b64 s[38:39], s[28:29]
	s_xor_b64 s[38:39], exec, s[38:39]
	s_cbranch_execz .LBB2_4355
; %bb.4354:                             ;   in Loop: Header=BB2_4055 Depth=3
	v_ffbh_u32_e32 v1, v8
	v_min_u32_e32 v12, 32, v1
	v_subrev_u32_e32 v1, 29, v12
	v_bfe_u32 v9, v2, 2, 5
	v_lshlrev_b64 v[1:2], v1, v[2:3]
	v_cmp_eq_u32_e64 s[28:29], 0, v9
	v_and_b32_e32 v1, 3, v1
	v_sub_u32_e32 v2, 30, v12
	v_cndmask_b32_e64 v1, v8, v1, s[28:29]
	v_lshlrev_b32_e32 v8, 16, v14
	v_cndmask_b32_e64 v2, v9, v2, s[28:29]
	v_and_b32_e32 v8, 0x80000000, v8
	v_lshl_add_u32 v2, v2, 23, v8
	v_lshl_or_b32 v1, v1, 21, v2
	v_add_u32_e32 v1, 0x38000000, v1
                                        ; implicit-def: $vgpr8
.LBB2_4355:                             ;   in Loop: Header=BB2_4055 Depth=3
	s_andn2_saveexec_b64 s[38:39], s[38:39]
; %bb.4356:                             ;   in Loop: Header=BB2_4055 Depth=3
	v_cmp_lt_i16_e64 s[28:29], -1, v14
	v_cndmask_b32_e64 v1, v27, v6, s[28:29]
	v_cmp_eq_u32_e64 s[28:29], 0, v8
	v_cndmask_b32_e64 v1, v7, v1, s[28:29]
; %bb.4357:                             ;   in Loop: Header=BB2_4055 Depth=3
	s_or_b64 exec, exec, s[38:39]
.LBB2_4358:                             ;   in Loop: Header=BB2_4055 Depth=3
	s_or_b64 exec, exec, s[42:43]
.LBB2_4359:                             ;   in Loop: Header=BB2_4055 Depth=3
	s_or_b64 exec, exec, s[40:41]
	v_lshrrev_b16_e32 v2, 8, v10
	v_cmp_lt_i16_e64 s[28:29], s81, v2
	s_mov_b64 s[40:41], 0
	s_and_saveexec_b64 s[42:43], s[28:29]
	s_xor_b64 s[42:43], exec, s[42:43]
	s_cbranch_execz .LBB2_4590
; %bb.4360:                             ;   in Loop: Header=BB2_4055 Depth=3
	v_cmp_eq_u16_e64 s[28:29], s82, v2
	s_mov_b64 s[40:41], -1
	s_and_saveexec_b64 s[38:39], s[28:29]
; %bb.4361:                             ;   in Loop: Header=BB2_4055 Depth=3
	s_xor_b64 s[40:41], exec, -1
; %bb.4362:                             ;   in Loop: Header=BB2_4055 Depth=3
	s_or_b64 exec, exec, s[38:39]
	s_and_b64 s[40:41], s[40:41], exec
	s_or_saveexec_b64 s[42:43], s[42:43]
	v_bfrev_b32_e32 v8, 1
	s_xor_b64 exec, exec, s[42:43]
	s_cbranch_execnz .LBB2_4591
.LBB2_4363:                             ;   in Loop: Header=BB2_4055 Depth=3
	s_or_b64 exec, exec, s[42:43]
	s_and_saveexec_b64 s[38:39], s[40:41]
	s_cbranch_execz .LBB2_4365
.LBB2_4364:                             ;   in Loop: Header=BB2_4055 Depth=3
	v_and_b32_e32 v12, 3, v2
	v_and_b32_e32 v8, 0x7c, v2
	v_cmp_eq_u32_e64 s[28:29], s71, v8
	v_ffbh_u32_e32 v8, v12
	v_min_u32_e32 v16, 32, v8
	v_subrev_u32_e32 v8, 29, v16
	v_bfe_u32 v13, v2, 2, 5
	v_lshlrev_b64 v[8:9], v8, v[2:3]
	v_cmp_eq_u32_e64 s[40:41], 0, v13
	v_sub_u32_e32 v9, 30, v16
	v_lshlrev_b32_e32 v2, 24, v2
	v_and_b32_e32 v8, 3, v8
	v_cndmask_b32_e64 v9, v13, v9, s[40:41]
	v_and_b32_e32 v2, 0x80000000, v2
	v_cndmask_b32_e64 v8, v12, v8, s[40:41]
	v_lshl_add_u32 v2, v9, 23, v2
	v_cmp_lt_i16_e64 s[42:43], -1, v10
	v_lshl_or_b32 v2, v8, 21, v2
	v_cmp_eq_u32_e64 s[40:41], 0, v12
	v_cndmask_b32_e64 v8, v27, v6, s[42:43]
	v_add_u32_e32 v2, 0x38000000, v2
	v_cndmask_b32_e64 v8, v7, v8, s[40:41]
	v_cndmask_b32_e64 v8, v2, v8, s[28:29]
.LBB2_4365:                             ;   in Loop: Header=BB2_4055 Depth=3
	s_or_b64 exec, exec, s[38:39]
	v_mul_f32_e32 v1, v1, v8
	v_and_b32_e32 v8, 0x7f800000, v1
	v_mov_b32_e32 v9, v3
	v_cmp_ne_u64_e64 s[28:29], s[62:63], v[8:9]
	v_and_b32_e32 v2, 0x7fffff, v1
                                        ; implicit-def: $vgpr40
	s_and_saveexec_b64 s[40:41], s[28:29]
	s_xor_b64 s[42:43], exec, s[40:41]
	s_cbranch_execz .LBB2_4379
; %bb.4366:                             ;   in Loop: Header=BB2_4055 Depth=3
	v_and_b32_e32 v8, 0x7fffffff, v1
	v_mov_b32_e32 v9, v3
	v_cmp_gt_u64_e64 s[28:29], s[78:79], v[8:9]
	v_and_b32_sdwa v16, v1, s82 dst_sel:DWORD dst_unused:UNUSED_PAD src0_sel:BYTE_3 src1_sel:DWORD
                                        ; implicit-def: $vgpr40
	s_and_saveexec_b64 s[40:41], s[28:29]
	s_xor_b64 s[38:39], exec, s[40:41]
	s_cbranch_execz .LBB2_4376
; %bb.4367:                             ;   in Loop: Header=BB2_4055 Depth=3
	v_mov_b32_e32 v40, 0
	v_cmp_ne_u32_e64 s[28:29], 0, v1
	s_and_saveexec_b64 s[48:49], s[28:29]
	s_cbranch_execz .LBB2_4375
; %bb.4368:                             ;   in Loop: Header=BB2_4055 Depth=3
	v_bfe_u32 v1, v1, 23, 8
	v_cmp_gt_u32_e64 s[40:41], s44, v1
	v_sub_u32_e32 v8, 0x71, v1
	v_cmp_eq_u32_e64 s[28:29], 0, v1
	v_cndmask_b32_e64 v8, 0, v8, s[40:41]
	v_mov_b32_e32 v12, 0x70
	v_cndmask_b32_e64 v17, v8, v12, s[28:29]
	v_or_b32_e32 v9, 0x800000, v2
	v_add_u32_e32 v8, 21, v17
	v_cndmask_b32_e64 v2, v9, v2, s[28:29]
	v_lshlrev_b64 v[8:9], v8, -1
	v_add_u32_e32 v12, 20, v17
	v_lshlrev_b64 v[12:13], v12, 1
	v_bfi_b32 v9, v9, 0, 0
	v_bfi_b32 v8, v8, 0, v2
	v_cmp_eq_u64_e64 s[40:41], v[8:9], v[12:13]
	v_lshrrev_b64 v[8:9], v17, v[2:3]
	v_mov_b32_e32 v13, v9
	v_mov_b32_e32 v12, v8
	s_and_saveexec_b64 s[50:51], s[40:41]
; %bb.4369:                             ;   in Loop: Header=BB2_4055 Depth=3
	v_bfe_u32 v2, v8, 21, 1
	v_add_co_u32_e64 v2, s[40:41], v8, v2
	v_add_co_u32_e64 v12, s[40:41], -1, v2
; %bb.4370:                             ;   in Loop: Header=BB2_4055 Depth=3
	s_or_b64 exec, exec, s[50:51]
	v_add_u32_e32 v1, 0xffffff81, v1
	v_mov_b32_e32 v2, 0xffffff82
	v_cndmask_b32_e64 v1, v1, v2, s[28:29]
	v_lshrrev_b32_e32 v2, 23, v8
	v_add3_u32 v17, v17, v1, v2
	v_add_u32_e32 v13, 14, v17
	v_and_b32_e32 v1, 0x1fffff, v12
	v_add_u32_e32 v2, v1, v8
	v_cmp_ne_u32_e64 s[28:29], 0, v13
                                        ; implicit-def: $vgpr8_vgpr9
                                        ; implicit-def: $vgpr1
	s_and_saveexec_b64 s[40:41], s[28:29]
	s_xor_b64 s[40:41], exec, s[40:41]
; %bb.4371:                             ;   in Loop: Header=BB2_4055 Depth=3
	v_cmp_lt_u64_e64 s[28:29], s[88:89], v[2:3]
	v_add_u32_e32 v1, 15, v17
	v_cndmask_b32_e64 v8, 0, 1, s[28:29]
	v_cndmask_b32_e64 v1, v13, v1, s[28:29]
	v_lshrrev_b64 v[8:9], v8, v[2:3]
; %bb.4372:                             ;   in Loop: Header=BB2_4055 Depth=3
	s_andn2_saveexec_b64 s[28:29], s[40:41]
; %bb.4373:                             ;   in Loop: Header=BB2_4055 Depth=3
	v_mov_b32_e32 v9, v3
	v_bfe_u32 v1, v2, 23, 1
	v_mov_b32_e32 v8, v2
; %bb.4374:                             ;   in Loop: Header=BB2_4055 Depth=3
	s_or_b64 exec, exec, s[28:29]
	v_lshrrev_b64 v[8:9], 21, v[8:9]
	v_cmp_gt_i32_e64 s[28:29], 32, v1
	v_cndmask_b32_e64 v9, 0, v9, s[28:29]
	v_cndmask_b32_e64 v8, 3, v8, s[28:29]
	v_cmp_eq_u32_e64 s[28:29], 0, v1
	v_min_i32_e32 v1, 31, v1
	v_cmp_eq_u64_e64 s[40:41], 0, v[8:9]
	v_lshlrev_b32_e32 v1, 2, v1
	v_and_b32_e32 v1, 0xfc, v1
	v_and_or_b32 v1, v8, 3, v1
	s_and_b64 s[28:29], s[28:29], s[40:41]
	v_cndmask_b32_e64 v1, v1, 0, s[28:29]
	v_or_b32_e32 v40, v1, v16
.LBB2_4375:                             ;   in Loop: Header=BB2_4055 Depth=3
	s_or_b64 exec, exec, s[48:49]
                                        ; implicit-def: $vgpr16
.LBB2_4376:                             ;   in Loop: Header=BB2_4055 Depth=3
	s_andn2_saveexec_b64 s[28:29], s[38:39]
; %bb.4377:                             ;   in Loop: Header=BB2_4055 Depth=3
	v_or_b32_e32 v40, 0x7b, v16
; %bb.4378:                             ;   in Loop: Header=BB2_4055 Depth=3
	s_or_b64 exec, exec, s[28:29]
                                        ; implicit-def: $vgpr1
.LBB2_4379:                             ;   in Loop: Header=BB2_4055 Depth=3
	s_andn2_saveexec_b64 s[40:41], s[42:43]
	s_cbranch_execz .LBB2_4385
; %bb.4380:                             ;   in Loop: Header=BB2_4055 Depth=3
	v_cmp_ne_u64_e64 s[28:29], 0, v[2:3]
                                        ; implicit-def: $vgpr40
	s_and_saveexec_b64 s[42:43], s[28:29]
	s_xor_b64 s[28:29], exec, s[42:43]
; %bb.4381:                             ;   in Loop: Header=BB2_4055 Depth=3
	v_or_b32_sdwa v40, v1, s81 dst_sel:DWORD dst_unused:UNUSED_PAD src0_sel:BYTE_3 src1_sel:DWORD
                                        ; implicit-def: $vgpr1
; %bb.4382:                             ;   in Loop: Header=BB2_4055 Depth=3
	s_andn2_saveexec_b64 s[42:43], s[28:29]
; %bb.4383:                             ;   in Loop: Header=BB2_4055 Depth=3
	v_cmp_lt_i32_e64 s[28:29], -1, v1
	v_cndmask_b32_e64 v40, v0, v49, s[28:29]
; %bb.4384:                             ;   in Loop: Header=BB2_4055 Depth=3
	s_or_b64 exec, exec, s[42:43]
.LBB2_4385:                             ;   in Loop: Header=BB2_4055 Depth=3
	s_or_b64 exec, exec, s[40:41]
	v_lshrrev_b32_e32 v2, 16, v14
	v_cmp_ne_u16_sdwa s[28:29], v2, v3 src0_sel:BYTE_0 src1_sel:DWORD
	v_mov_b32_e32 v1, 0
	s_and_saveexec_b64 s[40:41], s[28:29]
	s_cbranch_execz .LBB2_4393
; %bb.4386:                             ;   in Loop: Header=BB2_4055 Depth=3
	v_cmp_ne_u16_sdwa s[28:29], v2, s82 src0_sel:BYTE_0 src1_sel:DWORD
	v_bfrev_b32_e32 v1, 1
	s_and_saveexec_b64 s[42:43], s[28:29]
	s_cbranch_execz .LBB2_4392
; %bb.4387:                             ;   in Loop: Header=BB2_4055 Depth=3
	v_and_b32_e32 v1, 0x7c0000, v14
	v_bfe_u32 v8, v14, 16, 2
	v_cmp_ne_u32_e64 s[28:29], s45, v1
                                        ; implicit-def: $vgpr1
	s_and_saveexec_b64 s[38:39], s[28:29]
	s_xor_b64 s[38:39], exec, s[38:39]
	s_cbranch_execz .LBB2_4389
; %bb.4388:                             ;   in Loop: Header=BB2_4055 Depth=3
	v_ffbh_u32_e32 v1, v8
	v_min_u32_e32 v12, 32, v1
	v_subrev_u32_e32 v1, 29, v12
	v_lshlrev_b64 v[1:2], v1, v[2:3]
	v_bfe_u32 v9, v14, 18, 5
	v_and_b32_e32 v1, 3, v1
	v_cmp_eq_u32_e64 s[28:29], 0, v9
	v_sub_u32_e32 v2, 30, v12
	v_cndmask_b32_e64 v1, v8, v1, s[28:29]
	v_lshlrev_b32_e32 v8, 8, v14
	v_cndmask_b32_e64 v2, v9, v2, s[28:29]
	v_and_b32_e32 v8, 0x80000000, v8
	v_lshl_add_u32 v2, v2, 23, v8
	v_lshl_or_b32 v1, v1, 21, v2
	v_add_u32_e32 v1, 0x38000000, v1
                                        ; implicit-def: $vgpr8
                                        ; implicit-def: $vgpr2
.LBB2_4389:                             ;   in Loop: Header=BB2_4055 Depth=3
	s_andn2_saveexec_b64 s[38:39], s[38:39]
; %bb.4390:                             ;   in Loop: Header=BB2_4055 Depth=3
	v_cmp_gt_i16_sdwa s[28:29], sext(v2), v26 src0_sel:BYTE_0 src1_sel:DWORD
	v_cndmask_b32_e64 v1, v27, v6, s[28:29]
	v_cmp_eq_u32_e64 s[28:29], 0, v8
	v_cndmask_b32_e64 v1, v7, v1, s[28:29]
; %bb.4391:                             ;   in Loop: Header=BB2_4055 Depth=3
	s_or_b64 exec, exec, s[38:39]
.LBB2_4392:                             ;   in Loop: Header=BB2_4055 Depth=3
	s_or_b64 exec, exec, s[42:43]
.LBB2_4393:                             ;   in Loop: Header=BB2_4055 Depth=3
	s_or_b64 exec, exec, s[40:41]
	v_lshrrev_b32_e32 v2, 16, v10
	v_cmp_gt_i16_sdwa s[40:41], v2, s81 src0_sel:BYTE_0 src1_sel:DWORD
	s_mov_b64 s[28:29], 0
	s_and_saveexec_b64 s[42:43], s[40:41]
	s_xor_b64 s[40:41], exec, s[42:43]
	s_cbranch_execz .LBB2_4592
; %bb.4394:                             ;   in Loop: Header=BB2_4055 Depth=3
	v_cmp_eq_u16_sdwa s[38:39], v2, s82 src0_sel:BYTE_0 src1_sel:DWORD
	s_mov_b64 s[28:29], -1
	s_and_saveexec_b64 s[42:43], s[38:39]
; %bb.4395:                             ;   in Loop: Header=BB2_4055 Depth=3
	s_xor_b64 s[28:29], exec, -1
; %bb.4396:                             ;   in Loop: Header=BB2_4055 Depth=3
	s_or_b64 exec, exec, s[42:43]
	s_and_b64 s[28:29], s[28:29], exec
	s_or_saveexec_b64 s[40:41], s[40:41]
	v_bfrev_b32_e32 v8, 1
	s_xor_b64 exec, exec, s[40:41]
	s_cbranch_execnz .LBB2_4593
.LBB2_4397:                             ;   in Loop: Header=BB2_4055 Depth=3
	s_or_b64 exec, exec, s[40:41]
	s_and_saveexec_b64 s[38:39], s[28:29]
	s_cbranch_execz .LBB2_4399
.LBB2_4398:                             ;   in Loop: Header=BB2_4055 Depth=3
	v_and_b32_e32 v12, 3, v2
	v_and_b32_e32 v8, 0x7c0000, v10
	v_cmp_eq_u32_e64 s[28:29], s45, v8
	v_ffbh_u32_e32 v8, v12
	v_min_u32_e32 v16, 32, v8
	v_subrev_u32_e32 v8, 29, v16
	v_bfe_u32 v13, v10, 18, 5
	v_lshlrev_b64 v[8:9], v8, v[2:3]
	v_cmp_eq_u32_e64 s[40:41], 0, v13
	v_sub_u32_e32 v9, 30, v16
	v_cndmask_b32_e64 v9, v13, v9, s[40:41]
	v_lshlrev_b32_e32 v13, 24, v2
	v_and_b32_e32 v8, 3, v8
	v_and_b32_e32 v13, 0x80000000, v13
	v_cndmask_b32_e64 v8, v12, v8, s[40:41]
	v_lshl_add_u32 v9, v9, 23, v13
	v_cmp_gt_i16_sdwa s[42:43], sext(v2), v26 src0_sel:BYTE_0 src1_sel:DWORD
	v_lshl_or_b32 v8, v8, 21, v9
	v_cmp_eq_u32_e64 s[40:41], 0, v12
	v_cndmask_b32_e64 v2, v27, v6, s[42:43]
	v_add_u32_e32 v8, 0x38000000, v8
	v_cndmask_b32_e64 v2, v7, v2, s[40:41]
	v_cndmask_b32_e64 v8, v8, v2, s[28:29]
.LBB2_4399:                             ;   in Loop: Header=BB2_4055 Depth=3
	s_or_b64 exec, exec, s[38:39]
	v_mul_f32_e32 v1, v1, v8
	v_and_b32_e32 v8, 0x7f800000, v1
	v_mov_b32_e32 v9, v3
	v_cmp_ne_u64_e64 s[28:29], s[62:63], v[8:9]
	v_and_b32_e32 v2, 0x7fffff, v1
                                        ; implicit-def: $vgpr41
	s_and_saveexec_b64 s[40:41], s[28:29]
	s_xor_b64 s[42:43], exec, s[40:41]
	s_cbranch_execz .LBB2_4413
; %bb.4400:                             ;   in Loop: Header=BB2_4055 Depth=3
	v_and_b32_e32 v8, 0x7fffffff, v1
	v_mov_b32_e32 v9, v3
	v_cmp_gt_u64_e64 s[28:29], s[78:79], v[8:9]
	v_and_b32_sdwa v16, v1, s82 dst_sel:DWORD dst_unused:UNUSED_PAD src0_sel:BYTE_3 src1_sel:DWORD
                                        ; implicit-def: $vgpr41
	s_and_saveexec_b64 s[40:41], s[28:29]
	s_xor_b64 s[38:39], exec, s[40:41]
	s_cbranch_execz .LBB2_4410
; %bb.4401:                             ;   in Loop: Header=BB2_4055 Depth=3
	v_mov_b32_e32 v41, 0
	v_cmp_ne_u32_e64 s[28:29], 0, v1
	s_and_saveexec_b64 s[48:49], s[28:29]
	s_cbranch_execz .LBB2_4409
; %bb.4402:                             ;   in Loop: Header=BB2_4055 Depth=3
	v_bfe_u32 v1, v1, 23, 8
	v_cmp_gt_u32_e64 s[40:41], s44, v1
	v_sub_u32_e32 v8, 0x71, v1
	v_cmp_eq_u32_e64 s[28:29], 0, v1
	v_cndmask_b32_e64 v8, 0, v8, s[40:41]
	v_mov_b32_e32 v12, 0x70
	v_cndmask_b32_e64 v17, v8, v12, s[28:29]
	v_or_b32_e32 v9, 0x800000, v2
	v_add_u32_e32 v8, 21, v17
	v_cndmask_b32_e64 v2, v9, v2, s[28:29]
	v_lshlrev_b64 v[8:9], v8, -1
	v_add_u32_e32 v12, 20, v17
	v_lshlrev_b64 v[12:13], v12, 1
	v_bfi_b32 v9, v9, 0, 0
	v_bfi_b32 v8, v8, 0, v2
	v_cmp_eq_u64_e64 s[40:41], v[8:9], v[12:13]
	v_lshrrev_b64 v[8:9], v17, v[2:3]
	v_mov_b32_e32 v13, v9
	v_mov_b32_e32 v12, v8
	s_and_saveexec_b64 s[50:51], s[40:41]
; %bb.4403:                             ;   in Loop: Header=BB2_4055 Depth=3
	v_bfe_u32 v2, v8, 21, 1
	v_add_co_u32_e64 v2, s[40:41], v8, v2
	v_add_co_u32_e64 v12, s[40:41], -1, v2
; %bb.4404:                             ;   in Loop: Header=BB2_4055 Depth=3
	s_or_b64 exec, exec, s[50:51]
	v_add_u32_e32 v1, 0xffffff81, v1
	v_mov_b32_e32 v2, 0xffffff82
	v_cndmask_b32_e64 v1, v1, v2, s[28:29]
	v_lshrrev_b32_e32 v2, 23, v8
	v_add3_u32 v17, v17, v1, v2
	v_add_u32_e32 v13, 14, v17
	v_and_b32_e32 v1, 0x1fffff, v12
	v_add_u32_e32 v2, v1, v8
	v_cmp_ne_u32_e64 s[28:29], 0, v13
                                        ; implicit-def: $vgpr8_vgpr9
                                        ; implicit-def: $vgpr1
	s_and_saveexec_b64 s[40:41], s[28:29]
	s_xor_b64 s[40:41], exec, s[40:41]
; %bb.4405:                             ;   in Loop: Header=BB2_4055 Depth=3
	v_cmp_lt_u64_e64 s[28:29], s[88:89], v[2:3]
	v_add_u32_e32 v1, 15, v17
	v_cndmask_b32_e64 v8, 0, 1, s[28:29]
	v_cndmask_b32_e64 v1, v13, v1, s[28:29]
	v_lshrrev_b64 v[8:9], v8, v[2:3]
; %bb.4406:                             ;   in Loop: Header=BB2_4055 Depth=3
	s_andn2_saveexec_b64 s[28:29], s[40:41]
; %bb.4407:                             ;   in Loop: Header=BB2_4055 Depth=3
	v_mov_b32_e32 v9, v3
	v_bfe_u32 v1, v2, 23, 1
	v_mov_b32_e32 v8, v2
; %bb.4408:                             ;   in Loop: Header=BB2_4055 Depth=3
	s_or_b64 exec, exec, s[28:29]
	v_lshrrev_b64 v[8:9], 21, v[8:9]
	v_cmp_gt_i32_e64 s[28:29], 32, v1
	v_cndmask_b32_e64 v9, 0, v9, s[28:29]
	v_cndmask_b32_e64 v8, 3, v8, s[28:29]
	v_cmp_eq_u32_e64 s[28:29], 0, v1
	v_min_i32_e32 v1, 31, v1
	v_cmp_eq_u64_e64 s[40:41], 0, v[8:9]
	v_lshlrev_b32_e32 v1, 2, v1
	v_and_b32_e32 v1, 0xfc, v1
	v_and_or_b32 v1, v8, 3, v1
	s_and_b64 s[28:29], s[28:29], s[40:41]
	v_cndmask_b32_e64 v1, v1, 0, s[28:29]
	v_or_b32_e32 v41, v1, v16
.LBB2_4409:                             ;   in Loop: Header=BB2_4055 Depth=3
	s_or_b64 exec, exec, s[48:49]
                                        ; implicit-def: $vgpr16
.LBB2_4410:                             ;   in Loop: Header=BB2_4055 Depth=3
	s_andn2_saveexec_b64 s[28:29], s[38:39]
; %bb.4411:                             ;   in Loop: Header=BB2_4055 Depth=3
	v_or_b32_e32 v41, 0x7b, v16
; %bb.4412:                             ;   in Loop: Header=BB2_4055 Depth=3
	s_or_b64 exec, exec, s[28:29]
                                        ; implicit-def: $vgpr1
.LBB2_4413:                             ;   in Loop: Header=BB2_4055 Depth=3
	s_andn2_saveexec_b64 s[40:41], s[42:43]
	s_cbranch_execz .LBB2_4419
; %bb.4414:                             ;   in Loop: Header=BB2_4055 Depth=3
	v_cmp_ne_u64_e64 s[28:29], 0, v[2:3]
                                        ; implicit-def: $vgpr41
	s_and_saveexec_b64 s[42:43], s[28:29]
	s_xor_b64 s[28:29], exec, s[42:43]
; %bb.4415:                             ;   in Loop: Header=BB2_4055 Depth=3
	v_or_b32_sdwa v41, v1, s81 dst_sel:DWORD dst_unused:UNUSED_PAD src0_sel:BYTE_3 src1_sel:DWORD
                                        ; implicit-def: $vgpr1
; %bb.4416:                             ;   in Loop: Header=BB2_4055 Depth=3
	s_andn2_saveexec_b64 s[42:43], s[28:29]
; %bb.4417:                             ;   in Loop: Header=BB2_4055 Depth=3
	v_cmp_lt_i32_e64 s[28:29], -1, v1
	v_cndmask_b32_e64 v41, v0, v49, s[28:29]
; %bb.4418:                             ;   in Loop: Header=BB2_4055 Depth=3
	s_or_b64 exec, exec, s[42:43]
.LBB2_4419:                             ;   in Loop: Header=BB2_4055 Depth=3
	s_or_b64 exec, exec, s[40:41]
	v_cmp_lt_u32_e64 s[28:29], s57, v14
	v_mov_b32_e32 v1, 0
	s_and_saveexec_b64 s[40:41], s[28:29]
	s_cbranch_execz .LBB2_4427
; %bb.4420:                             ;   in Loop: Header=BB2_4055 Depth=3
	v_lshrrev_b32_e32 v2, 24, v14
	v_cmp_ne_u32_e64 s[28:29], s82, v2
	v_bfrev_b32_e32 v1, 1
	s_and_saveexec_b64 s[42:43], s[28:29]
	s_cbranch_execz .LBB2_4426
; %bb.4421:                             ;   in Loop: Header=BB2_4055 Depth=3
	v_and_b32_e32 v1, 0x7c000000, v14
	v_bfe_u32 v8, v14, 24, 2
	v_cmp_ne_u32_e64 s[28:29], s83, v1
                                        ; implicit-def: $vgpr1
	s_and_saveexec_b64 s[38:39], s[28:29]
	s_xor_b64 s[38:39], exec, s[38:39]
	s_cbranch_execz .LBB2_4423
; %bb.4422:                             ;   in Loop: Header=BB2_4055 Depth=3
	v_ffbh_u32_e32 v1, v8
	v_min_u32_e32 v12, 32, v1
	v_subrev_u32_e32 v1, 29, v12
	v_lshlrev_b64 v[1:2], v1, v[2:3]
	v_bfe_u32 v9, v14, 26, 5
	v_sub_u32_e32 v2, 30, v12
	v_and_b32_e32 v1, 3, v1
	v_cmp_eq_u32_e64 s[28:29], 0, v9
	v_cndmask_b32_e64 v2, v9, v2, s[28:29]
	v_cndmask_b32_e64 v1, v8, v1, s[28:29]
	v_and_b32_e32 v8, 0x80000000, v14
	v_lshl_add_u32 v2, v2, 23, v8
	v_lshl_or_b32 v1, v1, 21, v2
	v_add_u32_e32 v1, 0x38000000, v1
                                        ; implicit-def: $vgpr8
.LBB2_4423:                             ;   in Loop: Header=BB2_4055 Depth=3
	s_andn2_saveexec_b64 s[38:39], s[38:39]
; %bb.4424:                             ;   in Loop: Header=BB2_4055 Depth=3
	v_cmp_lt_i32_e64 s[28:29], -1, v14
	v_cndmask_b32_e64 v1, v27, v6, s[28:29]
	v_cmp_eq_u32_e64 s[28:29], 0, v8
	v_cndmask_b32_e64 v1, v7, v1, s[28:29]
; %bb.4425:                             ;   in Loop: Header=BB2_4055 Depth=3
	s_or_b64 exec, exec, s[38:39]
.LBB2_4426:                             ;   in Loop: Header=BB2_4055 Depth=3
	s_or_b64 exec, exec, s[42:43]
.LBB2_4427:                             ;   in Loop: Header=BB2_4055 Depth=3
	s_or_b64 exec, exec, s[40:41]
	v_bfe_u32 v12, v10, 24, 2
	v_and_b32_e32 v8, 0x7c000000, v10
	v_cmp_eq_u32_e64 s[28:29], s83, v8
	v_ffbh_u32_e32 v8, v12
	v_min_u32_e32 v16, 32, v8
	v_lshrrev_b32_e32 v2, 24, v10
	v_subrev_u32_e32 v8, 29, v16
	v_bfe_u32 v13, v10, 26, 5
	v_lshlrev_b64 v[8:9], v8, v[2:3]
	v_cmp_eq_u32_e64 s[40:41], 0, v13
	v_sub_u32_e32 v9, 30, v16
	v_and_b32_e32 v8, 3, v8
	v_cndmask_b32_e64 v9, v13, v9, s[40:41]
	v_and_b32_e32 v13, 0x80000000, v10
	v_cndmask_b32_e64 v8, v12, v8, s[40:41]
	v_lshl_add_u32 v9, v9, 23, v13
	v_cmp_lt_i32_e64 s[42:43], -1, v10
	v_lshl_or_b32 v8, v8, 21, v9
	v_cmp_eq_u32_e64 s[40:41], 0, v12
	v_cndmask_b32_e64 v9, v27, v6, s[42:43]
	v_add_u32_e32 v8, 0x38000000, v8
	v_cndmask_b32_e64 v9, v7, v9, s[40:41]
	v_cndmask_b32_e64 v8, v8, v9, s[28:29]
	v_cmp_ne_u32_e64 s[28:29], s82, v2
	v_cndmask_b32_e64 v2, v53, v8, s[28:29]
	v_cmp_lt_u32_e64 s[28:29], s57, v10
	v_cndmask_b32_e64 v2, 0, v2, s[28:29]
	v_mul_f32_e32 v1, v2, v1
	v_and_b32_e32 v8, 0x7f800000, v1
	v_mov_b32_e32 v9, v3
	v_cmp_ne_u64_e64 s[28:29], s[62:63], v[8:9]
	v_and_b32_e32 v2, 0x7fffff, v1
                                        ; implicit-def: $vgpr42
	s_and_saveexec_b64 s[40:41], s[28:29]
	s_xor_b64 s[42:43], exec, s[40:41]
	s_cbranch_execz .LBB2_4441
; %bb.4428:                             ;   in Loop: Header=BB2_4055 Depth=3
	v_and_b32_e32 v8, 0x7fffffff, v1
	v_mov_b32_e32 v9, v3
	v_cmp_gt_u64_e64 s[28:29], s[78:79], v[8:9]
	v_and_b32_sdwa v16, v1, s82 dst_sel:DWORD dst_unused:UNUSED_PAD src0_sel:BYTE_3 src1_sel:DWORD
                                        ; implicit-def: $vgpr42
	s_and_saveexec_b64 s[40:41], s[28:29]
	s_xor_b64 s[38:39], exec, s[40:41]
	s_cbranch_execz .LBB2_4438
; %bb.4429:                             ;   in Loop: Header=BB2_4055 Depth=3
	v_mov_b32_e32 v42, 0
	v_cmp_ne_u32_e64 s[28:29], 0, v1
	s_and_saveexec_b64 s[48:49], s[28:29]
	s_cbranch_execz .LBB2_4437
; %bb.4430:                             ;   in Loop: Header=BB2_4055 Depth=3
	v_bfe_u32 v1, v1, 23, 8
	v_cmp_gt_u32_e64 s[40:41], s44, v1
	v_sub_u32_e32 v8, 0x71, v1
	v_cmp_eq_u32_e64 s[28:29], 0, v1
	v_cndmask_b32_e64 v8, 0, v8, s[40:41]
	v_mov_b32_e32 v12, 0x70
	v_cndmask_b32_e64 v17, v8, v12, s[28:29]
	v_or_b32_e32 v9, 0x800000, v2
	v_add_u32_e32 v8, 21, v17
	v_cndmask_b32_e64 v2, v9, v2, s[28:29]
	v_lshlrev_b64 v[8:9], v8, -1
	v_add_u32_e32 v12, 20, v17
	v_lshlrev_b64 v[12:13], v12, 1
	v_bfi_b32 v9, v9, 0, 0
	v_bfi_b32 v8, v8, 0, v2
	v_cmp_eq_u64_e64 s[40:41], v[8:9], v[12:13]
	v_lshrrev_b64 v[8:9], v17, v[2:3]
	v_mov_b32_e32 v13, v9
	v_mov_b32_e32 v12, v8
	s_and_saveexec_b64 s[50:51], s[40:41]
; %bb.4431:                             ;   in Loop: Header=BB2_4055 Depth=3
	v_bfe_u32 v2, v8, 21, 1
	v_add_co_u32_e64 v2, s[40:41], v8, v2
	v_add_co_u32_e64 v12, s[40:41], -1, v2
; %bb.4432:                             ;   in Loop: Header=BB2_4055 Depth=3
	s_or_b64 exec, exec, s[50:51]
	v_add_u32_e32 v1, 0xffffff81, v1
	v_mov_b32_e32 v2, 0xffffff82
	v_cndmask_b32_e64 v1, v1, v2, s[28:29]
	v_lshrrev_b32_e32 v2, 23, v8
	v_add3_u32 v17, v17, v1, v2
	v_add_u32_e32 v13, 14, v17
	v_and_b32_e32 v1, 0x1fffff, v12
	v_add_u32_e32 v2, v1, v8
	v_cmp_ne_u32_e64 s[28:29], 0, v13
                                        ; implicit-def: $vgpr8_vgpr9
                                        ; implicit-def: $vgpr1
	s_and_saveexec_b64 s[40:41], s[28:29]
	s_xor_b64 s[40:41], exec, s[40:41]
; %bb.4433:                             ;   in Loop: Header=BB2_4055 Depth=3
	v_cmp_lt_u64_e64 s[28:29], s[88:89], v[2:3]
	v_add_u32_e32 v1, 15, v17
	v_cndmask_b32_e64 v8, 0, 1, s[28:29]
	v_cndmask_b32_e64 v1, v13, v1, s[28:29]
	v_lshrrev_b64 v[8:9], v8, v[2:3]
; %bb.4434:                             ;   in Loop: Header=BB2_4055 Depth=3
	s_andn2_saveexec_b64 s[28:29], s[40:41]
; %bb.4435:                             ;   in Loop: Header=BB2_4055 Depth=3
	v_mov_b32_e32 v9, v3
	v_bfe_u32 v1, v2, 23, 1
	v_mov_b32_e32 v8, v2
; %bb.4436:                             ;   in Loop: Header=BB2_4055 Depth=3
	s_or_b64 exec, exec, s[28:29]
	v_lshrrev_b64 v[8:9], 21, v[8:9]
	v_cmp_gt_i32_e64 s[28:29], 32, v1
	v_cndmask_b32_e64 v9, 0, v9, s[28:29]
	v_cndmask_b32_e64 v8, 3, v8, s[28:29]
	v_cmp_eq_u32_e64 s[28:29], 0, v1
	v_min_i32_e32 v1, 31, v1
	v_cmp_eq_u64_e64 s[40:41], 0, v[8:9]
	v_lshlrev_b32_e32 v1, 2, v1
	v_and_b32_e32 v1, 0xfc, v1
	v_and_or_b32 v1, v8, 3, v1
	s_and_b64 s[28:29], s[28:29], s[40:41]
	v_cndmask_b32_e64 v1, v1, 0, s[28:29]
	v_or_b32_e32 v42, v1, v16
.LBB2_4437:                             ;   in Loop: Header=BB2_4055 Depth=3
	s_or_b64 exec, exec, s[48:49]
                                        ; implicit-def: $vgpr16
.LBB2_4438:                             ;   in Loop: Header=BB2_4055 Depth=3
	s_andn2_saveexec_b64 s[28:29], s[38:39]
; %bb.4439:                             ;   in Loop: Header=BB2_4055 Depth=3
	v_or_b32_e32 v42, 0x7b, v16
; %bb.4440:                             ;   in Loop: Header=BB2_4055 Depth=3
	s_or_b64 exec, exec, s[28:29]
                                        ; implicit-def: $vgpr1
.LBB2_4441:                             ;   in Loop: Header=BB2_4055 Depth=3
	s_andn2_saveexec_b64 s[40:41], s[42:43]
	s_cbranch_execz .LBB2_4447
; %bb.4442:                             ;   in Loop: Header=BB2_4055 Depth=3
	v_cmp_ne_u64_e64 s[28:29], 0, v[2:3]
                                        ; implicit-def: $vgpr42
	s_and_saveexec_b64 s[42:43], s[28:29]
	s_xor_b64 s[28:29], exec, s[42:43]
; %bb.4443:                             ;   in Loop: Header=BB2_4055 Depth=3
	v_or_b32_sdwa v42, v1, s81 dst_sel:DWORD dst_unused:UNUSED_PAD src0_sel:BYTE_3 src1_sel:DWORD
                                        ; implicit-def: $vgpr1
; %bb.4444:                             ;   in Loop: Header=BB2_4055 Depth=3
	s_andn2_saveexec_b64 s[42:43], s[28:29]
; %bb.4445:                             ;   in Loop: Header=BB2_4055 Depth=3
	v_cmp_lt_i32_e64 s[28:29], -1, v1
	v_cndmask_b32_e64 v42, v0, v49, s[28:29]
; %bb.4446:                             ;   in Loop: Header=BB2_4055 Depth=3
	s_or_b64 exec, exec, s[42:43]
.LBB2_4447:                             ;   in Loop: Header=BB2_4055 Depth=3
	s_or_b64 exec, exec, s[40:41]
	v_mov_b32_e32 v2, v15
	v_cmp_ne_u16_sdwa s[28:29], v15, v3 src0_sel:BYTE_0 src1_sel:DWORD
	v_mov_b32_e32 v1, 0
	s_and_saveexec_b64 s[40:41], s[28:29]
	s_cbranch_execz .LBB2_4455
; %bb.4448:                             ;   in Loop: Header=BB2_4055 Depth=3
	v_cmp_ne_u16_sdwa s[28:29], v15, s82 src0_sel:BYTE_0 src1_sel:DWORD
	v_bfrev_b32_e32 v1, 1
	s_and_saveexec_b64 s[42:43], s[28:29]
	s_cbranch_execz .LBB2_4454
; %bb.4449:                             ;   in Loop: Header=BB2_4055 Depth=3
	v_and_b32_e32 v1, 0x7c, v15
	v_and_b32_e32 v8, 3, v15
	v_cmp_ne_u32_e64 s[28:29], s71, v1
                                        ; implicit-def: $vgpr1
	s_and_saveexec_b64 s[38:39], s[28:29]
	s_xor_b64 s[38:39], exec, s[38:39]
	s_cbranch_execz .LBB2_4451
; %bb.4450:                             ;   in Loop: Header=BB2_4055 Depth=3
	v_ffbh_u32_e32 v9, v8
	v_min_u32_e32 v9, 32, v9
	v_bfe_u32 v1, v15, 2, 5
	v_subrev_u32_e32 v12, 29, v9
	v_lshlrev_b64 v[12:13], v12, v[2:3]
	v_sub_u32_e32 v9, 30, v9
	v_cmp_eq_u32_e64 s[28:29], 0, v1
	v_cndmask_b32_e64 v1, v1, v9, s[28:29]
	v_lshlrev_b32_e32 v9, 24, v15
	v_and_b32_e32 v12, 3, v12
	v_and_b32_e32 v9, 0x80000000, v9
	v_cndmask_b32_e64 v8, v8, v12, s[28:29]
	v_lshl_add_u32 v1, v1, 23, v9
	v_lshl_or_b32 v1, v8, 21, v1
	v_add_u32_e32 v1, 0x38000000, v1
                                        ; implicit-def: $vgpr8
.LBB2_4451:                             ;   in Loop: Header=BB2_4055 Depth=3
	s_andn2_saveexec_b64 s[38:39], s[38:39]
; %bb.4452:                             ;   in Loop: Header=BB2_4055 Depth=3
	v_cmp_gt_i16_sdwa s[28:29], sext(v15), v26 src0_sel:BYTE_0 src1_sel:DWORD
	v_cndmask_b32_e64 v1, v27, v6, s[28:29]
	v_cmp_eq_u32_e64 s[28:29], 0, v8
	v_cndmask_b32_e64 v1, v7, v1, s[28:29]
; %bb.4453:                             ;   in Loop: Header=BB2_4055 Depth=3
	s_or_b64 exec, exec, s[38:39]
.LBB2_4454:                             ;   in Loop: Header=BB2_4055 Depth=3
	s_or_b64 exec, exec, s[42:43]
.LBB2_4455:                             ;   in Loop: Header=BB2_4055 Depth=3
	s_or_b64 exec, exec, s[40:41]
	v_cmp_gt_i16_sdwa s[40:41], v11, s81 src0_sel:BYTE_0 src1_sel:DWORD
	s_mov_b64 s[28:29], 0
	s_and_saveexec_b64 s[42:43], s[40:41]
	s_xor_b64 s[40:41], exec, s[42:43]
	s_cbranch_execz .LBB2_4459
; %bb.4456:                             ;   in Loop: Header=BB2_4055 Depth=3
	v_cmp_eq_u16_sdwa s[38:39], v11, s82 src0_sel:BYTE_0 src1_sel:DWORD
	s_mov_b64 s[28:29], -1
	s_and_saveexec_b64 s[42:43], s[38:39]
; %bb.4457:                             ;   in Loop: Header=BB2_4055 Depth=3
	s_xor_b64 s[28:29], exec, -1
; %bb.4458:                             ;   in Loop: Header=BB2_4055 Depth=3
	s_or_b64 exec, exec, s[42:43]
	s_and_b64 s[28:29], s[28:29], exec
.LBB2_4459:                             ;   in Loop: Header=BB2_4055 Depth=3
	s_or_saveexec_b64 s[40:41], s[40:41]
	v_bfrev_b32_e32 v12, 1
	s_xor_b64 exec, exec, s[40:41]
; %bb.4460:                             ;   in Loop: Header=BB2_4055 Depth=3
	v_cmp_ne_u16_sdwa s[42:43], v11, v3 src0_sel:BYTE_0 src1_sel:DWORD
	s_andn2_b64 s[28:29], s[28:29], exec
	s_and_b64 s[42:43], s[42:43], exec
	v_mov_b32_e32 v12, 0
	s_or_b64 s[28:29], s[28:29], s[42:43]
; %bb.4461:                             ;   in Loop: Header=BB2_4055 Depth=3
	s_or_b64 exec, exec, s[40:41]
	v_mov_b32_e32 v8, v11
	v_mov_b32_e32 v9, v3
	s_and_saveexec_b64 s[38:39], s[28:29]
	s_cbranch_execz .LBB2_4463
; %bb.4462:                             ;   in Loop: Header=BB2_4055 Depth=3
	v_and_b32_e32 v16, 3, v11
	v_and_b32_e32 v12, 0x7c, v11
	v_cmp_eq_u32_e64 s[28:29], s71, v12
	v_ffbh_u32_e32 v12, v16
	v_min_u32_e32 v39, 32, v12
	v_subrev_u32_e32 v12, 29, v39
	v_bfe_u32 v17, v11, 2, 5
	v_lshlrev_b64 v[12:13], v12, v[8:9]
	v_cmp_eq_u32_e64 s[40:41], 0, v17
	v_sub_u32_e32 v9, 30, v39
	v_lshlrev_b32_e32 v13, 24, v11
	v_and_b32_e32 v12, 3, v12
	v_cndmask_b32_e64 v9, v17, v9, s[40:41]
	v_and_b32_e32 v13, 0x80000000, v13
	v_cndmask_b32_e64 v12, v16, v12, s[40:41]
	v_lshl_add_u32 v9, v9, 23, v13
	v_cmp_gt_i16_sdwa s[42:43], sext(v11), v26 src0_sel:BYTE_0 src1_sel:DWORD
	v_lshl_or_b32 v9, v12, 21, v9
	v_cmp_eq_u32_e64 s[40:41], 0, v16
	v_cndmask_b32_e64 v12, v27, v6, s[42:43]
	v_add_u32_e32 v9, 0x38000000, v9
	v_cndmask_b32_e64 v12, v7, v12, s[40:41]
	v_cndmask_b32_e64 v12, v9, v12, s[28:29]
.LBB2_4463:                             ;   in Loop: Header=BB2_4055 Depth=3
	s_or_b64 exec, exec, s[38:39]
	v_mul_f32_e32 v1, v1, v12
	v_and_b32_e32 v16, 0x7f800000, v1
	v_mov_b32_e32 v17, v3
	v_cmp_ne_u64_e64 s[28:29], s[62:63], v[16:17]
	v_and_b32_e32 v12, 0x7fffff, v1
	v_mov_b32_e32 v13, v3
                                        ; implicit-def: $vgpr16
	s_and_saveexec_b64 s[40:41], s[28:29]
	s_xor_b64 s[42:43], exec, s[40:41]
	s_cbranch_execz .LBB2_4477
; %bb.4464:                             ;   in Loop: Header=BB2_4055 Depth=3
	v_and_b32_e32 v16, 0x7fffffff, v1
	v_mov_b32_e32 v17, v3
	v_cmp_gt_u64_e64 s[28:29], s[78:79], v[16:17]
	v_and_b32_sdwa v9, v1, s82 dst_sel:DWORD dst_unused:UNUSED_PAD src0_sel:BYTE_3 src1_sel:DWORD
                                        ; implicit-def: $vgpr16
	s_and_saveexec_b64 s[40:41], s[28:29]
	s_xor_b64 s[38:39], exec, s[40:41]
	s_cbranch_execz .LBB2_4474
; %bb.4465:                             ;   in Loop: Header=BB2_4055 Depth=3
	v_mov_b32_e32 v16, 0
	v_cmp_ne_u32_e64 s[28:29], 0, v1
	s_and_saveexec_b64 s[48:49], s[28:29]
	s_cbranch_execz .LBB2_4473
; %bb.4466:                             ;   in Loop: Header=BB2_4055 Depth=3
	v_bfe_u32 v1, v1, 23, 8
	v_cmp_gt_u32_e64 s[40:41], s44, v1
	v_sub_u32_e32 v16, 0x71, v1
	v_cmp_eq_u32_e64 s[28:29], 0, v1
	v_cndmask_b32_e64 v16, 0, v16, s[40:41]
	v_mov_b32_e32 v39, 0x70
	v_cndmask_b32_e64 v39, v16, v39, s[28:29]
	v_or_b32_e32 v17, 0x800000, v12
	v_add_u32_e32 v16, 21, v39
	v_cndmask_b32_e64 v12, v17, v12, s[28:29]
	v_lshlrev_b64 v[16:17], v16, -1
	v_add_u32_e32 v43, 20, v39
	v_bfi_b32 v16, v16, 0, v12
	v_lshlrev_b64 v[60:61], v43, 1
	v_lshrrev_b64 v[12:13], v39, v[12:13]
	v_bfi_b32 v17, v17, 0, 0
	v_cmp_eq_u64_e64 s[40:41], v[16:17], v[60:61]
	v_mov_b32_e32 v17, v13
	v_mov_b32_e32 v16, v12
	s_and_saveexec_b64 s[50:51], s[40:41]
; %bb.4467:                             ;   in Loop: Header=BB2_4055 Depth=3
	v_bfe_u32 v13, v12, 21, 1
	v_add_co_u32_e64 v13, s[40:41], v12, v13
	v_add_co_u32_e64 v16, s[40:41], -1, v13
; %bb.4468:                             ;   in Loop: Header=BB2_4055 Depth=3
	s_or_b64 exec, exec, s[50:51]
	v_add_u32_e32 v1, 0xffffff81, v1
	v_mov_b32_e32 v13, 0xffffff82
	v_cndmask_b32_e64 v1, v1, v13, s[28:29]
	v_lshrrev_b32_e32 v13, 23, v12
	v_add3_u32 v39, v39, v1, v13
	v_add_u32_e32 v17, 14, v39
	v_and_b32_e32 v1, 0x1fffff, v16
	v_add_u32_e32 v12, v1, v12
	v_mov_b32_e32 v13, v3
	v_cmp_ne_u32_e64 s[28:29], 0, v17
                                        ; implicit-def: $vgpr1
	s_and_saveexec_b64 s[40:41], s[28:29]
	s_xor_b64 s[40:41], exec, s[40:41]
; %bb.4469:                             ;   in Loop: Header=BB2_4055 Depth=3
	v_cmp_lt_u64_e64 s[28:29], s[88:89], v[12:13]
	v_add_u32_e32 v1, 15, v39
	v_cndmask_b32_e64 v16, 0, 1, s[28:29]
	v_cndmask_b32_e64 v1, v17, v1, s[28:29]
	v_lshrrev_b64 v[12:13], v16, v[12:13]
; %bb.4470:                             ;   in Loop: Header=BB2_4055 Depth=3
	s_andn2_saveexec_b64 s[28:29], s[40:41]
; %bb.4471:                             ;   in Loop: Header=BB2_4055 Depth=3
	v_bfe_u32 v1, v12, 23, 1
; %bb.4472:                             ;   in Loop: Header=BB2_4055 Depth=3
	s_or_b64 exec, exec, s[28:29]
	v_lshrrev_b64 v[12:13], 21, v[12:13]
	v_cmp_gt_i32_e64 s[28:29], 32, v1
	v_cndmask_b32_e64 v13, 0, v13, s[28:29]
	v_cndmask_b32_e64 v12, 3, v12, s[28:29]
	v_cmp_eq_u32_e64 s[28:29], 0, v1
	v_min_i32_e32 v1, 31, v1
	v_cmp_eq_u64_e64 s[40:41], 0, v[12:13]
	v_lshlrev_b32_e32 v1, 2, v1
	v_and_b32_e32 v1, 0xfc, v1
	v_and_or_b32 v1, v12, 3, v1
	s_and_b64 s[28:29], s[28:29], s[40:41]
	v_cndmask_b32_e64 v1, v1, 0, s[28:29]
	v_or_b32_e32 v16, v1, v9
.LBB2_4473:                             ;   in Loop: Header=BB2_4055 Depth=3
	s_or_b64 exec, exec, s[48:49]
                                        ; implicit-def: $vgpr9
.LBB2_4474:                             ;   in Loop: Header=BB2_4055 Depth=3
	s_andn2_saveexec_b64 s[28:29], s[38:39]
; %bb.4475:                             ;   in Loop: Header=BB2_4055 Depth=3
	v_or_b32_e32 v16, 0x7b, v9
; %bb.4476:                             ;   in Loop: Header=BB2_4055 Depth=3
	s_or_b64 exec, exec, s[28:29]
                                        ; implicit-def: $vgpr1
                                        ; implicit-def: $vgpr12_vgpr13
.LBB2_4477:                             ;   in Loop: Header=BB2_4055 Depth=3
	s_andn2_saveexec_b64 s[40:41], s[42:43]
	s_cbranch_execz .LBB2_4483
; %bb.4478:                             ;   in Loop: Header=BB2_4055 Depth=3
	v_cmp_ne_u64_e64 s[28:29], 0, v[12:13]
                                        ; implicit-def: $vgpr16
	s_and_saveexec_b64 s[42:43], s[28:29]
	s_xor_b64 s[28:29], exec, s[42:43]
; %bb.4479:                             ;   in Loop: Header=BB2_4055 Depth=3
	v_or_b32_sdwa v16, v1, s81 dst_sel:DWORD dst_unused:UNUSED_PAD src0_sel:BYTE_3 src1_sel:DWORD
                                        ; implicit-def: $vgpr1
; %bb.4480:                             ;   in Loop: Header=BB2_4055 Depth=3
	s_andn2_saveexec_b64 s[42:43], s[28:29]
; %bb.4481:                             ;   in Loop: Header=BB2_4055 Depth=3
	v_cmp_lt_i32_e64 s[28:29], -1, v1
	v_cndmask_b32_e64 v16, v0, v49, s[28:29]
; %bb.4482:                             ;   in Loop: Header=BB2_4055 Depth=3
	s_or_b64 exec, exec, s[42:43]
.LBB2_4483:                             ;   in Loop: Header=BB2_4055 Depth=3
	s_or_b64 exec, exec, s[40:41]
	v_lshrrev_b16_e32 v12, 8, v2
	v_cmp_ne_u16_e64 s[28:29], 0, v12
	v_mov_b32_e32 v1, 0
	s_and_saveexec_b64 s[40:41], s[28:29]
	s_cbranch_execz .LBB2_4491
; %bb.4484:                             ;   in Loop: Header=BB2_4055 Depth=3
	v_cmp_ne_u16_e64 s[28:29], s82, v12
	v_bfrev_b32_e32 v1, 1
	s_and_saveexec_b64 s[42:43], s[28:29]
	s_cbranch_execz .LBB2_4490
; %bb.4485:                             ;   in Loop: Header=BB2_4055 Depth=3
	v_and_b32_e32 v1, 0x7c, v12
	v_and_b32_e32 v9, 3, v12
	v_cmp_ne_u32_e64 s[28:29], s71, v1
                                        ; implicit-def: $vgpr1
	s_and_saveexec_b64 s[38:39], s[28:29]
	s_xor_b64 s[38:39], exec, s[38:39]
	s_cbranch_execz .LBB2_4487
; %bb.4486:                             ;   in Loop: Header=BB2_4055 Depth=3
	v_ffbh_u32_e32 v17, v9
	v_min_u32_e32 v17, 32, v17
	v_mov_b32_e32 v13, v3
	v_subrev_u32_e32 v39, 29, v17
	v_bfe_u32 v1, v12, 2, 5
	v_lshlrev_b64 v[12:13], v39, v[12:13]
	v_sub_u32_e32 v13, 30, v17
	v_cmp_eq_u32_e64 s[28:29], 0, v1
	v_lshlrev_b32_e32 v2, 16, v2
	v_and_b32_e32 v12, 3, v12
	v_cndmask_b32_e64 v1, v1, v13, s[28:29]
	v_and_b32_e32 v2, 0x80000000, v2
	v_cndmask_b32_e64 v9, v9, v12, s[28:29]
	v_lshl_add_u32 v1, v1, 23, v2
	v_lshl_or_b32 v1, v9, 21, v1
	v_add_u32_e32 v1, 0x38000000, v1
                                        ; implicit-def: $vgpr9
.LBB2_4487:                             ;   in Loop: Header=BB2_4055 Depth=3
	s_andn2_saveexec_b64 s[38:39], s[38:39]
; %bb.4488:                             ;   in Loop: Header=BB2_4055 Depth=3
	v_cmp_lt_i16_e64 s[28:29], -1, v2
	v_cndmask_b32_e64 v1, v27, v6, s[28:29]
	v_cmp_eq_u32_e64 s[28:29], 0, v9
	v_cndmask_b32_e64 v1, v7, v1, s[28:29]
; %bb.4489:                             ;   in Loop: Header=BB2_4055 Depth=3
	s_or_b64 exec, exec, s[38:39]
.LBB2_4490:                             ;   in Loop: Header=BB2_4055 Depth=3
	s_or_b64 exec, exec, s[42:43]
.LBB2_4491:                             ;   in Loop: Header=BB2_4055 Depth=3
	s_or_b64 exec, exec, s[40:41]
	v_lshrrev_b16_e32 v2, 8, v8
	v_cmp_lt_i16_e64 s[28:29], s81, v2
	s_mov_b64 s[40:41], 0
	s_and_saveexec_b64 s[42:43], s[28:29]
	s_xor_b64 s[42:43], exec, s[42:43]
	s_cbranch_execz .LBB2_4594
; %bb.4492:                             ;   in Loop: Header=BB2_4055 Depth=3
	v_cmp_eq_u16_e64 s[28:29], s82, v2
	s_mov_b64 s[40:41], -1
	s_and_saveexec_b64 s[38:39], s[28:29]
; %bb.4493:                             ;   in Loop: Header=BB2_4055 Depth=3
	s_xor_b64 s[40:41], exec, -1
; %bb.4494:                             ;   in Loop: Header=BB2_4055 Depth=3
	s_or_b64 exec, exec, s[38:39]
	s_and_b64 s[40:41], s[40:41], exec
	s_or_saveexec_b64 s[42:43], s[42:43]
	v_bfrev_b32_e32 v9, 1
	s_xor_b64 exec, exec, s[42:43]
	s_cbranch_execnz .LBB2_4595
.LBB2_4495:                             ;   in Loop: Header=BB2_4055 Depth=3
	s_or_b64 exec, exec, s[42:43]
	s_and_saveexec_b64 s[38:39], s[40:41]
	s_cbranch_execz .LBB2_4497
.LBB2_4496:                             ;   in Loop: Header=BB2_4055 Depth=3
	v_and_b32_e32 v9, 3, v2
	v_and_b32_e32 v12, 0x7c, v2
	v_cmp_eq_u32_e64 s[28:29], s71, v12
	v_ffbh_u32_e32 v12, v9
	v_min_u32_e32 v39, 32, v12
	v_subrev_u32_e32 v12, 29, v39
	v_bfe_u32 v17, v2, 2, 5
	v_lshlrev_b64 v[12:13], v12, v[2:3]
	v_cmp_eq_u32_e64 s[40:41], 0, v17
	v_sub_u32_e32 v13, 30, v39
	v_lshlrev_b32_e32 v2, 24, v2
	v_and_b32_e32 v12, 3, v12
	v_cndmask_b32_e64 v13, v17, v13, s[40:41]
	v_and_b32_e32 v2, 0x80000000, v2
	v_cndmask_b32_e64 v12, v9, v12, s[40:41]
	v_lshl_add_u32 v2, v13, 23, v2
	v_cmp_lt_i16_e64 s[42:43], -1, v8
	v_lshl_or_b32 v2, v12, 21, v2
	v_cmp_eq_u32_e64 s[40:41], 0, v9
	v_cndmask_b32_e64 v8, v27, v6, s[42:43]
	v_add_u32_e32 v2, 0x38000000, v2
	v_cndmask_b32_e64 v8, v7, v8, s[40:41]
	v_cndmask_b32_e64 v9, v2, v8, s[28:29]
.LBB2_4497:                             ;   in Loop: Header=BB2_4055 Depth=3
	s_or_b64 exec, exec, s[38:39]
	v_mul_f32_e32 v1, v1, v9
	v_and_b32_e32 v8, 0x7f800000, v1
	v_mov_b32_e32 v9, v3
	v_cmp_ne_u64_e64 s[28:29], s[62:63], v[8:9]
	v_and_b32_e32 v2, 0x7fffff, v1
                                        ; implicit-def: $vgpr17
	s_and_saveexec_b64 s[40:41], s[28:29]
	s_xor_b64 s[42:43], exec, s[40:41]
	s_cbranch_execz .LBB2_4511
; %bb.4498:                             ;   in Loop: Header=BB2_4055 Depth=3
	v_and_b32_e32 v8, 0x7fffffff, v1
	v_mov_b32_e32 v9, v3
	v_cmp_gt_u64_e64 s[28:29], s[78:79], v[8:9]
	v_and_b32_sdwa v39, v1, s82 dst_sel:DWORD dst_unused:UNUSED_PAD src0_sel:BYTE_3 src1_sel:DWORD
                                        ; implicit-def: $vgpr17
	s_and_saveexec_b64 s[40:41], s[28:29]
	s_xor_b64 s[38:39], exec, s[40:41]
	s_cbranch_execz .LBB2_4508
; %bb.4499:                             ;   in Loop: Header=BB2_4055 Depth=3
	v_mov_b32_e32 v17, 0
	v_cmp_ne_u32_e64 s[28:29], 0, v1
	s_and_saveexec_b64 s[48:49], s[28:29]
	s_cbranch_execz .LBB2_4507
; %bb.4500:                             ;   in Loop: Header=BB2_4055 Depth=3
	v_bfe_u32 v1, v1, 23, 8
	v_cmp_gt_u32_e64 s[40:41], s44, v1
	v_sub_u32_e32 v8, 0x71, v1
	v_cmp_eq_u32_e64 s[28:29], 0, v1
	v_cndmask_b32_e64 v8, 0, v8, s[40:41]
	v_mov_b32_e32 v12, 0x70
	v_cndmask_b32_e64 v17, v8, v12, s[28:29]
	v_or_b32_e32 v9, 0x800000, v2
	v_add_u32_e32 v8, 21, v17
	v_cndmask_b32_e64 v2, v9, v2, s[28:29]
	v_lshlrev_b64 v[8:9], v8, -1
	v_add_u32_e32 v12, 20, v17
	v_lshlrev_b64 v[12:13], v12, 1
	v_bfi_b32 v9, v9, 0, 0
	v_bfi_b32 v8, v8, 0, v2
	v_cmp_eq_u64_e64 s[40:41], v[8:9], v[12:13]
	v_lshrrev_b64 v[8:9], v17, v[2:3]
	v_mov_b32_e32 v13, v9
	v_mov_b32_e32 v12, v8
	s_and_saveexec_b64 s[50:51], s[40:41]
; %bb.4501:                             ;   in Loop: Header=BB2_4055 Depth=3
	v_bfe_u32 v2, v8, 21, 1
	v_add_co_u32_e64 v2, s[40:41], v8, v2
	v_add_co_u32_e64 v12, s[40:41], -1, v2
; %bb.4502:                             ;   in Loop: Header=BB2_4055 Depth=3
	s_or_b64 exec, exec, s[50:51]
	v_add_u32_e32 v1, 0xffffff81, v1
	v_mov_b32_e32 v2, 0xffffff82
	v_cndmask_b32_e64 v1, v1, v2, s[28:29]
	v_lshrrev_b32_e32 v2, 23, v8
	v_add3_u32 v17, v17, v1, v2
	v_add_u32_e32 v13, 14, v17
	v_and_b32_e32 v1, 0x1fffff, v12
	v_add_u32_e32 v2, v1, v8
	v_cmp_ne_u32_e64 s[28:29], 0, v13
                                        ; implicit-def: $vgpr8_vgpr9
                                        ; implicit-def: $vgpr1
	s_and_saveexec_b64 s[40:41], s[28:29]
	s_xor_b64 s[40:41], exec, s[40:41]
; %bb.4503:                             ;   in Loop: Header=BB2_4055 Depth=3
	v_cmp_lt_u64_e64 s[28:29], s[88:89], v[2:3]
	v_add_u32_e32 v1, 15, v17
	v_cndmask_b32_e64 v8, 0, 1, s[28:29]
	v_cndmask_b32_e64 v1, v13, v1, s[28:29]
	v_lshrrev_b64 v[8:9], v8, v[2:3]
; %bb.4504:                             ;   in Loop: Header=BB2_4055 Depth=3
	s_andn2_saveexec_b64 s[28:29], s[40:41]
; %bb.4505:                             ;   in Loop: Header=BB2_4055 Depth=3
	v_mov_b32_e32 v9, v3
	v_bfe_u32 v1, v2, 23, 1
	v_mov_b32_e32 v8, v2
; %bb.4506:                             ;   in Loop: Header=BB2_4055 Depth=3
	s_or_b64 exec, exec, s[28:29]
	v_lshrrev_b64 v[8:9], 21, v[8:9]
	v_cmp_gt_i32_e64 s[28:29], 32, v1
	v_cndmask_b32_e64 v9, 0, v9, s[28:29]
	v_cndmask_b32_e64 v8, 3, v8, s[28:29]
	v_cmp_eq_u32_e64 s[28:29], 0, v1
	v_min_i32_e32 v1, 31, v1
	v_cmp_eq_u64_e64 s[40:41], 0, v[8:9]
	v_lshlrev_b32_e32 v1, 2, v1
	v_and_b32_e32 v1, 0xfc, v1
	v_and_or_b32 v1, v8, 3, v1
	s_and_b64 s[28:29], s[28:29], s[40:41]
	v_cndmask_b32_e64 v1, v1, 0, s[28:29]
	v_or_b32_e32 v17, v1, v39
.LBB2_4507:                             ;   in Loop: Header=BB2_4055 Depth=3
	s_or_b64 exec, exec, s[48:49]
                                        ; implicit-def: $vgpr39
.LBB2_4508:                             ;   in Loop: Header=BB2_4055 Depth=3
	s_andn2_saveexec_b64 s[28:29], s[38:39]
; %bb.4509:                             ;   in Loop: Header=BB2_4055 Depth=3
	v_or_b32_e32 v17, 0x7b, v39
; %bb.4510:                             ;   in Loop: Header=BB2_4055 Depth=3
	s_or_b64 exec, exec, s[28:29]
                                        ; implicit-def: $vgpr1
.LBB2_4511:                             ;   in Loop: Header=BB2_4055 Depth=3
	s_andn2_saveexec_b64 s[40:41], s[42:43]
	s_cbranch_execz .LBB2_4517
; %bb.4512:                             ;   in Loop: Header=BB2_4055 Depth=3
	v_cmp_ne_u64_e64 s[28:29], 0, v[2:3]
                                        ; implicit-def: $vgpr17
	s_and_saveexec_b64 s[42:43], s[28:29]
	s_xor_b64 s[28:29], exec, s[42:43]
; %bb.4513:                             ;   in Loop: Header=BB2_4055 Depth=3
	v_or_b32_sdwa v17, v1, s81 dst_sel:DWORD dst_unused:UNUSED_PAD src0_sel:BYTE_3 src1_sel:DWORD
                                        ; implicit-def: $vgpr1
; %bb.4514:                             ;   in Loop: Header=BB2_4055 Depth=3
	s_andn2_saveexec_b64 s[42:43], s[28:29]
; %bb.4515:                             ;   in Loop: Header=BB2_4055 Depth=3
	v_cmp_lt_i32_e64 s[28:29], -1, v1
	v_cndmask_b32_e64 v17, v0, v49, s[28:29]
; %bb.4516:                             ;   in Loop: Header=BB2_4055 Depth=3
	s_or_b64 exec, exec, s[42:43]
.LBB2_4517:                             ;   in Loop: Header=BB2_4055 Depth=3
	s_or_b64 exec, exec, s[40:41]
	v_lshrrev_b32_e32 v2, 16, v15
	v_cmp_ne_u16_sdwa s[28:29], v2, v3 src0_sel:BYTE_0 src1_sel:DWORD
	v_mov_b32_e32 v1, 0
	s_and_saveexec_b64 s[40:41], s[28:29]
	s_cbranch_execz .LBB2_4525
; %bb.4518:                             ;   in Loop: Header=BB2_4055 Depth=3
	v_cmp_ne_u16_sdwa s[28:29], v2, s82 src0_sel:BYTE_0 src1_sel:DWORD
	v_bfrev_b32_e32 v1, 1
	s_and_saveexec_b64 s[42:43], s[28:29]
	s_cbranch_execz .LBB2_4524
; %bb.4519:                             ;   in Loop: Header=BB2_4055 Depth=3
	v_and_b32_e32 v1, 0x7c0000, v15
	v_bfe_u32 v8, v15, 16, 2
	v_cmp_ne_u32_e64 s[28:29], s45, v1
                                        ; implicit-def: $vgpr1
	s_and_saveexec_b64 s[38:39], s[28:29]
	s_xor_b64 s[38:39], exec, s[38:39]
	s_cbranch_execz .LBB2_4521
; %bb.4520:                             ;   in Loop: Header=BB2_4055 Depth=3
	v_ffbh_u32_e32 v1, v8
	v_min_u32_e32 v12, 32, v1
	v_subrev_u32_e32 v1, 29, v12
	v_lshlrev_b64 v[1:2], v1, v[2:3]
	v_bfe_u32 v9, v15, 18, 5
	v_and_b32_e32 v1, 3, v1
	v_cmp_eq_u32_e64 s[28:29], 0, v9
	v_sub_u32_e32 v2, 30, v12
	v_cndmask_b32_e64 v1, v8, v1, s[28:29]
	v_lshlrev_b32_e32 v8, 8, v15
	v_cndmask_b32_e64 v2, v9, v2, s[28:29]
	v_and_b32_e32 v8, 0x80000000, v8
	v_lshl_add_u32 v2, v2, 23, v8
	v_lshl_or_b32 v1, v1, 21, v2
	v_add_u32_e32 v1, 0x38000000, v1
                                        ; implicit-def: $vgpr8
                                        ; implicit-def: $vgpr2
.LBB2_4521:                             ;   in Loop: Header=BB2_4055 Depth=3
	s_andn2_saveexec_b64 s[38:39], s[38:39]
; %bb.4522:                             ;   in Loop: Header=BB2_4055 Depth=3
	v_cmp_gt_i16_sdwa s[28:29], sext(v2), v26 src0_sel:BYTE_0 src1_sel:DWORD
	v_cndmask_b32_e64 v1, v27, v6, s[28:29]
	v_cmp_eq_u32_e64 s[28:29], 0, v8
	v_cndmask_b32_e64 v1, v7, v1, s[28:29]
; %bb.4523:                             ;   in Loop: Header=BB2_4055 Depth=3
	s_or_b64 exec, exec, s[38:39]
.LBB2_4524:                             ;   in Loop: Header=BB2_4055 Depth=3
	s_or_b64 exec, exec, s[42:43]
.LBB2_4525:                             ;   in Loop: Header=BB2_4055 Depth=3
	s_or_b64 exec, exec, s[40:41]
	v_lshrrev_b32_e32 v2, 16, v11
	v_cmp_gt_i16_sdwa s[40:41], v2, s81 src0_sel:BYTE_0 src1_sel:DWORD
	s_mov_b64 s[28:29], 0
	s_and_saveexec_b64 s[42:43], s[40:41]
	s_xor_b64 s[40:41], exec, s[42:43]
	s_cbranch_execz .LBB2_4596
; %bb.4526:                             ;   in Loop: Header=BB2_4055 Depth=3
	v_cmp_eq_u16_sdwa s[38:39], v2, s82 src0_sel:BYTE_0 src1_sel:DWORD
	s_mov_b64 s[28:29], -1
	s_and_saveexec_b64 s[42:43], s[38:39]
; %bb.4527:                             ;   in Loop: Header=BB2_4055 Depth=3
	s_xor_b64 s[28:29], exec, -1
; %bb.4528:                             ;   in Loop: Header=BB2_4055 Depth=3
	s_or_b64 exec, exec, s[42:43]
	s_and_b64 s[28:29], s[28:29], exec
	s_or_saveexec_b64 s[40:41], s[40:41]
	v_bfrev_b32_e32 v8, 1
	s_xor_b64 exec, exec, s[40:41]
	s_cbranch_execnz .LBB2_4597
.LBB2_4529:                             ;   in Loop: Header=BB2_4055 Depth=3
	s_or_b64 exec, exec, s[40:41]
	s_and_saveexec_b64 s[38:39], s[28:29]
	s_cbranch_execz .LBB2_4531
.LBB2_4530:                             ;   in Loop: Header=BB2_4055 Depth=3
	v_and_b32_e32 v12, 3, v2
	v_and_b32_e32 v8, 0x7c0000, v11
	v_cmp_eq_u32_e64 s[28:29], s45, v8
	v_ffbh_u32_e32 v8, v12
	v_min_u32_e32 v39, 32, v8
	v_subrev_u32_e32 v8, 29, v39
	v_bfe_u32 v13, v11, 18, 5
	v_lshlrev_b64 v[8:9], v8, v[2:3]
	v_cmp_eq_u32_e64 s[40:41], 0, v13
	v_sub_u32_e32 v9, 30, v39
	v_cndmask_b32_e64 v9, v13, v9, s[40:41]
	v_lshlrev_b32_e32 v13, 24, v2
	v_and_b32_e32 v8, 3, v8
	v_and_b32_e32 v13, 0x80000000, v13
	v_cndmask_b32_e64 v8, v12, v8, s[40:41]
	v_lshl_add_u32 v9, v9, 23, v13
	v_cmp_gt_i16_sdwa s[42:43], sext(v2), v26 src0_sel:BYTE_0 src1_sel:DWORD
	v_lshl_or_b32 v8, v8, 21, v9
	v_cmp_eq_u32_e64 s[40:41], 0, v12
	v_cndmask_b32_e64 v2, v27, v6, s[42:43]
	v_add_u32_e32 v8, 0x38000000, v8
	v_cndmask_b32_e64 v2, v7, v2, s[40:41]
	v_cndmask_b32_e64 v8, v8, v2, s[28:29]
.LBB2_4531:                             ;   in Loop: Header=BB2_4055 Depth=3
	s_or_b64 exec, exec, s[38:39]
	v_mul_f32_e32 v1, v1, v8
	v_and_b32_e32 v8, 0x7f800000, v1
	v_mov_b32_e32 v9, v3
	v_cmp_ne_u64_e64 s[28:29], s[62:63], v[8:9]
	v_and_b32_e32 v2, 0x7fffff, v1
                                        ; implicit-def: $vgpr12
	s_and_saveexec_b64 s[40:41], s[28:29]
	s_xor_b64 s[42:43], exec, s[40:41]
	s_cbranch_execz .LBB2_4545
; %bb.4532:                             ;   in Loop: Header=BB2_4055 Depth=3
	v_and_b32_e32 v8, 0x7fffffff, v1
	v_mov_b32_e32 v9, v3
	v_cmp_gt_u64_e64 s[28:29], s[78:79], v[8:9]
	v_and_b32_sdwa v39, v1, s82 dst_sel:DWORD dst_unused:UNUSED_PAD src0_sel:BYTE_3 src1_sel:DWORD
                                        ; implicit-def: $vgpr12
	s_and_saveexec_b64 s[40:41], s[28:29]
	s_xor_b64 s[38:39], exec, s[40:41]
	s_cbranch_execz .LBB2_4542
; %bb.4533:                             ;   in Loop: Header=BB2_4055 Depth=3
	v_mov_b32_e32 v12, 0
	v_cmp_ne_u32_e64 s[28:29], 0, v1
	s_and_saveexec_b64 s[48:49], s[28:29]
	s_cbranch_execz .LBB2_4541
; %bb.4534:                             ;   in Loop: Header=BB2_4055 Depth=3
	v_bfe_u32 v1, v1, 23, 8
	v_cmp_gt_u32_e64 s[40:41], s44, v1
	v_sub_u32_e32 v8, 0x71, v1
	v_cmp_eq_u32_e64 s[28:29], 0, v1
	v_cndmask_b32_e64 v8, 0, v8, s[40:41]
	v_mov_b32_e32 v12, 0x70
	v_cndmask_b32_e64 v43, v8, v12, s[28:29]
	v_or_b32_e32 v9, 0x800000, v2
	v_add_u32_e32 v8, 21, v43
	v_cndmask_b32_e64 v2, v9, v2, s[28:29]
	v_lshlrev_b64 v[8:9], v8, -1
	v_add_u32_e32 v12, 20, v43
	v_lshlrev_b64 v[12:13], v12, 1
	v_bfi_b32 v9, v9, 0, 0
	v_bfi_b32 v8, v8, 0, v2
	v_cmp_eq_u64_e64 s[40:41], v[8:9], v[12:13]
	v_lshrrev_b64 v[8:9], v43, v[2:3]
	v_mov_b32_e32 v13, v9
	v_mov_b32_e32 v12, v8
	s_and_saveexec_b64 s[50:51], s[40:41]
; %bb.4535:                             ;   in Loop: Header=BB2_4055 Depth=3
	v_bfe_u32 v2, v8, 21, 1
	v_add_co_u32_e64 v2, s[40:41], v8, v2
	v_add_co_u32_e64 v12, s[40:41], -1, v2
; %bb.4536:                             ;   in Loop: Header=BB2_4055 Depth=3
	s_or_b64 exec, exec, s[50:51]
	v_add_u32_e32 v1, 0xffffff81, v1
	v_mov_b32_e32 v2, 0xffffff82
	v_cndmask_b32_e64 v1, v1, v2, s[28:29]
	v_lshrrev_b32_e32 v2, 23, v8
	v_add3_u32 v43, v43, v1, v2
	v_add_u32_e32 v13, 14, v43
	v_and_b32_e32 v1, 0x1fffff, v12
	v_add_u32_e32 v2, v1, v8
	v_cmp_ne_u32_e64 s[28:29], 0, v13
                                        ; implicit-def: $vgpr8_vgpr9
                                        ; implicit-def: $vgpr1
	s_and_saveexec_b64 s[40:41], s[28:29]
	s_xor_b64 s[40:41], exec, s[40:41]
; %bb.4537:                             ;   in Loop: Header=BB2_4055 Depth=3
	v_cmp_lt_u64_e64 s[28:29], s[88:89], v[2:3]
	v_add_u32_e32 v1, 15, v43
	v_cndmask_b32_e64 v8, 0, 1, s[28:29]
	v_cndmask_b32_e64 v1, v13, v1, s[28:29]
	v_lshrrev_b64 v[8:9], v8, v[2:3]
; %bb.4538:                             ;   in Loop: Header=BB2_4055 Depth=3
	s_andn2_saveexec_b64 s[28:29], s[40:41]
; %bb.4539:                             ;   in Loop: Header=BB2_4055 Depth=3
	v_mov_b32_e32 v9, v3
	v_bfe_u32 v1, v2, 23, 1
	v_mov_b32_e32 v8, v2
; %bb.4540:                             ;   in Loop: Header=BB2_4055 Depth=3
	s_or_b64 exec, exec, s[28:29]
	v_lshrrev_b64 v[8:9], 21, v[8:9]
	v_cmp_gt_i32_e64 s[28:29], 32, v1
	v_cndmask_b32_e64 v9, 0, v9, s[28:29]
	v_cndmask_b32_e64 v8, 3, v8, s[28:29]
	v_cmp_eq_u32_e64 s[28:29], 0, v1
	v_min_i32_e32 v1, 31, v1
	v_cmp_eq_u64_e64 s[40:41], 0, v[8:9]
	v_lshlrev_b32_e32 v1, 2, v1
	v_and_b32_e32 v1, 0xfc, v1
	v_and_or_b32 v1, v8, 3, v1
	s_and_b64 s[28:29], s[28:29], s[40:41]
	v_cndmask_b32_e64 v1, v1, 0, s[28:29]
	v_or_b32_e32 v12, v1, v39
.LBB2_4541:                             ;   in Loop: Header=BB2_4055 Depth=3
	s_or_b64 exec, exec, s[48:49]
                                        ; implicit-def: $vgpr39
.LBB2_4542:                             ;   in Loop: Header=BB2_4055 Depth=3
	s_andn2_saveexec_b64 s[28:29], s[38:39]
; %bb.4543:                             ;   in Loop: Header=BB2_4055 Depth=3
	v_or_b32_e32 v12, 0x7b, v39
; %bb.4544:                             ;   in Loop: Header=BB2_4055 Depth=3
	s_or_b64 exec, exec, s[28:29]
                                        ; implicit-def: $vgpr1
.LBB2_4545:                             ;   in Loop: Header=BB2_4055 Depth=3
	s_andn2_saveexec_b64 s[40:41], s[42:43]
	s_cbranch_execz .LBB2_4551
; %bb.4546:                             ;   in Loop: Header=BB2_4055 Depth=3
	v_cmp_ne_u64_e64 s[28:29], 0, v[2:3]
                                        ; implicit-def: $vgpr12
	s_and_saveexec_b64 s[42:43], s[28:29]
	s_xor_b64 s[28:29], exec, s[42:43]
; %bb.4547:                             ;   in Loop: Header=BB2_4055 Depth=3
	v_or_b32_sdwa v12, v1, s81 dst_sel:DWORD dst_unused:UNUSED_PAD src0_sel:BYTE_3 src1_sel:DWORD
                                        ; implicit-def: $vgpr1
; %bb.4548:                             ;   in Loop: Header=BB2_4055 Depth=3
	s_andn2_saveexec_b64 s[42:43], s[28:29]
; %bb.4549:                             ;   in Loop: Header=BB2_4055 Depth=3
	v_cmp_lt_i32_e64 s[28:29], -1, v1
	v_cndmask_b32_e64 v12, v0, v49, s[28:29]
; %bb.4550:                             ;   in Loop: Header=BB2_4055 Depth=3
	s_or_b64 exec, exec, s[42:43]
.LBB2_4551:                             ;   in Loop: Header=BB2_4055 Depth=3
	s_or_b64 exec, exec, s[40:41]
	v_cmp_lt_u64_e64 s[28:29], s[56:57], v[14:15]
	v_mov_b32_e32 v1, 0
	s_and_saveexec_b64 s[40:41], s[28:29]
	s_cbranch_execz .LBB2_4559
; %bb.4552:                             ;   in Loop: Header=BB2_4055 Depth=3
	v_lshrrev_b32_e32 v2, 24, v15
	v_cmp_ne_u32_e64 s[28:29], s82, v2
	v_bfrev_b32_e32 v1, 1
	s_and_saveexec_b64 s[42:43], s[28:29]
	s_cbranch_execz .LBB2_4558
; %bb.4553:                             ;   in Loop: Header=BB2_4055 Depth=3
	v_and_b32_e32 v1, 0x7c000000, v15
	v_bfe_u32 v8, v15, 24, 2
	v_cmp_ne_u32_e64 s[28:29], s83, v1
                                        ; implicit-def: $vgpr1
	s_and_saveexec_b64 s[38:39], s[28:29]
	s_xor_b64 s[38:39], exec, s[38:39]
	s_cbranch_execz .LBB2_4555
; %bb.4554:                             ;   in Loop: Header=BB2_4055 Depth=3
	v_ffbh_u32_e32 v1, v8
	v_min_u32_e32 v13, 32, v1
	v_subrev_u32_e32 v1, 29, v13
	v_lshlrev_b64 v[1:2], v1, v[2:3]
	v_bfe_u32 v9, v15, 26, 5
	v_sub_u32_e32 v2, 30, v13
	v_and_b32_e32 v1, 3, v1
	v_cmp_eq_u32_e64 s[28:29], 0, v9
	v_cndmask_b32_e64 v2, v9, v2, s[28:29]
	v_cndmask_b32_e64 v1, v8, v1, s[28:29]
	v_and_b32_e32 v8, 0x80000000, v15
	v_lshl_add_u32 v2, v2, 23, v8
	v_lshl_or_b32 v1, v1, 21, v2
	v_add_u32_e32 v1, 0x38000000, v1
                                        ; implicit-def: $vgpr8
                                        ; implicit-def: $vgpr14_vgpr15
.LBB2_4555:                             ;   in Loop: Header=BB2_4055 Depth=3
	s_andn2_saveexec_b64 s[38:39], s[38:39]
; %bb.4556:                             ;   in Loop: Header=BB2_4055 Depth=3
	v_cmp_lt_i64_e64 s[28:29], -1, v[14:15]
	v_cndmask_b32_e64 v1, v27, v6, s[28:29]
	v_cmp_eq_u32_e64 s[28:29], 0, v8
	v_cndmask_b32_e64 v1, v7, v1, s[28:29]
; %bb.4557:                             ;   in Loop: Header=BB2_4055 Depth=3
	s_or_b64 exec, exec, s[38:39]
.LBB2_4558:                             ;   in Loop: Header=BB2_4055 Depth=3
	s_or_b64 exec, exec, s[42:43]
.LBB2_4559:                             ;   in Loop: Header=BB2_4055 Depth=3
	s_or_b64 exec, exec, s[40:41]
	v_bfe_u32 v13, v11, 24, 2
	v_and_b32_e32 v8, 0x7c000000, v11
	v_cmp_eq_u32_e64 s[28:29], s83, v8
	v_ffbh_u32_e32 v8, v13
	v_min_u32_e32 v15, 32, v8
	v_lshrrev_b32_e32 v2, 24, v11
	v_subrev_u32_e32 v8, 29, v15
	v_bfe_u32 v14, v11, 26, 5
	v_lshlrev_b64 v[8:9], v8, v[2:3]
	v_cmp_eq_u32_e64 s[40:41], 0, v14
	v_sub_u32_e32 v9, 30, v15
	v_and_b32_e32 v8, 3, v8
	v_cndmask_b32_e64 v9, v14, v9, s[40:41]
	v_and_b32_e32 v14, 0x80000000, v11
	v_cmp_lt_i64_e64 s[42:43], -1, v[10:11]
	v_cndmask_b32_e64 v8, v13, v8, s[40:41]
	v_lshl_add_u32 v9, v9, 23, v14
	v_lshl_or_b32 v8, v8, 21, v9
	v_cmp_eq_u32_e64 s[40:41], 0, v13
	v_cndmask_b32_e64 v9, v27, v6, s[42:43]
	v_add_u32_e32 v8, 0x38000000, v8
	v_cndmask_b32_e64 v9, v7, v9, s[40:41]
	v_cndmask_b32_e64 v8, v8, v9, s[28:29]
	v_cmp_ne_u32_e64 s[28:29], s82, v2
	v_cndmask_b32_e64 v2, v53, v8, s[28:29]
	v_cmp_lt_u64_e64 s[28:29], s[56:57], v[10:11]
	v_mov_b32_e32 v10, v3
	v_cndmask_b32_e64 v2, 0, v2, s[28:29]
	v_mul_f32_e32 v8, v2, v1
	v_and_b32_e32 v9, 0x7f800000, v8
	v_cmp_ne_u64_e64 s[28:29], s[62:63], v[9:10]
	v_and_b32_e32 v2, 0x7fffff, v8
                                        ; implicit-def: $vgpr1
	s_and_saveexec_b64 s[40:41], s[28:29]
	s_xor_b64 s[42:43], exec, s[40:41]
	s_cbranch_execz .LBB2_4573
; %bb.4560:                             ;   in Loop: Header=BB2_4055 Depth=3
	v_and_b32_e32 v9, 0x7fffffff, v8
	v_mov_b32_e32 v10, v3
	v_cmp_gt_u64_e64 s[28:29], s[78:79], v[9:10]
	v_and_b32_sdwa v11, v8, s82 dst_sel:DWORD dst_unused:UNUSED_PAD src0_sel:BYTE_3 src1_sel:DWORD
                                        ; implicit-def: $vgpr1
	s_and_saveexec_b64 s[40:41], s[28:29]
	s_xor_b64 s[38:39], exec, s[40:41]
	s_cbranch_execz .LBB2_4570
; %bb.4561:                             ;   in Loop: Header=BB2_4055 Depth=3
	v_mov_b32_e32 v1, 0
	v_cmp_ne_u32_e64 s[28:29], 0, v8
	s_and_saveexec_b64 s[48:49], s[28:29]
	s_cbranch_execz .LBB2_4569
; %bb.4562:                             ;   in Loop: Header=BB2_4055 Depth=3
	v_bfe_u32 v1, v8, 23, 8
	v_cmp_gt_u32_e64 s[40:41], s44, v1
	v_sub_u32_e32 v8, 0x71, v1
	v_cmp_eq_u32_e64 s[28:29], 0, v1
	v_cndmask_b32_e64 v8, 0, v8, s[40:41]
	v_mov_b32_e32 v10, 0x70
	v_cndmask_b32_e64 v13, v8, v10, s[28:29]
	v_or_b32_e32 v9, 0x800000, v2
	v_add_u32_e32 v8, 21, v13
	v_cndmask_b32_e64 v2, v9, v2, s[28:29]
	v_lshlrev_b64 v[8:9], v8, -1
	v_add_u32_e32 v10, 20, v13
	v_lshlrev_b64 v[14:15], v10, 1
	v_bfi_b32 v9, v9, 0, 0
	v_bfi_b32 v8, v8, 0, v2
	v_cmp_eq_u64_e64 s[40:41], v[8:9], v[14:15]
	v_lshrrev_b64 v[8:9], v13, v[2:3]
	v_mov_b32_e32 v10, v9
	v_mov_b32_e32 v9, v8
	s_and_saveexec_b64 s[50:51], s[40:41]
; %bb.4563:                             ;   in Loop: Header=BB2_4055 Depth=3
	v_bfe_u32 v2, v8, 21, 1
	v_add_co_u32_e64 v2, s[40:41], v8, v2
	v_add_co_u32_e64 v9, s[40:41], -1, v2
; %bb.4564:                             ;   in Loop: Header=BB2_4055 Depth=3
	s_or_b64 exec, exec, s[50:51]
	v_add_u32_e32 v1, 0xffffff81, v1
	v_mov_b32_e32 v2, 0xffffff82
	v_cndmask_b32_e64 v1, v1, v2, s[28:29]
	v_lshrrev_b32_e32 v2, 23, v8
	v_add3_u32 v13, v13, v1, v2
	v_add_u32_e32 v10, 14, v13
	v_and_b32_e32 v1, 0x1fffff, v9
	v_add_u32_e32 v2, v1, v8
	v_cmp_ne_u32_e64 s[28:29], 0, v10
                                        ; implicit-def: $vgpr8_vgpr9
                                        ; implicit-def: $vgpr1
	s_and_saveexec_b64 s[40:41], s[28:29]
	s_xor_b64 s[40:41], exec, s[40:41]
; %bb.4565:                             ;   in Loop: Header=BB2_4055 Depth=3
	v_cmp_lt_u64_e64 s[28:29], s[88:89], v[2:3]
	v_add_u32_e32 v1, 15, v13
	v_cndmask_b32_e64 v8, 0, 1, s[28:29]
	v_cndmask_b32_e64 v1, v10, v1, s[28:29]
	v_lshrrev_b64 v[8:9], v8, v[2:3]
; %bb.4566:                             ;   in Loop: Header=BB2_4055 Depth=3
	s_andn2_saveexec_b64 s[28:29], s[40:41]
; %bb.4567:                             ;   in Loop: Header=BB2_4055 Depth=3
	v_mov_b32_e32 v9, v3
	v_bfe_u32 v1, v2, 23, 1
	v_mov_b32_e32 v8, v2
; %bb.4568:                             ;   in Loop: Header=BB2_4055 Depth=3
	s_or_b64 exec, exec, s[28:29]
	v_lshrrev_b64 v[8:9], 21, v[8:9]
	v_cmp_gt_i32_e64 s[28:29], 32, v1
	v_cndmask_b32_e64 v9, 0, v9, s[28:29]
	v_cndmask_b32_e64 v8, 3, v8, s[28:29]
	v_cmp_eq_u32_e64 s[28:29], 0, v1
	v_min_i32_e32 v1, 31, v1
	v_cmp_eq_u64_e64 s[40:41], 0, v[8:9]
	v_lshlrev_b32_e32 v1, 2, v1
	v_and_b32_e32 v1, 0xfc, v1
	v_and_or_b32 v1, v8, 3, v1
	s_and_b64 s[28:29], s[28:29], s[40:41]
	v_cndmask_b32_e64 v1, v1, 0, s[28:29]
	v_or_b32_e32 v1, v1, v11
.LBB2_4569:                             ;   in Loop: Header=BB2_4055 Depth=3
	s_or_b64 exec, exec, s[48:49]
                                        ; implicit-def: $vgpr11
.LBB2_4570:                             ;   in Loop: Header=BB2_4055 Depth=3
	s_andn2_saveexec_b64 s[28:29], s[38:39]
; %bb.4571:                             ;   in Loop: Header=BB2_4055 Depth=3
	v_or_b32_e32 v1, 0x7b, v11
; %bb.4572:                             ;   in Loop: Header=BB2_4055 Depth=3
	s_or_b64 exec, exec, s[28:29]
                                        ; implicit-def: $vgpr8
.LBB2_4573:                             ;   in Loop: Header=BB2_4055 Depth=3
	s_andn2_saveexec_b64 s[40:41], s[42:43]
	s_cbranch_execz .LBB2_4054
; %bb.4574:                             ;   in Loop: Header=BB2_4055 Depth=3
	v_cmp_ne_u64_e64 s[28:29], 0, v[2:3]
                                        ; implicit-def: $vgpr1
	s_and_saveexec_b64 s[42:43], s[28:29]
	s_xor_b64 s[28:29], exec, s[42:43]
; %bb.4575:                             ;   in Loop: Header=BB2_4055 Depth=3
	v_or_b32_sdwa v1, v8, s81 dst_sel:DWORD dst_unused:UNUSED_PAD src0_sel:BYTE_3 src1_sel:DWORD
                                        ; implicit-def: $vgpr8
; %bb.4576:                             ;   in Loop: Header=BB2_4055 Depth=3
	s_andn2_saveexec_b64 s[42:43], s[28:29]
	s_cbranch_execz .LBB2_4053
; %bb.4577:                             ;   in Loop: Header=BB2_4055 Depth=3
	v_cmp_lt_i32_e64 s[28:29], -1, v8
	v_cndmask_b32_e64 v1, v0, v49, s[28:29]
	s_branch .LBB2_4053
.LBB2_4578:                             ;   in Loop: Header=BB2_4055 Depth=3
	s_or_saveexec_b64 s[40:41], s[40:41]
	v_bfrev_b32_e32 v2, 1
	s_xor_b64 exec, exec, s[40:41]
	s_cbranch_execz .LBB2_4067
.LBB2_4579:                             ;   in Loop: Header=BB2_4055 Depth=3
	v_cmp_ne_u16_sdwa s[42:43], v8, v3 src0_sel:BYTE_0 src1_sel:DWORD
	s_andn2_b64 s[28:29], s[28:29], exec
	s_and_b64 s[42:43], s[42:43], exec
	v_mov_b32_e32 v2, 0
	s_or_b64 s[28:29], s[28:29], s[42:43]
	s_or_b64 exec, exec, s[40:41]
	s_and_saveexec_b64 s[38:39], s[28:29]
	s_cbranch_execnz .LBB2_4068
	s_branch .LBB2_4069
.LBB2_4580:                             ;   in Loop: Header=BB2_4055 Depth=3
	s_or_saveexec_b64 s[42:43], s[42:43]
	v_bfrev_b32_e32 v16, 1
	s_xor_b64 exec, exec, s[42:43]
	s_cbranch_execz .LBB2_4101
.LBB2_4581:                             ;   in Loop: Header=BB2_4055 Depth=3
	v_cmp_ne_u16_e64 s[28:29], 0, v2
	s_andn2_b64 s[40:41], s[40:41], exec
	s_and_b64 s[28:29], s[28:29], exec
	v_mov_b32_e32 v16, 0
	s_or_b64 s[40:41], s[40:41], s[28:29]
	s_or_b64 exec, exec, s[42:43]
	s_and_saveexec_b64 s[38:39], s[40:41]
	s_cbranch_execnz .LBB2_4102
	s_branch .LBB2_4103
.LBB2_4582:                             ;   in Loop: Header=BB2_4055 Depth=3
	s_or_saveexec_b64 s[40:41], s[40:41]
	v_bfrev_b32_e32 v16, 1
	s_xor_b64 exec, exec, s[40:41]
	s_cbranch_execz .LBB2_4135
.LBB2_4583:                             ;   in Loop: Header=BB2_4055 Depth=3
	v_cmp_ne_u16_sdwa s[42:43], v2, v3 src0_sel:BYTE_0 src1_sel:DWORD
	s_andn2_b64 s[28:29], s[28:29], exec
	s_and_b64 s[42:43], s[42:43], exec
	v_mov_b32_e32 v16, 0
	s_or_b64 s[28:29], s[28:29], s[42:43]
	s_or_b64 exec, exec, s[40:41]
	s_and_saveexec_b64 s[38:39], s[28:29]
	s_cbranch_execnz .LBB2_4136
	s_branch .LBB2_4137
.LBB2_4584:                             ;   in Loop: Header=BB2_4055 Depth=3
	s_or_saveexec_b64 s[42:43], s[42:43]
	v_bfrev_b32_e32 v17, 1
	s_xor_b64 exec, exec, s[42:43]
	s_cbranch_execz .LBB2_4233
.LBB2_4585:                             ;   in Loop: Header=BB2_4055 Depth=3
	v_cmp_ne_u16_e64 s[28:29], 0, v2
	s_andn2_b64 s[40:41], s[40:41], exec
	s_and_b64 s[28:29], s[28:29], exec
	v_mov_b32_e32 v17, 0
	s_or_b64 s[40:41], s[40:41], s[28:29]
	s_or_b64 exec, exec, s[42:43]
	s_and_saveexec_b64 s[38:39], s[40:41]
	s_cbranch_execnz .LBB2_4234
	s_branch .LBB2_4235
.LBB2_4586:                             ;   in Loop: Header=BB2_4055 Depth=3
	s_or_saveexec_b64 s[40:41], s[40:41]
	v_bfrev_b32_e32 v16, 1
	s_xor_b64 exec, exec, s[40:41]
	s_cbranch_execz .LBB2_4267
.LBB2_4587:                             ;   in Loop: Header=BB2_4055 Depth=3
	v_cmp_ne_u16_sdwa s[42:43], v2, v3 src0_sel:BYTE_0 src1_sel:DWORD
	s_andn2_b64 s[28:29], s[28:29], exec
	s_and_b64 s[42:43], s[42:43], exec
	v_mov_b32_e32 v16, 0
	s_or_b64 s[28:29], s[28:29], s[42:43]
	s_or_b64 exec, exec, s[40:41]
	s_and_saveexec_b64 s[38:39], s[28:29]
	s_cbranch_execnz .LBB2_4268
	s_branch .LBB2_4269
.LBB2_4588:                             ;   in Loop: Header=BB2_4055 Depth=3
	s_or_saveexec_b64 s[40:41], s[40:41]
	v_bfrev_b32_e32 v2, 1
	s_xor_b64 exec, exec, s[40:41]
	s_cbranch_execz .LBB2_4329
.LBB2_4589:                             ;   in Loop: Header=BB2_4055 Depth=3
	v_cmp_ne_u16_sdwa s[42:43], v10, v3 src0_sel:BYTE_0 src1_sel:DWORD
	s_andn2_b64 s[28:29], s[28:29], exec
	s_and_b64 s[42:43], s[42:43], exec
	v_mov_b32_e32 v2, 0
	s_or_b64 s[28:29], s[28:29], s[42:43]
	s_or_b64 exec, exec, s[40:41]
	s_and_saveexec_b64 s[38:39], s[28:29]
	s_cbranch_execnz .LBB2_4330
	s_branch .LBB2_4331
.LBB2_4590:                             ;   in Loop: Header=BB2_4055 Depth=3
	s_or_saveexec_b64 s[42:43], s[42:43]
	v_bfrev_b32_e32 v8, 1
	s_xor_b64 exec, exec, s[42:43]
	s_cbranch_execz .LBB2_4363
.LBB2_4591:                             ;   in Loop: Header=BB2_4055 Depth=3
	v_cmp_ne_u16_e64 s[28:29], 0, v2
	s_andn2_b64 s[40:41], s[40:41], exec
	s_and_b64 s[28:29], s[28:29], exec
	v_mov_b32_e32 v8, 0
	s_or_b64 s[40:41], s[40:41], s[28:29]
	s_or_b64 exec, exec, s[42:43]
	s_and_saveexec_b64 s[38:39], s[40:41]
	s_cbranch_execnz .LBB2_4364
	s_branch .LBB2_4365
.LBB2_4592:                             ;   in Loop: Header=BB2_4055 Depth=3
	s_or_saveexec_b64 s[40:41], s[40:41]
	v_bfrev_b32_e32 v8, 1
	s_xor_b64 exec, exec, s[40:41]
	s_cbranch_execz .LBB2_4397
.LBB2_4593:                             ;   in Loop: Header=BB2_4055 Depth=3
	v_cmp_ne_u16_sdwa s[42:43], v2, v3 src0_sel:BYTE_0 src1_sel:DWORD
	s_andn2_b64 s[28:29], s[28:29], exec
	s_and_b64 s[42:43], s[42:43], exec
	v_mov_b32_e32 v8, 0
	s_or_b64 s[28:29], s[28:29], s[42:43]
	s_or_b64 exec, exec, s[40:41]
	s_and_saveexec_b64 s[38:39], s[28:29]
	s_cbranch_execnz .LBB2_4398
	s_branch .LBB2_4399
.LBB2_4594:                             ;   in Loop: Header=BB2_4055 Depth=3
	s_or_saveexec_b64 s[42:43], s[42:43]
	v_bfrev_b32_e32 v9, 1
	s_xor_b64 exec, exec, s[42:43]
	s_cbranch_execz .LBB2_4495
.LBB2_4595:                             ;   in Loop: Header=BB2_4055 Depth=3
	v_cmp_ne_u16_e64 s[28:29], 0, v2
	s_andn2_b64 s[40:41], s[40:41], exec
	s_and_b64 s[28:29], s[28:29], exec
	v_mov_b32_e32 v9, 0
	s_or_b64 s[40:41], s[40:41], s[28:29]
	s_or_b64 exec, exec, s[42:43]
	s_and_saveexec_b64 s[38:39], s[40:41]
	s_cbranch_execnz .LBB2_4496
	s_branch .LBB2_4497
.LBB2_4596:                             ;   in Loop: Header=BB2_4055 Depth=3
	s_or_saveexec_b64 s[40:41], s[40:41]
	v_bfrev_b32_e32 v8, 1
	s_xor_b64 exec, exec, s[40:41]
	s_cbranch_execz .LBB2_4529
.LBB2_4597:                             ;   in Loop: Header=BB2_4055 Depth=3
	v_cmp_ne_u16_sdwa s[42:43], v2, v3 src0_sel:BYTE_0 src1_sel:DWORD
	s_andn2_b64 s[28:29], s[28:29], exec
	s_and_b64 s[42:43], s[42:43], exec
	v_mov_b32_e32 v8, 0
	s_or_b64 s[28:29], s[28:29], s[42:43]
	s_or_b64 exec, exec, s[40:41]
	s_and_saveexec_b64 s[38:39], s[28:29]
	s_cbranch_execnz .LBB2_4530
	s_branch .LBB2_4531
.LBB2_4598:                             ;   in Loop: Header=BB2_1943 Depth=2
	s_or_b64 exec, exec, s[36:37]
	buffer_load_dword v47, off, s[0:3], s33 offset:168 ; 4-byte Folded Reload
	buffer_load_dword v56, off, s[0:3], s33 offset:172 ; 4-byte Folded Reload
	;; [unrolled: 1-line block ×8, first 2 shown]
.LBB2_4599:                             ;   in Loop: Header=BB2_1943 Depth=2
	s_or_b64 exec, exec, s[34:35]
	v_and_b32_e32 v2, 15, v4
	v_cndmask_b32_e32 v25, v31, v2, vcc
	v_mov_b32_e32 v24, 0
	v_cmp_ne_u32_e64 s[28:29], 0, v25
	s_mov_b64 s[42:43], 0
                                        ; implicit-def: $vgpr36
                                        ; implicit-def: $vgpr1
	s_and_saveexec_b64 s[40:41], s[28:29]
	s_cbranch_execz .LBB2_4601
; %bb.4600:                             ;   in Loop: Header=BB2_1943 Depth=2
	v_sub_u32_e32 v1, v31, v2
	v_cndmask_b32_e32 v1, 0, v1, vcc
	v_cmp_lt_i32_e32 vcc, 0, v30
	v_add3_u32 v24, v21, v5, v1
	v_cndmask_b32_e32 v1, 0, v35, vcc
	v_sub_u32_e32 v1, v1, v30
	v_lshl_add_u32 v36, v1, 6, v20
	v_ashrrev_i32_e32 v1, 31, v36
	v_lshrrev_b32_e32 v1, 26, v1
	v_add_u32_e32 v1, v36, v1
	v_ashrrev_i32_e32 v1, 6, v1
	s_mov_b64 s[42:43], exec
.LBB2_4601:                             ;   in Loop: Header=BB2_1943 Depth=2
	s_or_b64 exec, exec, s[40:41]
	s_and_b64 s[42:43], s[42:43], exec
.LBB2_4602:                             ;   in Loop: Header=BB2_1943 Depth=2
	s_or_b64 exec, exec, s[30:31]
	s_and_saveexec_b64 s[40:41], s[42:43]
	s_cbranch_execz .LBB2_4971
.LBB2_4603:                             ;   in Loop: Header=BB2_1943 Depth=2
	v_ashrrev_i32_e32 v2, 31, v25
	v_lshrrev_b32_e32 v2, 23, v2
	v_add_u32_e32 v2, v25, v2
	v_ashrrev_i32_e32 v37, 9, v2
	s_waitcnt vmcnt(0)
	v_sub_u32_e32 v4, v37, v1
	v_ashrrev_i32_e32 v2, 31, v36
	v_cmp_lt_i32_e32 vcc, 0, v4
	v_lshrrev_b32_e32 v5, 26, v2
	s_and_saveexec_b64 s[42:43], vcc
	s_cbranch_execz .LBB2_4927
; %bb.4604:                             ;   in Loop: Header=BB2_1943 Depth=2
	v_add_u32_e32 v2, v36, v5
	v_and_b32_e32 v2, 0xffffffc0, v2
	v_sub_u32_e32 v2, v36, v2
	v_lshlrev_b32_e32 v1, 9, v1
	v_add3_u32 v12, v24, v2, v1
	s_trap 2
	ds_read_b64 v[1:2], v0
	buffer_load_dword v8, off, s[0:3], s33 offset:176 ; 4-byte Folded Reload
	buffer_load_dword v9, off, s[0:3], s33 offset:180 ; 4-byte Folded Reload
	v_ashrrev_i32_e32 v13, 31, v12
	s_mov_b64 s[30:31], 0
	s_waitcnt vmcnt(0)
	v_add_co_u32_e32 v8, vcc, v12, v8
	v_addc_co_u32_e32 v9, vcc, v13, v9, vcc
	s_waitcnt lgkmcnt(0)
	v_add_co_u32_e32 v10, vcc, v1, v12
	v_addc_co_u32_e32 v11, vcc, v2, v13, vcc
	buffer_load_dword v1, off, s[0:3], s33 offset:188 ; 4-byte Folded Reload
	buffer_load_dword v2, off, s[0:3], s33 offset:192 ; 4-byte Folded Reload
	s_waitcnt vmcnt(1)
	v_add_co_u32_e32 v1, vcc, 0x1c0, v1
	s_waitcnt vmcnt(0)
	v_addc_co_u32_e32 v2, vcc, 0, v2, vcc
	v_add_co_u32_e32 v12, vcc, v1, v12
	v_addc_co_u32_e32 v13, vcc, v2, v13, vcc
	s_branch .LBB2_4607
.LBB2_4605:                             ;   in Loop: Header=BB2_4607 Depth=3
	s_or_b64 exec, exec, s[34:35]
.LBB2_4606:                             ;   in Loop: Header=BB2_4607 Depth=3
	s_or_b64 exec, exec, s[28:29]
	v_add_co_u32_e32 v1, vcc, 0xfffffe40, v12
	v_addc_co_u32_e32 v2, vcc, -1, v13, vcc
	flat_store_byte v[1:2], v58 glc slc
	v_add_co_u32_e32 v1, vcc, 0xfffffe80, v12
	v_addc_co_u32_e32 v2, vcc, -1, v13, vcc
	flat_store_byte v[1:2], v21 glc slc
	;; [unrolled: 3-line block ×6, first 2 shown]
	v_add_co_u32_e32 v1, vcc, s68, v12
	v_addc_co_u32_e32 v2, vcc, -1, v13, vcc
	v_add_co_u32_e32 v8, vcc, v8, v48
	v_addc_co_u32_e32 v9, vcc, 0, v9, vcc
	v_add_co_u32_e32 v10, vcc, v10, v48
	v_addc_co_u32_e32 v11, vcc, 0, v11, vcc
	v_sub_u32_e32 v4, v4, v35
	v_cmp_gt_i32_e32 vcc, 1, v4
	flat_store_byte v[1:2], v17 glc slc
	flat_store_byte v[12:13], v15 glc slc
	s_or_b64 s[30:31], vcc, s[30:31]
	v_add_co_u32_e32 v12, vcc, v12, v48
	v_addc_co_u32_e32 v13, vcc, 0, v13, vcc
	s_andn2_b64 exec, exec, s[30:31]
	s_cbranch_execz .LBB2_4926
.LBB2_4607:                             ;   Parent Loop BB2_47 Depth=1
                                        ;     Parent Loop BB2_1943 Depth=2
                                        ; =>    This Inner Loop Header: Depth=3
	flat_load_sbyte v2, v[8:9] glc slc
	flat_load_sbyte v30, v[8:9] offset:64 glc slc
	flat_load_sbyte v19, v[8:9] offset:128 glc slc
	;; [unrolled: 1-line block ×7, first 2 shown]
	flat_load_sbyte v15, v[10:11] glc slc
	flat_load_sbyte v20, v[10:11] offset:64 glc slc
	flat_load_sbyte v18, v[10:11] offset:128 glc slc
	;; [unrolled: 1-line block ×7, first 2 shown]
	v_mov_b32_e32 v1, 0
	v_mov_b32_e32 v17, 0
	s_waitcnt vmcnt(0) lgkmcnt(0)
	v_cmp_ne_u16_e32 vcc, 0, v2
	s_and_saveexec_b64 s[28:29], vcc
	s_cbranch_execz .LBB2_4615
; %bb.4608:                             ;   in Loop: Header=BB2_4607 Depth=3
	v_cmp_ne_u16_e32 vcc, s70, v2
	v_bfrev_b32_e32 v17, 1
	s_and_saveexec_b64 s[34:35], vcc
	s_cbranch_execz .LBB2_4614
; %bb.4609:                             ;   in Loop: Header=BB2_4607 Depth=3
	v_and_b32_e32 v17, 0x7c, v2
	v_and_b32_e32 v16, 3, v2
	v_cmp_ne_u32_e32 vcc, s71, v17
                                        ; implicit-def: $vgpr17
	s_and_saveexec_b64 s[36:37], vcc
	s_xor_b64 s[36:37], exec, s[36:37]
	s_cbranch_execz .LBB2_4611
; %bb.4610:                             ;   in Loop: Header=BB2_4607 Depth=3
	v_ffbh_u32_e32 v21, v16
	v_min_u32_e32 v21, 32, v21
	v_and_b32_e32 v17, 0xff, v2
	v_subrev_u32_e32 v31, 29, v21
	v_bfe_u32 v17, v17, 2, 5
	v_lshlrev_b64 v[57:58], v31, v[2:3]
	v_sub_u32_e32 v21, 30, v21
	v_cmp_eq_u32_e32 vcc, 0, v17
	v_and_b32_e32 v31, 3, v57
	v_cndmask_b32_e32 v17, v17, v21, vcc
	v_and_b32_sdwa v2, sext(v2), s80 dst_sel:DWORD dst_unused:UNUSED_PAD src0_sel:WORD_0 src1_sel:DWORD
	v_cndmask_b32_e32 v16, v16, v31, vcc
	v_lshl_add_u32 v2, v17, 23, v2
	v_lshl_or_b32 v2, v16, 21, v2
	v_add_u32_e32 v17, 0x38000000, v2
                                        ; implicit-def: $vgpr16
.LBB2_4611:                             ;   in Loop: Header=BB2_4607 Depth=3
	s_andn2_saveexec_b64 s[36:37], s[36:37]
; %bb.4612:                             ;   in Loop: Header=BB2_4607 Depth=3
	v_cmp_lt_i16_e32 vcc, -1, v2
	v_cndmask_b32_e32 v2, v27, v6, vcc
	v_cmp_eq_u32_e32 vcc, 0, v16
	v_cndmask_b32_e32 v17, v7, v2, vcc
; %bb.4613:                             ;   in Loop: Header=BB2_4607 Depth=3
	s_or_b64 exec, exec, s[36:37]
.LBB2_4614:                             ;   in Loop: Header=BB2_4607 Depth=3
	s_or_b64 exec, exec, s[34:35]
.LBB2_4615:                             ;   in Loop: Header=BB2_4607 Depth=3
	s_or_b64 exec, exec, s[28:29]
	v_cmp_ne_u16_e32 vcc, 0, v15
	s_and_saveexec_b64 s[28:29], vcc
	s_cbranch_execz .LBB2_4623
; %bb.4616:                             ;   in Loop: Header=BB2_4607 Depth=3
	v_cmp_ne_u16_e32 vcc, s70, v15
	v_bfrev_b32_e32 v1, 1
	s_and_saveexec_b64 s[34:35], vcc
	s_cbranch_execz .LBB2_4622
; %bb.4617:                             ;   in Loop: Header=BB2_4607 Depth=3
	v_and_b32_e32 v1, 0x7c, v15
	v_and_b32_e32 v2, 3, v15
	v_cmp_ne_u32_e32 vcc, s71, v1
                                        ; implicit-def: $vgpr1
	s_and_saveexec_b64 s[36:37], vcc
	s_xor_b64 s[36:37], exec, s[36:37]
	s_cbranch_execz .LBB2_4619
; %bb.4618:                             ;   in Loop: Header=BB2_4607 Depth=3
	v_ffbh_u32_e32 v21, v2
	v_min_u32_e32 v21, 32, v21
	v_and_b32_e32 v1, 0xff, v15
	v_mov_b32_e32 v16, v3
	v_subrev_u32_e32 v31, 29, v21
	v_bfe_u32 v1, v1, 2, 5
	v_lshlrev_b64 v[57:58], v31, v[15:16]
	v_sub_u32_e32 v16, 30, v21
	v_cmp_eq_u32_e32 vcc, 0, v1
	v_and_b32_e32 v21, 3, v57
	v_cndmask_b32_e32 v1, v1, v16, vcc
	v_and_b32_sdwa v15, sext(v15), s80 dst_sel:DWORD dst_unused:UNUSED_PAD src0_sel:WORD_0 src1_sel:DWORD
	v_cndmask_b32_e32 v2, v2, v21, vcc
	v_lshl_add_u32 v1, v1, 23, v15
	v_lshl_or_b32 v1, v2, 21, v1
	v_add_u32_e32 v1, 0x38000000, v1
                                        ; implicit-def: $vgpr2
                                        ; implicit-def: $vgpr15
.LBB2_4619:                             ;   in Loop: Header=BB2_4607 Depth=3
	s_andn2_saveexec_b64 s[36:37], s[36:37]
; %bb.4620:                             ;   in Loop: Header=BB2_4607 Depth=3
	v_cmp_lt_i16_e32 vcc, -1, v15
	v_cndmask_b32_e32 v1, v27, v6, vcc
	v_cmp_eq_u32_e32 vcc, 0, v2
	v_cndmask_b32_e32 v1, v7, v1, vcc
; %bb.4621:                             ;   in Loop: Header=BB2_4607 Depth=3
	s_or_b64 exec, exec, s[36:37]
.LBB2_4622:                             ;   in Loop: Header=BB2_4607 Depth=3
	s_or_b64 exec, exec, s[34:35]
.LBB2_4623:                             ;   in Loop: Header=BB2_4607 Depth=3
	s_or_b64 exec, exec, s[28:29]
	v_mul_f32_e32 v1, v17, v1
	v_and_b32_e32 v15, 0x7f800000, v1
	v_mov_b32_e32 v16, v3
	v_cmp_ne_u64_e32 vcc, s[62:63], v[15:16]
	v_and_b32_e32 v2, 0x7fffff, v1
                                        ; implicit-def: $vgpr58
	s_and_saveexec_b64 s[28:29], vcc
	s_xor_b64 s[34:35], exec, s[28:29]
	s_cbranch_execz .LBB2_4641
; %bb.4624:                             ;   in Loop: Header=BB2_4607 Depth=3
	v_and_b32_e32 v15, 0x7fffffff, v1
	v_mov_b32_e32 v16, v3
	v_cmp_gt_u64_e32 vcc, s[78:79], v[15:16]
	v_and_b32_sdwa v21, v1, s82 dst_sel:DWORD dst_unused:UNUSED_PAD src0_sel:BYTE_3 src1_sel:DWORD
                                        ; implicit-def: $vgpr58
	s_and_saveexec_b64 s[28:29], vcc
	s_xor_b64 s[36:37], exec, s[28:29]
	s_cbranch_execz .LBB2_4638
; %bb.4625:                             ;   in Loop: Header=BB2_4607 Depth=3
	v_cmp_ne_u32_e32 vcc, 0, v1
	v_mov_b32_e32 v58, 0
	s_and_saveexec_b64 s[38:39], vcc
	s_cbranch_execz .LBB2_4637
; %bb.4626:                             ;   in Loop: Header=BB2_4607 Depth=3
	v_bfe_u32 v1, v1, 23, 8
	v_cmp_gt_u32_e64 s[28:29], s44, v1
	v_sub_u32_e32 v15, 0x71, v1
	v_cmp_eq_u32_e32 vcc, 0, v1
	v_cndmask_b32_e64 v15, 0, v15, s[28:29]
	v_mov_b32_e32 v17, 0x70
	v_cndmask_b32_e32 v31, v15, v17, vcc
	v_or_b32_e32 v16, 0x800000, v2
	v_add_u32_e32 v15, 21, v31
	v_cndmask_b32_e32 v2, v16, v2, vcc
	v_lshlrev_b64 v[15:16], v15, -1
	v_add_u32_e32 v17, 20, v31
	v_lshlrev_b64 v[57:58], v17, 1
	v_bfi_b32 v16, v16, 0, 0
	v_bfi_b32 v15, v15, 0, v2
	v_cmp_eq_u64_e64 s[28:29], v[15:16], v[57:58]
	v_lshrrev_b64 v[15:16], v31, v[2:3]
	v_mov_b32_e32 v17, v16
	v_mov_b32_e32 v16, v15
	s_and_saveexec_b64 s[48:49], s[28:29]
; %bb.4627:                             ;   in Loop: Header=BB2_4607 Depth=3
	v_bfe_u32 v2, v15, 21, 1
	v_add_co_u32_e64 v2, s[28:29], v15, v2
	v_add_co_u32_e64 v16, s[28:29], -1, v2
; %bb.4628:                             ;   in Loop: Header=BB2_4607 Depth=3
	s_or_b64 exec, exec, s[48:49]
	v_add_u32_e32 v1, 0xffffff81, v1
	v_mov_b32_e32 v2, 0xffffff82
	v_cndmask_b32_e32 v1, v1, v2, vcc
	v_lshrrev_b32_e32 v2, 23, v15
	v_add3_u32 v31, v31, v1, v2
	v_add_u32_e32 v17, 14, v31
	v_and_b32_e32 v1, 0x1fffff, v16
	v_add_u32_e32 v2, v1, v15
	v_cmp_ne_u32_e32 vcc, 0, v17
                                        ; implicit-def: $vgpr15_vgpr16
                                        ; implicit-def: $vgpr1
	s_and_saveexec_b64 s[28:29], vcc
	s_xor_b64 s[28:29], exec, s[28:29]
; %bb.4629:                             ;   in Loop: Header=BB2_4607 Depth=3
	v_cmp_lt_u64_e32 vcc, s[88:89], v[2:3]
	v_add_u32_e32 v1, 15, v31
	v_cndmask_b32_e64 v15, 0, 1, vcc
	v_cndmask_b32_e32 v1, v17, v1, vcc
	v_lshrrev_b64 v[15:16], v15, v[2:3]
; %bb.4630:                             ;   in Loop: Header=BB2_4607 Depth=3
	s_andn2_saveexec_b64 s[28:29], s[28:29]
; %bb.4631:                             ;   in Loop: Header=BB2_4607 Depth=3
	v_mov_b32_e32 v16, v3
	v_bfe_u32 v1, v2, 23, 1
	v_mov_b32_e32 v15, v2
; %bb.4632:                             ;   in Loop: Header=BB2_4607 Depth=3
	s_or_b64 exec, exec, s[28:29]
	v_lshrrev_b64 v[15:16], 21, v[15:16]
	v_cmp_gt_i32_e32 vcc, 32, v1
	v_cndmask_b32_e32 v16, 0, v16, vcc
	v_cndmask_b32_e32 v15, 3, v15, vcc
	v_cmp_ne_u64_e32 vcc, 0, v[15:16]
	v_cmp_ne_u32_e64 s[28:29], 0, v1
	s_or_b64 s[28:29], s[28:29], vcc
                                        ; implicit-def: $vgpr58
	s_and_saveexec_b64 vcc, s[28:29]
	s_xor_b64 s[28:29], exec, vcc
; %bb.4633:                             ;   in Loop: Header=BB2_4607 Depth=3
	v_min_i32_e32 v1, 31, v1
	v_lshl_or_b32 v1, v1, 2, v21
	v_and_or_b32 v58, v15, 3, v1
                                        ; implicit-def: $vgpr21
; %bb.4634:                             ;   in Loop: Header=BB2_4607 Depth=3
	s_andn2_saveexec_b64 s[28:29], s[28:29]
; %bb.4635:                             ;   in Loop: Header=BB2_4607 Depth=3
	v_mov_b32_e32 v58, v21
; %bb.4636:                             ;   in Loop: Header=BB2_4607 Depth=3
	s_or_b64 exec, exec, s[28:29]
.LBB2_4637:                             ;   in Loop: Header=BB2_4607 Depth=3
	s_or_b64 exec, exec, s[38:39]
                                        ; implicit-def: $vgpr21
.LBB2_4638:                             ;   in Loop: Header=BB2_4607 Depth=3
	s_andn2_saveexec_b64 s[28:29], s[36:37]
; %bb.4639:                             ;   in Loop: Header=BB2_4607 Depth=3
	v_or_b32_e32 v58, 0x7b, v21
; %bb.4640:                             ;   in Loop: Header=BB2_4607 Depth=3
	s_or_b64 exec, exec, s[28:29]
                                        ; implicit-def: $vgpr1
.LBB2_4641:                             ;   in Loop: Header=BB2_4607 Depth=3
	s_andn2_saveexec_b64 s[28:29], s[34:35]
	s_cbranch_execz .LBB2_4647
; %bb.4642:                             ;   in Loop: Header=BB2_4607 Depth=3
	v_cmp_ne_u64_e32 vcc, 0, v[2:3]
                                        ; implicit-def: $vgpr58
	s_and_saveexec_b64 s[34:35], vcc
	s_xor_b64 vcc, exec, s[34:35]
; %bb.4643:                             ;   in Loop: Header=BB2_4607 Depth=3
	v_or_b32_sdwa v58, v1, s81 dst_sel:DWORD dst_unused:UNUSED_PAD src0_sel:BYTE_3 src1_sel:DWORD
                                        ; implicit-def: $vgpr1
; %bb.4644:                             ;   in Loop: Header=BB2_4607 Depth=3
	s_andn2_saveexec_b64 s[34:35], vcc
; %bb.4645:                             ;   in Loop: Header=BB2_4607 Depth=3
	v_cmp_lt_i32_e32 vcc, -1, v1
	v_cndmask_b32_e32 v58, -4, v49, vcc
; %bb.4646:                             ;   in Loop: Header=BB2_4607 Depth=3
	s_or_b64 exec, exec, s[34:35]
.LBB2_4647:                             ;   in Loop: Header=BB2_4607 Depth=3
	s_or_b64 exec, exec, s[28:29]
	v_cmp_ne_u16_e32 vcc, 0, v30
	v_mov_b32_e32 v1, 0
	v_mov_b32_e32 v2, 0
	s_and_saveexec_b64 s[28:29], vcc
	s_cbranch_execz .LBB2_4655
; %bb.4648:                             ;   in Loop: Header=BB2_4607 Depth=3
	v_cmp_ne_u16_e32 vcc, s70, v30
	v_bfrev_b32_e32 v2, 1
	s_and_saveexec_b64 s[34:35], vcc
	s_cbranch_execz .LBB2_4654
; %bb.4649:                             ;   in Loop: Header=BB2_4607 Depth=3
	v_and_b32_e32 v2, 0x7c, v30
	v_and_b32_e32 v15, 3, v30
	v_cmp_ne_u32_e32 vcc, s71, v2
                                        ; implicit-def: $vgpr2
	s_and_saveexec_b64 s[36:37], vcc
	s_xor_b64 s[36:37], exec, s[36:37]
	s_cbranch_execz .LBB2_4651
; %bb.4650:                             ;   in Loop: Header=BB2_4607 Depth=3
	v_ffbh_u32_e32 v16, v15
	v_min_u32_e32 v21, 32, v16
	v_mov_b32_e32 v31, v3
	v_subrev_u32_e32 v16, 29, v21
	v_and_b32_e32 v2, 0xff, v30
	v_lshlrev_b64 v[16:17], v16, v[30:31]
	v_bfe_u32 v2, v2, 2, 5
	v_sub_u32_e32 v17, 30, v21
	v_and_b32_e32 v16, 3, v16
	v_cmp_eq_u32_e32 vcc, 0, v2
	v_cndmask_b32_e32 v2, v2, v17, vcc
	v_cndmask_b32_e32 v15, v15, v16, vcc
	v_and_b32_sdwa v16, sext(v30), s80 dst_sel:DWORD dst_unused:UNUSED_PAD src0_sel:WORD_0 src1_sel:DWORD
	v_lshl_add_u32 v2, v2, 23, v16
	v_lshl_or_b32 v2, v15, 21, v2
	v_add_u32_e32 v2, 0x38000000, v2
                                        ; implicit-def: $vgpr15
                                        ; implicit-def: $vgpr30
.LBB2_4651:                             ;   in Loop: Header=BB2_4607 Depth=3
	s_andn2_saveexec_b64 s[36:37], s[36:37]
; %bb.4652:                             ;   in Loop: Header=BB2_4607 Depth=3
	v_cmp_lt_i16_e32 vcc, -1, v30
	v_cndmask_b32_e32 v2, v27, v6, vcc
	v_cmp_eq_u32_e32 vcc, 0, v15
	v_cndmask_b32_e32 v2, v7, v2, vcc
; %bb.4653:                             ;   in Loop: Header=BB2_4607 Depth=3
	s_or_b64 exec, exec, s[36:37]
.LBB2_4654:                             ;   in Loop: Header=BB2_4607 Depth=3
	s_or_b64 exec, exec, s[34:35]
.LBB2_4655:                             ;   in Loop: Header=BB2_4607 Depth=3
	s_or_b64 exec, exec, s[28:29]
	v_cmp_ne_u16_e32 vcc, 0, v20
	s_and_saveexec_b64 s[28:29], vcc
	s_cbranch_execz .LBB2_4663
; %bb.4656:                             ;   in Loop: Header=BB2_4607 Depth=3
	v_cmp_ne_u16_e32 vcc, s70, v20
	v_bfrev_b32_e32 v1, 1
	s_and_saveexec_b64 s[34:35], vcc
	s_cbranch_execz .LBB2_4662
; %bb.4657:                             ;   in Loop: Header=BB2_4607 Depth=3
	v_and_b32_e32 v1, 0x7c, v20
	v_and_b32_e32 v15, 3, v20
	v_cmp_ne_u32_e32 vcc, s71, v1
                                        ; implicit-def: $vgpr1
	s_and_saveexec_b64 s[36:37], vcc
	s_xor_b64 s[36:37], exec, s[36:37]
	s_cbranch_execz .LBB2_4659
; %bb.4658:                             ;   in Loop: Header=BB2_4607 Depth=3
	v_ffbh_u32_e32 v16, v15
	v_min_u32_e32 v30, 32, v16
	v_mov_b32_e32 v21, v3
	v_subrev_u32_e32 v16, 29, v30
	v_and_b32_e32 v1, 0xff, v20
	v_lshlrev_b64 v[16:17], v16, v[20:21]
	v_bfe_u32 v1, v1, 2, 5
	v_sub_u32_e32 v17, 30, v30
	v_and_b32_e32 v16, 3, v16
	v_cmp_eq_u32_e32 vcc, 0, v1
	v_cndmask_b32_e32 v1, v1, v17, vcc
	v_cndmask_b32_e32 v15, v15, v16, vcc
	v_and_b32_sdwa v16, sext(v20), s80 dst_sel:DWORD dst_unused:UNUSED_PAD src0_sel:WORD_0 src1_sel:DWORD
	v_lshl_add_u32 v1, v1, 23, v16
	v_lshl_or_b32 v1, v15, 21, v1
	v_add_u32_e32 v1, 0x38000000, v1
                                        ; implicit-def: $vgpr15
                                        ; implicit-def: $vgpr20
.LBB2_4659:                             ;   in Loop: Header=BB2_4607 Depth=3
	s_andn2_saveexec_b64 s[36:37], s[36:37]
; %bb.4660:                             ;   in Loop: Header=BB2_4607 Depth=3
	v_cmp_lt_i16_e32 vcc, -1, v20
	v_cndmask_b32_e32 v1, v27, v6, vcc
	v_cmp_eq_u32_e32 vcc, 0, v15
	v_cndmask_b32_e32 v1, v7, v1, vcc
; %bb.4661:                             ;   in Loop: Header=BB2_4607 Depth=3
	s_or_b64 exec, exec, s[36:37]
.LBB2_4662:                             ;   in Loop: Header=BB2_4607 Depth=3
	s_or_b64 exec, exec, s[34:35]
.LBB2_4663:                             ;   in Loop: Header=BB2_4607 Depth=3
	s_or_b64 exec, exec, s[28:29]
	v_mul_f32_e32 v1, v2, v1
	v_and_b32_e32 v15, 0x7f800000, v1
	v_mov_b32_e32 v16, v3
	v_cmp_ne_u64_e32 vcc, s[62:63], v[15:16]
	v_and_b32_e32 v2, 0x7fffff, v1
                                        ; implicit-def: $vgpr21
	s_and_saveexec_b64 s[28:29], vcc
	s_xor_b64 s[34:35], exec, s[28:29]
	s_cbranch_execz .LBB2_4681
; %bb.4664:                             ;   in Loop: Header=BB2_4607 Depth=3
	v_and_b32_e32 v15, 0x7fffffff, v1
	v_mov_b32_e32 v16, v3
	v_cmp_gt_u64_e32 vcc, s[78:79], v[15:16]
	v_and_b32_sdwa v20, v1, s82 dst_sel:DWORD dst_unused:UNUSED_PAD src0_sel:BYTE_3 src1_sel:DWORD
                                        ; implicit-def: $vgpr21
	s_and_saveexec_b64 s[28:29], vcc
	s_xor_b64 s[36:37], exec, s[28:29]
	s_cbranch_execz .LBB2_4678
; %bb.4665:                             ;   in Loop: Header=BB2_4607 Depth=3
	v_cmp_ne_u32_e32 vcc, 0, v1
	v_mov_b32_e32 v21, 0
	s_and_saveexec_b64 s[38:39], vcc
	s_cbranch_execz .LBB2_4677
; %bb.4666:                             ;   in Loop: Header=BB2_4607 Depth=3
	v_bfe_u32 v1, v1, 23, 8
	v_cmp_gt_u32_e64 s[28:29], s44, v1
	v_sub_u32_e32 v15, 0x71, v1
	v_cmp_eq_u32_e32 vcc, 0, v1
	v_cndmask_b32_e64 v15, 0, v15, s[28:29]
	v_mov_b32_e32 v17, 0x70
	v_cndmask_b32_e32 v21, v15, v17, vcc
	v_or_b32_e32 v16, 0x800000, v2
	v_add_u32_e32 v15, 21, v21
	v_cndmask_b32_e32 v2, v16, v2, vcc
	v_lshlrev_b64 v[15:16], v15, -1
	v_add_u32_e32 v17, 20, v21
	v_lshlrev_b64 v[30:31], v17, 1
	v_bfi_b32 v16, v16, 0, 0
	v_bfi_b32 v15, v15, 0, v2
	v_cmp_eq_u64_e64 s[28:29], v[15:16], v[30:31]
	v_lshrrev_b64 v[15:16], v21, v[2:3]
	v_mov_b32_e32 v17, v16
	v_mov_b32_e32 v16, v15
	s_and_saveexec_b64 s[48:49], s[28:29]
; %bb.4667:                             ;   in Loop: Header=BB2_4607 Depth=3
	v_bfe_u32 v2, v15, 21, 1
	v_add_co_u32_e64 v2, s[28:29], v15, v2
	v_add_co_u32_e64 v16, s[28:29], -1, v2
; %bb.4668:                             ;   in Loop: Header=BB2_4607 Depth=3
	s_or_b64 exec, exec, s[48:49]
	v_add_u32_e32 v1, 0xffffff81, v1
	v_mov_b32_e32 v2, 0xffffff82
	v_cndmask_b32_e32 v1, v1, v2, vcc
	v_lshrrev_b32_e32 v2, 23, v15
	v_add3_u32 v21, v21, v1, v2
	v_add_u32_e32 v17, 14, v21
	v_and_b32_e32 v1, 0x1fffff, v16
	v_add_u32_e32 v2, v1, v15
	v_cmp_ne_u32_e32 vcc, 0, v17
                                        ; implicit-def: $vgpr15_vgpr16
                                        ; implicit-def: $vgpr1
	s_and_saveexec_b64 s[28:29], vcc
	s_xor_b64 s[28:29], exec, s[28:29]
; %bb.4669:                             ;   in Loop: Header=BB2_4607 Depth=3
	v_cmp_lt_u64_e32 vcc, s[88:89], v[2:3]
	v_add_u32_e32 v1, 15, v21
	v_cndmask_b32_e64 v15, 0, 1, vcc
	v_lshrrev_b64 v[15:16], v15, v[2:3]
	v_cndmask_b32_e32 v1, v17, v1, vcc
; %bb.4670:                             ;   in Loop: Header=BB2_4607 Depth=3
	s_andn2_saveexec_b64 s[28:29], s[28:29]
; %bb.4671:                             ;   in Loop: Header=BB2_4607 Depth=3
	v_mov_b32_e32 v16, v3
	v_bfe_u32 v1, v2, 23, 1
	v_mov_b32_e32 v15, v2
; %bb.4672:                             ;   in Loop: Header=BB2_4607 Depth=3
	s_or_b64 exec, exec, s[28:29]
	v_lshrrev_b64 v[15:16], 21, v[15:16]
	v_cmp_gt_i32_e32 vcc, 32, v1
	v_cndmask_b32_e32 v16, 0, v16, vcc
	v_cndmask_b32_e32 v15, 3, v15, vcc
	v_cmp_ne_u64_e32 vcc, 0, v[15:16]
	v_cmp_ne_u32_e64 s[28:29], 0, v1
	s_or_b64 s[28:29], s[28:29], vcc
                                        ; implicit-def: $vgpr21
	s_and_saveexec_b64 vcc, s[28:29]
	s_xor_b64 s[28:29], exec, vcc
; %bb.4673:                             ;   in Loop: Header=BB2_4607 Depth=3
	v_min_i32_e32 v1, 31, v1
	v_lshl_or_b32 v1, v1, 2, v20
	v_and_or_b32 v21, v15, 3, v1
                                        ; implicit-def: $vgpr20
; %bb.4674:                             ;   in Loop: Header=BB2_4607 Depth=3
	s_andn2_saveexec_b64 s[28:29], s[28:29]
; %bb.4675:                             ;   in Loop: Header=BB2_4607 Depth=3
	v_mov_b32_e32 v21, v20
; %bb.4676:                             ;   in Loop: Header=BB2_4607 Depth=3
	s_or_b64 exec, exec, s[28:29]
.LBB2_4677:                             ;   in Loop: Header=BB2_4607 Depth=3
	s_or_b64 exec, exec, s[38:39]
                                        ; implicit-def: $vgpr20
.LBB2_4678:                             ;   in Loop: Header=BB2_4607 Depth=3
	s_andn2_saveexec_b64 s[28:29], s[36:37]
; %bb.4679:                             ;   in Loop: Header=BB2_4607 Depth=3
	v_or_b32_e32 v21, 0x7b, v20
; %bb.4680:                             ;   in Loop: Header=BB2_4607 Depth=3
	s_or_b64 exec, exec, s[28:29]
                                        ; implicit-def: $vgpr1
.LBB2_4681:                             ;   in Loop: Header=BB2_4607 Depth=3
	s_andn2_saveexec_b64 s[28:29], s[34:35]
	s_cbranch_execz .LBB2_4687
; %bb.4682:                             ;   in Loop: Header=BB2_4607 Depth=3
	v_cmp_ne_u64_e32 vcc, 0, v[2:3]
                                        ; implicit-def: $vgpr21
	s_and_saveexec_b64 s[34:35], vcc
	s_xor_b64 vcc, exec, s[34:35]
; %bb.4683:                             ;   in Loop: Header=BB2_4607 Depth=3
	v_or_b32_sdwa v21, v1, s81 dst_sel:DWORD dst_unused:UNUSED_PAD src0_sel:BYTE_3 src1_sel:DWORD
                                        ; implicit-def: $vgpr1
; %bb.4684:                             ;   in Loop: Header=BB2_4607 Depth=3
	s_andn2_saveexec_b64 s[34:35], vcc
; %bb.4685:                             ;   in Loop: Header=BB2_4607 Depth=3
	v_cmp_lt_i32_e32 vcc, -1, v1
	v_cndmask_b32_e32 v21, -4, v49, vcc
; %bb.4686:                             ;   in Loop: Header=BB2_4607 Depth=3
	s_or_b64 exec, exec, s[34:35]
.LBB2_4687:                             ;   in Loop: Header=BB2_4607 Depth=3
	s_or_b64 exec, exec, s[28:29]
	v_cmp_ne_u16_e32 vcc, 0, v19
	v_mov_b32_e32 v1, 0
	v_mov_b32_e32 v2, 0
	s_and_saveexec_b64 s[28:29], vcc
	s_cbranch_execz .LBB2_4695
; %bb.4688:                             ;   in Loop: Header=BB2_4607 Depth=3
	v_cmp_ne_u16_e32 vcc, s70, v19
	v_bfrev_b32_e32 v2, 1
	s_and_saveexec_b64 s[34:35], vcc
	s_cbranch_execz .LBB2_4694
; %bb.4689:                             ;   in Loop: Header=BB2_4607 Depth=3
	v_and_b32_e32 v2, 0x7c, v19
	v_and_b32_e32 v15, 3, v19
	v_cmp_ne_u32_e32 vcc, s71, v2
                                        ; implicit-def: $vgpr2
	s_and_saveexec_b64 s[36:37], vcc
	s_xor_b64 s[36:37], exec, s[36:37]
	s_cbranch_execz .LBB2_4691
; %bb.4690:                             ;   in Loop: Header=BB2_4607 Depth=3
	v_ffbh_u32_e32 v16, v15
	v_min_u32_e32 v30, 32, v16
	v_mov_b32_e32 v20, v3
	v_subrev_u32_e32 v16, 29, v30
	v_and_b32_e32 v2, 0xff, v19
	v_lshlrev_b64 v[16:17], v16, v[19:20]
	v_bfe_u32 v2, v2, 2, 5
	v_sub_u32_e32 v17, 30, v30
	v_and_b32_e32 v16, 3, v16
	v_cmp_eq_u32_e32 vcc, 0, v2
	v_cndmask_b32_e32 v2, v2, v17, vcc
	v_cndmask_b32_e32 v15, v15, v16, vcc
	v_and_b32_sdwa v16, sext(v19), s80 dst_sel:DWORD dst_unused:UNUSED_PAD src0_sel:WORD_0 src1_sel:DWORD
	v_lshl_add_u32 v2, v2, 23, v16
	v_lshl_or_b32 v2, v15, 21, v2
	v_add_u32_e32 v2, 0x38000000, v2
                                        ; implicit-def: $vgpr15
                                        ; implicit-def: $vgpr19
.LBB2_4691:                             ;   in Loop: Header=BB2_4607 Depth=3
	s_andn2_saveexec_b64 s[36:37], s[36:37]
; %bb.4692:                             ;   in Loop: Header=BB2_4607 Depth=3
	v_cmp_lt_i16_e32 vcc, -1, v19
	v_cndmask_b32_e32 v2, v27, v6, vcc
	v_cmp_eq_u32_e32 vcc, 0, v15
	v_cndmask_b32_e32 v2, v7, v2, vcc
; %bb.4693:                             ;   in Loop: Header=BB2_4607 Depth=3
	s_or_b64 exec, exec, s[36:37]
.LBB2_4694:                             ;   in Loop: Header=BB2_4607 Depth=3
	s_or_b64 exec, exec, s[34:35]
.LBB2_4695:                             ;   in Loop: Header=BB2_4607 Depth=3
	s_or_b64 exec, exec, s[28:29]
	v_cmp_ne_u16_e32 vcc, 0, v18
	s_and_saveexec_b64 s[28:29], vcc
	s_cbranch_execz .LBB2_4703
; %bb.4696:                             ;   in Loop: Header=BB2_4607 Depth=3
	v_cmp_ne_u16_e32 vcc, s70, v18
	v_bfrev_b32_e32 v1, 1
	s_and_saveexec_b64 s[34:35], vcc
	s_cbranch_execz .LBB2_4702
; %bb.4697:                             ;   in Loop: Header=BB2_4607 Depth=3
	v_and_b32_e32 v1, 0x7c, v18
	v_and_b32_e32 v15, 3, v18
	v_cmp_ne_u32_e32 vcc, s71, v1
                                        ; implicit-def: $vgpr1
	s_and_saveexec_b64 s[36:37], vcc
	s_xor_b64 s[36:37], exec, s[36:37]
	s_cbranch_execz .LBB2_4699
; %bb.4698:                             ;   in Loop: Header=BB2_4607 Depth=3
	v_ffbh_u32_e32 v16, v15
	v_min_u32_e32 v20, 32, v16
	v_mov_b32_e32 v19, v3
	v_subrev_u32_e32 v16, 29, v20
	v_and_b32_e32 v1, 0xff, v18
	v_lshlrev_b64 v[16:17], v16, v[18:19]
	v_bfe_u32 v1, v1, 2, 5
	v_sub_u32_e32 v17, 30, v20
	v_and_b32_e32 v16, 3, v16
	v_cmp_eq_u32_e32 vcc, 0, v1
	v_cndmask_b32_e32 v1, v1, v17, vcc
	v_cndmask_b32_e32 v15, v15, v16, vcc
	v_and_b32_sdwa v16, sext(v18), s80 dst_sel:DWORD dst_unused:UNUSED_PAD src0_sel:WORD_0 src1_sel:DWORD
	v_lshl_add_u32 v1, v1, 23, v16
	v_lshl_or_b32 v1, v15, 21, v1
	v_add_u32_e32 v1, 0x38000000, v1
                                        ; implicit-def: $vgpr15
                                        ; implicit-def: $vgpr18
.LBB2_4699:                             ;   in Loop: Header=BB2_4607 Depth=3
	s_andn2_saveexec_b64 s[36:37], s[36:37]
; %bb.4700:                             ;   in Loop: Header=BB2_4607 Depth=3
	v_cmp_lt_i16_e32 vcc, -1, v18
	v_cndmask_b32_e32 v1, v27, v6, vcc
	v_cmp_eq_u32_e32 vcc, 0, v15
	v_cndmask_b32_e32 v1, v7, v1, vcc
; %bb.4701:                             ;   in Loop: Header=BB2_4607 Depth=3
	s_or_b64 exec, exec, s[36:37]
.LBB2_4702:                             ;   in Loop: Header=BB2_4607 Depth=3
	s_or_b64 exec, exec, s[34:35]
.LBB2_4703:                             ;   in Loop: Header=BB2_4607 Depth=3
	s_or_b64 exec, exec, s[28:29]
	v_mul_f32_e32 v1, v2, v1
	v_and_b32_e32 v15, 0x7f800000, v1
	v_mov_b32_e32 v16, v3
	v_cmp_ne_u64_e32 vcc, s[62:63], v[15:16]
	v_and_b32_e32 v2, 0x7fffff, v1
                                        ; implicit-def: $vgpr18
	s_and_saveexec_b64 s[28:29], vcc
	s_xor_b64 s[34:35], exec, s[28:29]
	s_cbranch_execz .LBB2_4721
; %bb.4704:                             ;   in Loop: Header=BB2_4607 Depth=3
	v_and_b32_e32 v15, 0x7fffffff, v1
	v_mov_b32_e32 v16, v3
	v_cmp_gt_u64_e32 vcc, s[78:79], v[15:16]
	v_and_b32_sdwa v19, v1, s82 dst_sel:DWORD dst_unused:UNUSED_PAD src0_sel:BYTE_3 src1_sel:DWORD
                                        ; implicit-def: $vgpr18
	s_and_saveexec_b64 s[28:29], vcc
	s_xor_b64 s[36:37], exec, s[28:29]
	s_cbranch_execz .LBB2_4718
; %bb.4705:                             ;   in Loop: Header=BB2_4607 Depth=3
	v_cmp_ne_u32_e32 vcc, 0, v1
	v_mov_b32_e32 v18, 0
	s_and_saveexec_b64 s[38:39], vcc
	s_cbranch_execz .LBB2_4717
; %bb.4706:                             ;   in Loop: Header=BB2_4607 Depth=3
	v_bfe_u32 v1, v1, 23, 8
	v_cmp_gt_u32_e64 s[28:29], s44, v1
	v_sub_u32_e32 v15, 0x71, v1
	v_cmp_eq_u32_e32 vcc, 0, v1
	v_cndmask_b32_e64 v15, 0, v15, s[28:29]
	v_mov_b32_e32 v17, 0x70
	v_cndmask_b32_e32 v18, v15, v17, vcc
	v_or_b32_e32 v16, 0x800000, v2
	v_add_u32_e32 v15, 21, v18
	v_cndmask_b32_e32 v2, v16, v2, vcc
	v_lshlrev_b64 v[15:16], v15, -1
	v_add_u32_e32 v17, 20, v18
	v_lshlrev_b64 v[30:31], v17, 1
	v_bfi_b32 v16, v16, 0, 0
	v_bfi_b32 v15, v15, 0, v2
	v_cmp_eq_u64_e64 s[28:29], v[15:16], v[30:31]
	v_lshrrev_b64 v[15:16], v18, v[2:3]
	v_mov_b32_e32 v17, v16
	v_mov_b32_e32 v16, v15
	s_and_saveexec_b64 s[48:49], s[28:29]
; %bb.4707:                             ;   in Loop: Header=BB2_4607 Depth=3
	v_bfe_u32 v2, v15, 21, 1
	v_add_co_u32_e64 v2, s[28:29], v15, v2
	v_add_co_u32_e64 v16, s[28:29], -1, v2
; %bb.4708:                             ;   in Loop: Header=BB2_4607 Depth=3
	s_or_b64 exec, exec, s[48:49]
	v_add_u32_e32 v1, 0xffffff81, v1
	v_mov_b32_e32 v2, 0xffffff82
	v_cndmask_b32_e32 v1, v1, v2, vcc
	v_lshrrev_b32_e32 v2, 23, v15
	v_add3_u32 v18, v18, v1, v2
	v_add_u32_e32 v17, 14, v18
	v_and_b32_e32 v1, 0x1fffff, v16
	v_add_u32_e32 v2, v1, v15
	v_cmp_ne_u32_e32 vcc, 0, v17
                                        ; implicit-def: $vgpr15_vgpr16
                                        ; implicit-def: $vgpr1
	s_and_saveexec_b64 s[28:29], vcc
	s_xor_b64 s[28:29], exec, s[28:29]
; %bb.4709:                             ;   in Loop: Header=BB2_4607 Depth=3
	v_cmp_lt_u64_e32 vcc, s[88:89], v[2:3]
	v_add_u32_e32 v1, 15, v18
	v_cndmask_b32_e64 v15, 0, 1, vcc
	v_lshrrev_b64 v[15:16], v15, v[2:3]
	v_cndmask_b32_e32 v1, v17, v1, vcc
; %bb.4710:                             ;   in Loop: Header=BB2_4607 Depth=3
	s_andn2_saveexec_b64 s[28:29], s[28:29]
; %bb.4711:                             ;   in Loop: Header=BB2_4607 Depth=3
	v_mov_b32_e32 v16, v3
	v_bfe_u32 v1, v2, 23, 1
	v_mov_b32_e32 v15, v2
; %bb.4712:                             ;   in Loop: Header=BB2_4607 Depth=3
	s_or_b64 exec, exec, s[28:29]
	v_lshrrev_b64 v[15:16], 21, v[15:16]
	v_cmp_gt_i32_e32 vcc, 32, v1
	v_cndmask_b32_e32 v16, 0, v16, vcc
	v_cndmask_b32_e32 v15, 3, v15, vcc
	v_cmp_ne_u64_e32 vcc, 0, v[15:16]
	v_cmp_ne_u32_e64 s[28:29], 0, v1
	s_or_b64 s[28:29], s[28:29], vcc
                                        ; implicit-def: $vgpr18
	s_and_saveexec_b64 vcc, s[28:29]
	s_xor_b64 s[28:29], exec, vcc
; %bb.4713:                             ;   in Loop: Header=BB2_4607 Depth=3
	v_min_i32_e32 v1, 31, v1
	v_lshl_or_b32 v1, v1, 2, v19
	v_and_or_b32 v18, v15, 3, v1
                                        ; implicit-def: $vgpr19
; %bb.4714:                             ;   in Loop: Header=BB2_4607 Depth=3
	s_andn2_saveexec_b64 s[28:29], s[28:29]
; %bb.4715:                             ;   in Loop: Header=BB2_4607 Depth=3
	v_mov_b32_e32 v18, v19
; %bb.4716:                             ;   in Loop: Header=BB2_4607 Depth=3
	s_or_b64 exec, exec, s[28:29]
.LBB2_4717:                             ;   in Loop: Header=BB2_4607 Depth=3
	s_or_b64 exec, exec, s[38:39]
                                        ; implicit-def: $vgpr19
.LBB2_4718:                             ;   in Loop: Header=BB2_4607 Depth=3
	s_andn2_saveexec_b64 s[28:29], s[36:37]
; %bb.4719:                             ;   in Loop: Header=BB2_4607 Depth=3
	v_or_b32_e32 v18, 0x7b, v19
; %bb.4720:                             ;   in Loop: Header=BB2_4607 Depth=3
	s_or_b64 exec, exec, s[28:29]
                                        ; implicit-def: $vgpr1
.LBB2_4721:                             ;   in Loop: Header=BB2_4607 Depth=3
	s_andn2_saveexec_b64 s[28:29], s[34:35]
	s_cbranch_execz .LBB2_4727
; %bb.4722:                             ;   in Loop: Header=BB2_4607 Depth=3
	v_cmp_ne_u64_e32 vcc, 0, v[2:3]
                                        ; implicit-def: $vgpr18
	s_and_saveexec_b64 s[34:35], vcc
	s_xor_b64 vcc, exec, s[34:35]
; %bb.4723:                             ;   in Loop: Header=BB2_4607 Depth=3
	v_or_b32_sdwa v18, v1, s81 dst_sel:DWORD dst_unused:UNUSED_PAD src0_sel:BYTE_3 src1_sel:DWORD
                                        ; implicit-def: $vgpr1
; %bb.4724:                             ;   in Loop: Header=BB2_4607 Depth=3
	s_andn2_saveexec_b64 s[34:35], vcc
; %bb.4725:                             ;   in Loop: Header=BB2_4607 Depth=3
	v_cmp_lt_i32_e32 vcc, -1, v1
	v_cndmask_b32_e32 v18, -4, v49, vcc
; %bb.4726:                             ;   in Loop: Header=BB2_4607 Depth=3
	s_or_b64 exec, exec, s[34:35]
.LBB2_4727:                             ;   in Loop: Header=BB2_4607 Depth=3
	s_or_b64 exec, exec, s[28:29]
	v_cmp_ne_u16_e32 vcc, 0, v56
	v_mov_b32_e32 v1, 0
	v_mov_b32_e32 v2, 0
	s_and_saveexec_b64 s[28:29], vcc
	s_cbranch_execz .LBB2_4735
; %bb.4728:                             ;   in Loop: Header=BB2_4607 Depth=3
	v_cmp_ne_u16_e32 vcc, s70, v56
	v_bfrev_b32_e32 v2, 1
	s_and_saveexec_b64 s[34:35], vcc
	s_cbranch_execz .LBB2_4734
; %bb.4729:                             ;   in Loop: Header=BB2_4607 Depth=3
	v_and_b32_e32 v2, 0x7c, v56
	v_and_b32_e32 v15, 3, v56
	v_cmp_ne_u32_e32 vcc, s71, v2
                                        ; implicit-def: $vgpr2
	s_and_saveexec_b64 s[36:37], vcc
	s_xor_b64 s[36:37], exec, s[36:37]
	s_cbranch_execz .LBB2_4731
; %bb.4730:                             ;   in Loop: Header=BB2_4607 Depth=3
	v_ffbh_u32_e32 v16, v15
	v_min_u32_e32 v19, 32, v16
	v_mov_b32_e32 v57, v3
	v_subrev_u32_e32 v16, 29, v19
	v_and_b32_e32 v2, 0xff, v56
	v_lshlrev_b64 v[16:17], v16, v[56:57]
	v_bfe_u32 v2, v2, 2, 5
	v_sub_u32_e32 v17, 30, v19
	v_and_b32_e32 v16, 3, v16
	v_cmp_eq_u32_e32 vcc, 0, v2
	v_cndmask_b32_e32 v2, v2, v17, vcc
	v_cndmask_b32_e32 v15, v15, v16, vcc
	v_and_b32_sdwa v16, sext(v56), s80 dst_sel:DWORD dst_unused:UNUSED_PAD src0_sel:WORD_0 src1_sel:DWORD
	v_lshl_add_u32 v2, v2, 23, v16
	v_lshl_or_b32 v2, v15, 21, v2
	v_add_u32_e32 v2, 0x38000000, v2
                                        ; implicit-def: $vgpr15
                                        ; implicit-def: $vgpr56
.LBB2_4731:                             ;   in Loop: Header=BB2_4607 Depth=3
	s_andn2_saveexec_b64 s[36:37], s[36:37]
; %bb.4732:                             ;   in Loop: Header=BB2_4607 Depth=3
	v_cmp_lt_i16_e32 vcc, -1, v56
	v_cndmask_b32_e32 v2, v27, v6, vcc
	v_cmp_eq_u32_e32 vcc, 0, v15
	v_cndmask_b32_e32 v2, v7, v2, vcc
; %bb.4733:                             ;   in Loop: Header=BB2_4607 Depth=3
	s_or_b64 exec, exec, s[36:37]
.LBB2_4734:                             ;   in Loop: Header=BB2_4607 Depth=3
	s_or_b64 exec, exec, s[34:35]
.LBB2_4735:                             ;   in Loop: Header=BB2_4607 Depth=3
	s_or_b64 exec, exec, s[28:29]
	v_cmp_ne_u16_e32 vcc, 0, v55
	s_and_saveexec_b64 s[28:29], vcc
	s_cbranch_execz .LBB2_4743
; %bb.4736:                             ;   in Loop: Header=BB2_4607 Depth=3
	v_cmp_ne_u16_e32 vcc, s70, v55
	v_bfrev_b32_e32 v1, 1
	s_and_saveexec_b64 s[34:35], vcc
	s_cbranch_execz .LBB2_4742
; %bb.4737:                             ;   in Loop: Header=BB2_4607 Depth=3
	v_and_b32_e32 v1, 0x7c, v55
	v_and_b32_e32 v15, 3, v55
	v_cmp_ne_u32_e32 vcc, s71, v1
                                        ; implicit-def: $vgpr1
	s_and_saveexec_b64 s[36:37], vcc
	s_xor_b64 s[36:37], exec, s[36:37]
	s_cbranch_execz .LBB2_4739
; %bb.4738:                             ;   in Loop: Header=BB2_4607 Depth=3
	v_ffbh_u32_e32 v16, v15
	v_min_u32_e32 v19, 32, v16
	v_mov_b32_e32 v56, v3
	v_subrev_u32_e32 v16, 29, v19
	v_and_b32_e32 v1, 0xff, v55
	v_lshlrev_b64 v[16:17], v16, v[55:56]
	v_bfe_u32 v1, v1, 2, 5
	v_sub_u32_e32 v17, 30, v19
	v_and_b32_e32 v16, 3, v16
	v_cmp_eq_u32_e32 vcc, 0, v1
	v_cndmask_b32_e32 v1, v1, v17, vcc
	v_cndmask_b32_e32 v15, v15, v16, vcc
	v_and_b32_sdwa v16, sext(v55), s80 dst_sel:DWORD dst_unused:UNUSED_PAD src0_sel:WORD_0 src1_sel:DWORD
	v_lshl_add_u32 v1, v1, 23, v16
	v_lshl_or_b32 v1, v15, 21, v1
	v_add_u32_e32 v1, 0x38000000, v1
                                        ; implicit-def: $vgpr15
                                        ; implicit-def: $vgpr55
.LBB2_4739:                             ;   in Loop: Header=BB2_4607 Depth=3
	s_andn2_saveexec_b64 s[36:37], s[36:37]
; %bb.4740:                             ;   in Loop: Header=BB2_4607 Depth=3
	v_cmp_lt_i16_e32 vcc, -1, v55
	v_cndmask_b32_e32 v1, v27, v6, vcc
	v_cmp_eq_u32_e32 vcc, 0, v15
	v_cndmask_b32_e32 v1, v7, v1, vcc
; %bb.4741:                             ;   in Loop: Header=BB2_4607 Depth=3
	s_or_b64 exec, exec, s[36:37]
.LBB2_4742:                             ;   in Loop: Header=BB2_4607 Depth=3
	s_or_b64 exec, exec, s[34:35]
.LBB2_4743:                             ;   in Loop: Header=BB2_4607 Depth=3
	s_or_b64 exec, exec, s[28:29]
	v_mul_f32_e32 v1, v2, v1
	v_and_b32_e32 v15, 0x7f800000, v1
	v_mov_b32_e32 v16, v3
	v_cmp_ne_u64_e32 vcc, s[62:63], v[15:16]
	v_and_b32_e32 v2, 0x7fffff, v1
                                        ; implicit-def: $vgpr19
	s_and_saveexec_b64 s[28:29], vcc
	s_xor_b64 s[34:35], exec, s[28:29]
	s_cbranch_execz .LBB2_4761
; %bb.4744:                             ;   in Loop: Header=BB2_4607 Depth=3
	v_and_b32_e32 v15, 0x7fffffff, v1
	v_mov_b32_e32 v16, v3
	v_cmp_gt_u64_e32 vcc, s[78:79], v[15:16]
	v_and_b32_sdwa v20, v1, s82 dst_sel:DWORD dst_unused:UNUSED_PAD src0_sel:BYTE_3 src1_sel:DWORD
                                        ; implicit-def: $vgpr19
	s_and_saveexec_b64 s[28:29], vcc
	s_xor_b64 s[36:37], exec, s[28:29]
	s_cbranch_execz .LBB2_4758
; %bb.4745:                             ;   in Loop: Header=BB2_4607 Depth=3
	v_cmp_ne_u32_e32 vcc, 0, v1
	v_mov_b32_e32 v19, 0
	s_and_saveexec_b64 s[38:39], vcc
	s_cbranch_execz .LBB2_4757
; %bb.4746:                             ;   in Loop: Header=BB2_4607 Depth=3
	v_bfe_u32 v1, v1, 23, 8
	v_cmp_gt_u32_e64 s[28:29], s44, v1
	v_sub_u32_e32 v15, 0x71, v1
	v_cmp_eq_u32_e32 vcc, 0, v1
	v_cndmask_b32_e64 v15, 0, v15, s[28:29]
	v_mov_b32_e32 v17, 0x70
	v_cndmask_b32_e32 v19, v15, v17, vcc
	v_or_b32_e32 v16, 0x800000, v2
	v_add_u32_e32 v15, 21, v19
	v_cndmask_b32_e32 v2, v16, v2, vcc
	v_lshlrev_b64 v[15:16], v15, -1
	v_add_u32_e32 v17, 20, v19
	v_lshlrev_b64 v[30:31], v17, 1
	v_bfi_b32 v16, v16, 0, 0
	v_bfi_b32 v15, v15, 0, v2
	v_cmp_eq_u64_e64 s[28:29], v[15:16], v[30:31]
	v_lshrrev_b64 v[15:16], v19, v[2:3]
	v_mov_b32_e32 v17, v16
	v_mov_b32_e32 v16, v15
	s_and_saveexec_b64 s[48:49], s[28:29]
; %bb.4747:                             ;   in Loop: Header=BB2_4607 Depth=3
	v_bfe_u32 v2, v15, 21, 1
	v_add_co_u32_e64 v2, s[28:29], v15, v2
	v_add_co_u32_e64 v16, s[28:29], -1, v2
; %bb.4748:                             ;   in Loop: Header=BB2_4607 Depth=3
	s_or_b64 exec, exec, s[48:49]
	v_add_u32_e32 v1, 0xffffff81, v1
	v_mov_b32_e32 v2, 0xffffff82
	v_cndmask_b32_e32 v1, v1, v2, vcc
	v_lshrrev_b32_e32 v2, 23, v15
	v_add3_u32 v19, v19, v1, v2
	v_add_u32_e32 v17, 14, v19
	v_and_b32_e32 v1, 0x1fffff, v16
	v_add_u32_e32 v2, v1, v15
	v_cmp_ne_u32_e32 vcc, 0, v17
                                        ; implicit-def: $vgpr15_vgpr16
                                        ; implicit-def: $vgpr1
	s_and_saveexec_b64 s[28:29], vcc
	s_xor_b64 s[28:29], exec, s[28:29]
; %bb.4749:                             ;   in Loop: Header=BB2_4607 Depth=3
	v_cmp_lt_u64_e32 vcc, s[88:89], v[2:3]
	v_add_u32_e32 v1, 15, v19
	v_cndmask_b32_e64 v15, 0, 1, vcc
	v_lshrrev_b64 v[15:16], v15, v[2:3]
	v_cndmask_b32_e32 v1, v17, v1, vcc
; %bb.4750:                             ;   in Loop: Header=BB2_4607 Depth=3
	s_andn2_saveexec_b64 s[28:29], s[28:29]
; %bb.4751:                             ;   in Loop: Header=BB2_4607 Depth=3
	v_mov_b32_e32 v16, v3
	v_bfe_u32 v1, v2, 23, 1
	v_mov_b32_e32 v15, v2
; %bb.4752:                             ;   in Loop: Header=BB2_4607 Depth=3
	s_or_b64 exec, exec, s[28:29]
	v_lshrrev_b64 v[15:16], 21, v[15:16]
	v_cmp_gt_i32_e32 vcc, 32, v1
	v_cndmask_b32_e32 v16, 0, v16, vcc
	v_cndmask_b32_e32 v15, 3, v15, vcc
	v_cmp_ne_u64_e32 vcc, 0, v[15:16]
	v_cmp_ne_u32_e64 s[28:29], 0, v1
	s_or_b64 s[28:29], s[28:29], vcc
                                        ; implicit-def: $vgpr19
	s_and_saveexec_b64 vcc, s[28:29]
	s_xor_b64 s[28:29], exec, vcc
; %bb.4753:                             ;   in Loop: Header=BB2_4607 Depth=3
	v_min_i32_e32 v1, 31, v1
	v_lshl_or_b32 v1, v1, 2, v20
	v_and_or_b32 v19, v15, 3, v1
                                        ; implicit-def: $vgpr20
; %bb.4754:                             ;   in Loop: Header=BB2_4607 Depth=3
	s_andn2_saveexec_b64 s[28:29], s[28:29]
; %bb.4755:                             ;   in Loop: Header=BB2_4607 Depth=3
	v_mov_b32_e32 v19, v20
; %bb.4756:                             ;   in Loop: Header=BB2_4607 Depth=3
	s_or_b64 exec, exec, s[28:29]
.LBB2_4757:                             ;   in Loop: Header=BB2_4607 Depth=3
	s_or_b64 exec, exec, s[38:39]
                                        ; implicit-def: $vgpr20
.LBB2_4758:                             ;   in Loop: Header=BB2_4607 Depth=3
	s_andn2_saveexec_b64 s[28:29], s[36:37]
; %bb.4759:                             ;   in Loop: Header=BB2_4607 Depth=3
	v_or_b32_e32 v19, 0x7b, v20
; %bb.4760:                             ;   in Loop: Header=BB2_4607 Depth=3
	s_or_b64 exec, exec, s[28:29]
                                        ; implicit-def: $vgpr1
.LBB2_4761:                             ;   in Loop: Header=BB2_4607 Depth=3
	s_andn2_saveexec_b64 s[28:29], s[34:35]
	s_cbranch_execz .LBB2_4767
; %bb.4762:                             ;   in Loop: Header=BB2_4607 Depth=3
	v_cmp_ne_u64_e32 vcc, 0, v[2:3]
                                        ; implicit-def: $vgpr19
	s_and_saveexec_b64 s[34:35], vcc
	s_xor_b64 vcc, exec, s[34:35]
; %bb.4763:                             ;   in Loop: Header=BB2_4607 Depth=3
	v_or_b32_sdwa v19, v1, s81 dst_sel:DWORD dst_unused:UNUSED_PAD src0_sel:BYTE_3 src1_sel:DWORD
                                        ; implicit-def: $vgpr1
; %bb.4764:                             ;   in Loop: Header=BB2_4607 Depth=3
	s_andn2_saveexec_b64 s[34:35], vcc
; %bb.4765:                             ;   in Loop: Header=BB2_4607 Depth=3
	v_cmp_lt_i32_e32 vcc, -1, v1
	v_cndmask_b32_e32 v19, -4, v49, vcc
; %bb.4766:                             ;   in Loop: Header=BB2_4607 Depth=3
	s_or_b64 exec, exec, s[34:35]
.LBB2_4767:                             ;   in Loop: Header=BB2_4607 Depth=3
	s_or_b64 exec, exec, s[28:29]
	v_cmp_ne_u16_e32 vcc, 0, v46
	v_mov_b32_e32 v1, 0
	v_mov_b32_e32 v2, 0
	s_and_saveexec_b64 s[28:29], vcc
	s_cbranch_execz .LBB2_4775
; %bb.4768:                             ;   in Loop: Header=BB2_4607 Depth=3
	v_cmp_ne_u16_e32 vcc, s70, v46
	v_bfrev_b32_e32 v2, 1
	s_and_saveexec_b64 s[34:35], vcc
	s_cbranch_execz .LBB2_4774
; %bb.4769:                             ;   in Loop: Header=BB2_4607 Depth=3
	v_and_b32_e32 v2, 0x7c, v46
	v_and_b32_e32 v15, 3, v46
	v_cmp_ne_u32_e32 vcc, s71, v2
                                        ; implicit-def: $vgpr2
	s_and_saveexec_b64 s[36:37], vcc
	s_xor_b64 s[36:37], exec, s[36:37]
	s_cbranch_execz .LBB2_4771
; %bb.4770:                             ;   in Loop: Header=BB2_4607 Depth=3
	v_ffbh_u32_e32 v16, v15
	v_min_u32_e32 v20, 32, v16
	v_mov_b32_e32 v47, v3
	v_subrev_u32_e32 v16, 29, v20
	v_and_b32_e32 v2, 0xff, v46
	v_lshlrev_b64 v[16:17], v16, v[46:47]
	v_bfe_u32 v2, v2, 2, 5
	v_sub_u32_e32 v17, 30, v20
	v_and_b32_e32 v16, 3, v16
	v_cmp_eq_u32_e32 vcc, 0, v2
	v_cndmask_b32_e32 v2, v2, v17, vcc
	v_cndmask_b32_e32 v15, v15, v16, vcc
	v_and_b32_sdwa v16, sext(v46), s80 dst_sel:DWORD dst_unused:UNUSED_PAD src0_sel:WORD_0 src1_sel:DWORD
	v_lshl_add_u32 v2, v2, 23, v16
	v_lshl_or_b32 v2, v15, 21, v2
	v_add_u32_e32 v2, 0x38000000, v2
                                        ; implicit-def: $vgpr15
                                        ; implicit-def: $vgpr46
.LBB2_4771:                             ;   in Loop: Header=BB2_4607 Depth=3
	s_andn2_saveexec_b64 s[36:37], s[36:37]
; %bb.4772:                             ;   in Loop: Header=BB2_4607 Depth=3
	v_cmp_lt_i16_e32 vcc, -1, v46
	v_cndmask_b32_e32 v2, v27, v6, vcc
	v_cmp_eq_u32_e32 vcc, 0, v15
	v_cndmask_b32_e32 v2, v7, v2, vcc
; %bb.4773:                             ;   in Loop: Header=BB2_4607 Depth=3
	s_or_b64 exec, exec, s[36:37]
.LBB2_4774:                             ;   in Loop: Header=BB2_4607 Depth=3
	s_or_b64 exec, exec, s[34:35]
.LBB2_4775:                             ;   in Loop: Header=BB2_4607 Depth=3
	s_or_b64 exec, exec, s[28:29]
	v_cmp_ne_u16_e32 vcc, 0, v45
	s_and_saveexec_b64 s[28:29], vcc
	s_cbranch_execz .LBB2_4783
; %bb.4776:                             ;   in Loop: Header=BB2_4607 Depth=3
	v_cmp_ne_u16_e32 vcc, s70, v45
	v_bfrev_b32_e32 v1, 1
	s_and_saveexec_b64 s[34:35], vcc
	s_cbranch_execz .LBB2_4782
; %bb.4777:                             ;   in Loop: Header=BB2_4607 Depth=3
	v_and_b32_e32 v1, 0x7c, v45
	v_and_b32_e32 v15, 3, v45
	v_cmp_ne_u32_e32 vcc, s71, v1
                                        ; implicit-def: $vgpr1
	s_and_saveexec_b64 s[36:37], vcc
	s_xor_b64 s[36:37], exec, s[36:37]
	s_cbranch_execz .LBB2_4779
; %bb.4778:                             ;   in Loop: Header=BB2_4607 Depth=3
	v_ffbh_u32_e32 v16, v15
	v_min_u32_e32 v20, 32, v16
	v_mov_b32_e32 v46, v3
	v_subrev_u32_e32 v16, 29, v20
	v_and_b32_e32 v1, 0xff, v45
	v_lshlrev_b64 v[16:17], v16, v[45:46]
	v_bfe_u32 v1, v1, 2, 5
	v_sub_u32_e32 v17, 30, v20
	v_and_b32_e32 v16, 3, v16
	v_cmp_eq_u32_e32 vcc, 0, v1
	v_cndmask_b32_e32 v1, v1, v17, vcc
	v_cndmask_b32_e32 v15, v15, v16, vcc
	v_and_b32_sdwa v16, sext(v45), s80 dst_sel:DWORD dst_unused:UNUSED_PAD src0_sel:WORD_0 src1_sel:DWORD
	v_lshl_add_u32 v1, v1, 23, v16
	v_lshl_or_b32 v1, v15, 21, v1
	v_add_u32_e32 v1, 0x38000000, v1
                                        ; implicit-def: $vgpr15
                                        ; implicit-def: $vgpr45
.LBB2_4779:                             ;   in Loop: Header=BB2_4607 Depth=3
	s_andn2_saveexec_b64 s[36:37], s[36:37]
; %bb.4780:                             ;   in Loop: Header=BB2_4607 Depth=3
	v_cmp_lt_i16_e32 vcc, -1, v45
	v_cndmask_b32_e32 v1, v27, v6, vcc
	v_cmp_eq_u32_e32 vcc, 0, v15
	v_cndmask_b32_e32 v1, v7, v1, vcc
; %bb.4781:                             ;   in Loop: Header=BB2_4607 Depth=3
	s_or_b64 exec, exec, s[36:37]
.LBB2_4782:                             ;   in Loop: Header=BB2_4607 Depth=3
	s_or_b64 exec, exec, s[34:35]
.LBB2_4783:                             ;   in Loop: Header=BB2_4607 Depth=3
	s_or_b64 exec, exec, s[28:29]
	v_mul_f32_e32 v1, v2, v1
	v_and_b32_e32 v15, 0x7f800000, v1
	v_mov_b32_e32 v16, v3
	v_cmp_ne_u64_e32 vcc, s[62:63], v[15:16]
	v_and_b32_e32 v2, 0x7fffff, v1
                                        ; implicit-def: $vgpr20
	s_and_saveexec_b64 s[28:29], vcc
	s_xor_b64 s[34:35], exec, s[28:29]
	s_cbranch_execz .LBB2_4801
; %bb.4784:                             ;   in Loop: Header=BB2_4607 Depth=3
	v_and_b32_e32 v15, 0x7fffffff, v1
	v_mov_b32_e32 v16, v3
	v_cmp_gt_u64_e32 vcc, s[78:79], v[15:16]
	v_and_b32_sdwa v30, v1, s82 dst_sel:DWORD dst_unused:UNUSED_PAD src0_sel:BYTE_3 src1_sel:DWORD
                                        ; implicit-def: $vgpr20
	s_and_saveexec_b64 s[28:29], vcc
	s_xor_b64 s[36:37], exec, s[28:29]
	s_cbranch_execz .LBB2_4798
; %bb.4785:                             ;   in Loop: Header=BB2_4607 Depth=3
	v_cmp_ne_u32_e32 vcc, 0, v1
	v_mov_b32_e32 v20, 0
	s_and_saveexec_b64 s[38:39], vcc
	s_cbranch_execz .LBB2_4797
; %bb.4786:                             ;   in Loop: Header=BB2_4607 Depth=3
	v_bfe_u32 v1, v1, 23, 8
	v_cmp_gt_u32_e64 s[28:29], s44, v1
	v_sub_u32_e32 v15, 0x71, v1
	v_cmp_eq_u32_e32 vcc, 0, v1
	v_cndmask_b32_e64 v15, 0, v15, s[28:29]
	v_mov_b32_e32 v17, 0x70
	v_cndmask_b32_e32 v20, v15, v17, vcc
	v_or_b32_e32 v16, 0x800000, v2
	v_add_u32_e32 v15, 21, v20
	v_cndmask_b32_e32 v2, v16, v2, vcc
	v_lshlrev_b64 v[15:16], v15, -1
	v_add_u32_e32 v17, 20, v20
	v_lshlrev_b64 v[45:46], v17, 1
	v_bfi_b32 v16, v16, 0, 0
	v_bfi_b32 v15, v15, 0, v2
	v_cmp_eq_u64_e64 s[28:29], v[15:16], v[45:46]
	v_lshrrev_b64 v[15:16], v20, v[2:3]
	v_mov_b32_e32 v17, v16
	v_mov_b32_e32 v16, v15
	s_and_saveexec_b64 s[48:49], s[28:29]
; %bb.4787:                             ;   in Loop: Header=BB2_4607 Depth=3
	v_bfe_u32 v2, v15, 21, 1
	v_add_co_u32_e64 v2, s[28:29], v15, v2
	v_add_co_u32_e64 v16, s[28:29], -1, v2
; %bb.4788:                             ;   in Loop: Header=BB2_4607 Depth=3
	s_or_b64 exec, exec, s[48:49]
	v_add_u32_e32 v1, 0xffffff81, v1
	v_mov_b32_e32 v2, 0xffffff82
	v_cndmask_b32_e32 v1, v1, v2, vcc
	v_lshrrev_b32_e32 v2, 23, v15
	v_add3_u32 v20, v20, v1, v2
	v_add_u32_e32 v17, 14, v20
	v_and_b32_e32 v1, 0x1fffff, v16
	v_add_u32_e32 v2, v1, v15
	v_cmp_ne_u32_e32 vcc, 0, v17
                                        ; implicit-def: $vgpr15_vgpr16
                                        ; implicit-def: $vgpr1
	s_and_saveexec_b64 s[28:29], vcc
	s_xor_b64 s[28:29], exec, s[28:29]
; %bb.4789:                             ;   in Loop: Header=BB2_4607 Depth=3
	v_cmp_lt_u64_e32 vcc, s[88:89], v[2:3]
	v_add_u32_e32 v1, 15, v20
	v_cndmask_b32_e64 v15, 0, 1, vcc
	v_lshrrev_b64 v[15:16], v15, v[2:3]
	v_cndmask_b32_e32 v1, v17, v1, vcc
; %bb.4790:                             ;   in Loop: Header=BB2_4607 Depth=3
	s_andn2_saveexec_b64 s[28:29], s[28:29]
; %bb.4791:                             ;   in Loop: Header=BB2_4607 Depth=3
	v_mov_b32_e32 v16, v3
	v_bfe_u32 v1, v2, 23, 1
	v_mov_b32_e32 v15, v2
; %bb.4792:                             ;   in Loop: Header=BB2_4607 Depth=3
	s_or_b64 exec, exec, s[28:29]
	v_lshrrev_b64 v[15:16], 21, v[15:16]
	v_cmp_gt_i32_e32 vcc, 32, v1
	v_cndmask_b32_e32 v16, 0, v16, vcc
	v_cndmask_b32_e32 v15, 3, v15, vcc
	v_cmp_ne_u64_e32 vcc, 0, v[15:16]
	v_cmp_ne_u32_e64 s[28:29], 0, v1
	s_or_b64 s[28:29], s[28:29], vcc
                                        ; implicit-def: $vgpr20
	s_and_saveexec_b64 vcc, s[28:29]
	s_xor_b64 s[28:29], exec, vcc
; %bb.4793:                             ;   in Loop: Header=BB2_4607 Depth=3
	v_min_i32_e32 v1, 31, v1
	v_lshl_or_b32 v1, v1, 2, v30
	v_and_or_b32 v20, v15, 3, v1
                                        ; implicit-def: $vgpr30
; %bb.4794:                             ;   in Loop: Header=BB2_4607 Depth=3
	s_andn2_saveexec_b64 s[28:29], s[28:29]
; %bb.4795:                             ;   in Loop: Header=BB2_4607 Depth=3
	v_mov_b32_e32 v20, v30
; %bb.4796:                             ;   in Loop: Header=BB2_4607 Depth=3
	s_or_b64 exec, exec, s[28:29]
.LBB2_4797:                             ;   in Loop: Header=BB2_4607 Depth=3
	s_or_b64 exec, exec, s[38:39]
                                        ; implicit-def: $vgpr30
.LBB2_4798:                             ;   in Loop: Header=BB2_4607 Depth=3
	s_andn2_saveexec_b64 s[28:29], s[36:37]
; %bb.4799:                             ;   in Loop: Header=BB2_4607 Depth=3
	v_or_b32_e32 v20, 0x7b, v30
; %bb.4800:                             ;   in Loop: Header=BB2_4607 Depth=3
	s_or_b64 exec, exec, s[28:29]
                                        ; implicit-def: $vgpr1
.LBB2_4801:                             ;   in Loop: Header=BB2_4607 Depth=3
	s_andn2_saveexec_b64 s[28:29], s[34:35]
	s_cbranch_execz .LBB2_4807
; %bb.4802:                             ;   in Loop: Header=BB2_4607 Depth=3
	v_cmp_ne_u64_e32 vcc, 0, v[2:3]
                                        ; implicit-def: $vgpr20
	s_and_saveexec_b64 s[34:35], vcc
	s_xor_b64 vcc, exec, s[34:35]
; %bb.4803:                             ;   in Loop: Header=BB2_4607 Depth=3
	v_or_b32_sdwa v20, v1, s81 dst_sel:DWORD dst_unused:UNUSED_PAD src0_sel:BYTE_3 src1_sel:DWORD
                                        ; implicit-def: $vgpr1
; %bb.4804:                             ;   in Loop: Header=BB2_4607 Depth=3
	s_andn2_saveexec_b64 s[34:35], vcc
; %bb.4805:                             ;   in Loop: Header=BB2_4607 Depth=3
	v_cmp_lt_i32_e32 vcc, -1, v1
	v_cndmask_b32_e32 v20, -4, v49, vcc
; %bb.4806:                             ;   in Loop: Header=BB2_4607 Depth=3
	s_or_b64 exec, exec, s[34:35]
.LBB2_4807:                             ;   in Loop: Header=BB2_4607 Depth=3
	s_or_b64 exec, exec, s[28:29]
	v_cmp_ne_u16_e32 vcc, 0, v44
	v_mov_b32_e32 v1, 0
	v_mov_b32_e32 v2, 0
	s_and_saveexec_b64 s[28:29], vcc
	s_cbranch_execz .LBB2_4815
; %bb.4808:                             ;   in Loop: Header=BB2_4607 Depth=3
	v_cmp_ne_u16_e32 vcc, s70, v44
	v_bfrev_b32_e32 v2, 1
	s_and_saveexec_b64 s[34:35], vcc
	s_cbranch_execz .LBB2_4814
; %bb.4809:                             ;   in Loop: Header=BB2_4607 Depth=3
	v_and_b32_e32 v2, 0x7c, v44
	v_and_b32_e32 v15, 3, v44
	v_cmp_ne_u32_e32 vcc, s71, v2
                                        ; implicit-def: $vgpr2
	s_and_saveexec_b64 s[36:37], vcc
	s_xor_b64 s[36:37], exec, s[36:37]
	s_cbranch_execz .LBB2_4811
; %bb.4810:                             ;   in Loop: Header=BB2_4607 Depth=3
	v_ffbh_u32_e32 v16, v15
	v_min_u32_e32 v30, 32, v16
	v_mov_b32_e32 v45, v3
	v_subrev_u32_e32 v16, 29, v30
	v_and_b32_e32 v2, 0xff, v44
	v_lshlrev_b64 v[16:17], v16, v[44:45]
	v_bfe_u32 v2, v2, 2, 5
	v_sub_u32_e32 v17, 30, v30
	v_and_b32_e32 v16, 3, v16
	v_cmp_eq_u32_e32 vcc, 0, v2
	v_cndmask_b32_e32 v2, v2, v17, vcc
	v_cndmask_b32_e32 v15, v15, v16, vcc
	v_and_b32_sdwa v16, sext(v44), s80 dst_sel:DWORD dst_unused:UNUSED_PAD src0_sel:WORD_0 src1_sel:DWORD
	v_lshl_add_u32 v2, v2, 23, v16
	v_lshl_or_b32 v2, v15, 21, v2
	v_add_u32_e32 v2, 0x38000000, v2
                                        ; implicit-def: $vgpr15
                                        ; implicit-def: $vgpr44
.LBB2_4811:                             ;   in Loop: Header=BB2_4607 Depth=3
	s_andn2_saveexec_b64 s[36:37], s[36:37]
; %bb.4812:                             ;   in Loop: Header=BB2_4607 Depth=3
	v_cmp_lt_i16_e32 vcc, -1, v44
	v_cndmask_b32_e32 v2, v27, v6, vcc
	v_cmp_eq_u32_e32 vcc, 0, v15
	v_cndmask_b32_e32 v2, v7, v2, vcc
; %bb.4813:                             ;   in Loop: Header=BB2_4607 Depth=3
	s_or_b64 exec, exec, s[36:37]
.LBB2_4814:                             ;   in Loop: Header=BB2_4607 Depth=3
	s_or_b64 exec, exec, s[34:35]
.LBB2_4815:                             ;   in Loop: Header=BB2_4607 Depth=3
	s_or_b64 exec, exec, s[28:29]
	v_cmp_ne_u16_e32 vcc, 0, v43
	s_and_saveexec_b64 s[28:29], vcc
	s_cbranch_execz .LBB2_4823
; %bb.4816:                             ;   in Loop: Header=BB2_4607 Depth=3
	v_cmp_ne_u16_e32 vcc, s70, v43
	v_bfrev_b32_e32 v1, 1
	s_and_saveexec_b64 s[34:35], vcc
	s_cbranch_execz .LBB2_4822
; %bb.4817:                             ;   in Loop: Header=BB2_4607 Depth=3
	v_and_b32_e32 v1, 0x7c, v43
	v_and_b32_e32 v15, 3, v43
	v_cmp_ne_u32_e32 vcc, s71, v1
                                        ; implicit-def: $vgpr1
	s_and_saveexec_b64 s[36:37], vcc
	s_xor_b64 s[36:37], exec, s[36:37]
	s_cbranch_execz .LBB2_4819
; %bb.4818:                             ;   in Loop: Header=BB2_4607 Depth=3
	v_ffbh_u32_e32 v16, v15
	v_min_u32_e32 v30, 32, v16
	v_mov_b32_e32 v44, v3
	v_subrev_u32_e32 v16, 29, v30
	v_and_b32_e32 v1, 0xff, v43
	v_lshlrev_b64 v[16:17], v16, v[43:44]
	v_bfe_u32 v1, v1, 2, 5
	v_sub_u32_e32 v17, 30, v30
	v_and_b32_e32 v16, 3, v16
	v_cmp_eq_u32_e32 vcc, 0, v1
	v_cndmask_b32_e32 v1, v1, v17, vcc
	v_cndmask_b32_e32 v15, v15, v16, vcc
	v_and_b32_sdwa v16, sext(v43), s80 dst_sel:DWORD dst_unused:UNUSED_PAD src0_sel:WORD_0 src1_sel:DWORD
	v_lshl_add_u32 v1, v1, 23, v16
	v_lshl_or_b32 v1, v15, 21, v1
	v_add_u32_e32 v1, 0x38000000, v1
                                        ; implicit-def: $vgpr15
                                        ; implicit-def: $vgpr43
.LBB2_4819:                             ;   in Loop: Header=BB2_4607 Depth=3
	s_andn2_saveexec_b64 s[36:37], s[36:37]
; %bb.4820:                             ;   in Loop: Header=BB2_4607 Depth=3
	v_cmp_lt_i16_e32 vcc, -1, v43
	v_cndmask_b32_e32 v1, v27, v6, vcc
	v_cmp_eq_u32_e32 vcc, 0, v15
	v_cndmask_b32_e32 v1, v7, v1, vcc
; %bb.4821:                             ;   in Loop: Header=BB2_4607 Depth=3
	s_or_b64 exec, exec, s[36:37]
.LBB2_4822:                             ;   in Loop: Header=BB2_4607 Depth=3
	s_or_b64 exec, exec, s[34:35]
.LBB2_4823:                             ;   in Loop: Header=BB2_4607 Depth=3
	s_or_b64 exec, exec, s[28:29]
	v_mul_f32_e32 v1, v2, v1
	v_and_b32_e32 v15, 0x7f800000, v1
	v_mov_b32_e32 v16, v3
	v_cmp_ne_u64_e32 vcc, s[62:63], v[15:16]
	v_and_b32_e32 v2, 0x7fffff, v1
                                        ; implicit-def: $vgpr30
	s_and_saveexec_b64 s[28:29], vcc
	s_xor_b64 s[34:35], exec, s[28:29]
	s_cbranch_execz .LBB2_4841
; %bb.4824:                             ;   in Loop: Header=BB2_4607 Depth=3
	v_and_b32_e32 v15, 0x7fffffff, v1
	v_mov_b32_e32 v16, v3
	v_cmp_gt_u64_e32 vcc, s[78:79], v[15:16]
	v_and_b32_sdwa v31, v1, s82 dst_sel:DWORD dst_unused:UNUSED_PAD src0_sel:BYTE_3 src1_sel:DWORD
                                        ; implicit-def: $vgpr30
	s_and_saveexec_b64 s[28:29], vcc
	s_xor_b64 s[36:37], exec, s[28:29]
	s_cbranch_execz .LBB2_4838
; %bb.4825:                             ;   in Loop: Header=BB2_4607 Depth=3
	v_cmp_ne_u32_e32 vcc, 0, v1
	v_mov_b32_e32 v30, 0
	s_and_saveexec_b64 s[38:39], vcc
	s_cbranch_execz .LBB2_4837
; %bb.4826:                             ;   in Loop: Header=BB2_4607 Depth=3
	v_bfe_u32 v1, v1, 23, 8
	v_cmp_gt_u32_e64 s[28:29], s44, v1
	v_sub_u32_e32 v15, 0x71, v1
	v_cmp_eq_u32_e32 vcc, 0, v1
	v_cndmask_b32_e64 v15, 0, v15, s[28:29]
	v_mov_b32_e32 v17, 0x70
	v_cndmask_b32_e32 v30, v15, v17, vcc
	v_or_b32_e32 v16, 0x800000, v2
	v_add_u32_e32 v15, 21, v30
	v_cndmask_b32_e32 v2, v16, v2, vcc
	v_lshlrev_b64 v[15:16], v15, -1
	v_add_u32_e32 v17, 20, v30
	v_lshlrev_b64 v[43:44], v17, 1
	v_bfi_b32 v16, v16, 0, 0
	v_bfi_b32 v15, v15, 0, v2
	v_cmp_eq_u64_e64 s[28:29], v[15:16], v[43:44]
	v_lshrrev_b64 v[15:16], v30, v[2:3]
	v_mov_b32_e32 v17, v16
	v_mov_b32_e32 v16, v15
	s_and_saveexec_b64 s[48:49], s[28:29]
; %bb.4827:                             ;   in Loop: Header=BB2_4607 Depth=3
	v_bfe_u32 v2, v15, 21, 1
	v_add_co_u32_e64 v2, s[28:29], v15, v2
	v_add_co_u32_e64 v16, s[28:29], -1, v2
; %bb.4828:                             ;   in Loop: Header=BB2_4607 Depth=3
	s_or_b64 exec, exec, s[48:49]
	v_add_u32_e32 v1, 0xffffff81, v1
	v_mov_b32_e32 v2, 0xffffff82
	v_cndmask_b32_e32 v1, v1, v2, vcc
	v_lshrrev_b32_e32 v2, 23, v15
	v_add3_u32 v30, v30, v1, v2
	v_add_u32_e32 v17, 14, v30
	v_and_b32_e32 v1, 0x1fffff, v16
	v_add_u32_e32 v2, v1, v15
	v_cmp_ne_u32_e32 vcc, 0, v17
                                        ; implicit-def: $vgpr15_vgpr16
                                        ; implicit-def: $vgpr1
	s_and_saveexec_b64 s[28:29], vcc
	s_xor_b64 s[28:29], exec, s[28:29]
; %bb.4829:                             ;   in Loop: Header=BB2_4607 Depth=3
	v_cmp_lt_u64_e32 vcc, s[88:89], v[2:3]
	v_add_u32_e32 v1, 15, v30
	v_cndmask_b32_e64 v15, 0, 1, vcc
	v_lshrrev_b64 v[15:16], v15, v[2:3]
	v_cndmask_b32_e32 v1, v17, v1, vcc
; %bb.4830:                             ;   in Loop: Header=BB2_4607 Depth=3
	s_andn2_saveexec_b64 s[28:29], s[28:29]
; %bb.4831:                             ;   in Loop: Header=BB2_4607 Depth=3
	v_mov_b32_e32 v16, v3
	v_bfe_u32 v1, v2, 23, 1
	v_mov_b32_e32 v15, v2
; %bb.4832:                             ;   in Loop: Header=BB2_4607 Depth=3
	s_or_b64 exec, exec, s[28:29]
	v_lshrrev_b64 v[15:16], 21, v[15:16]
	v_cmp_gt_i32_e32 vcc, 32, v1
	v_cndmask_b32_e32 v16, 0, v16, vcc
	v_cndmask_b32_e32 v15, 3, v15, vcc
	v_cmp_ne_u64_e32 vcc, 0, v[15:16]
	v_cmp_ne_u32_e64 s[28:29], 0, v1
	s_or_b64 s[28:29], s[28:29], vcc
                                        ; implicit-def: $vgpr30
	s_and_saveexec_b64 vcc, s[28:29]
	s_xor_b64 s[28:29], exec, vcc
; %bb.4833:                             ;   in Loop: Header=BB2_4607 Depth=3
	v_min_i32_e32 v1, 31, v1
	v_lshl_or_b32 v1, v1, 2, v31
	v_and_or_b32 v30, v15, 3, v1
                                        ; implicit-def: $vgpr31
; %bb.4834:                             ;   in Loop: Header=BB2_4607 Depth=3
	s_andn2_saveexec_b64 s[28:29], s[28:29]
; %bb.4835:                             ;   in Loop: Header=BB2_4607 Depth=3
	v_mov_b32_e32 v30, v31
; %bb.4836:                             ;   in Loop: Header=BB2_4607 Depth=3
	s_or_b64 exec, exec, s[28:29]
.LBB2_4837:                             ;   in Loop: Header=BB2_4607 Depth=3
	s_or_b64 exec, exec, s[38:39]
                                        ; implicit-def: $vgpr31
.LBB2_4838:                             ;   in Loop: Header=BB2_4607 Depth=3
	s_andn2_saveexec_b64 s[28:29], s[36:37]
; %bb.4839:                             ;   in Loop: Header=BB2_4607 Depth=3
	v_or_b32_e32 v30, 0x7b, v31
; %bb.4840:                             ;   in Loop: Header=BB2_4607 Depth=3
	s_or_b64 exec, exec, s[28:29]
                                        ; implicit-def: $vgpr1
.LBB2_4841:                             ;   in Loop: Header=BB2_4607 Depth=3
	s_andn2_saveexec_b64 s[28:29], s[34:35]
	s_cbranch_execz .LBB2_4847
; %bb.4842:                             ;   in Loop: Header=BB2_4607 Depth=3
	v_cmp_ne_u64_e32 vcc, 0, v[2:3]
                                        ; implicit-def: $vgpr30
	s_and_saveexec_b64 s[34:35], vcc
	s_xor_b64 vcc, exec, s[34:35]
; %bb.4843:                             ;   in Loop: Header=BB2_4607 Depth=3
	v_or_b32_sdwa v30, v1, s81 dst_sel:DWORD dst_unused:UNUSED_PAD src0_sel:BYTE_3 src1_sel:DWORD
                                        ; implicit-def: $vgpr1
; %bb.4844:                             ;   in Loop: Header=BB2_4607 Depth=3
	s_andn2_saveexec_b64 s[34:35], vcc
; %bb.4845:                             ;   in Loop: Header=BB2_4607 Depth=3
	v_cmp_lt_i32_e32 vcc, -1, v1
	v_cndmask_b32_e32 v30, -4, v49, vcc
; %bb.4846:                             ;   in Loop: Header=BB2_4607 Depth=3
	s_or_b64 exec, exec, s[34:35]
.LBB2_4847:                             ;   in Loop: Header=BB2_4607 Depth=3
	s_or_b64 exec, exec, s[28:29]
	v_cmp_ne_u16_e32 vcc, 0, v42
	v_mov_b32_e32 v1, 0
	v_mov_b32_e32 v2, 0
	s_and_saveexec_b64 s[28:29], vcc
	s_cbranch_execz .LBB2_4855
; %bb.4848:                             ;   in Loop: Header=BB2_4607 Depth=3
	v_cmp_ne_u16_e32 vcc, s70, v42
	v_bfrev_b32_e32 v2, 1
	s_and_saveexec_b64 s[34:35], vcc
	s_cbranch_execz .LBB2_4854
; %bb.4849:                             ;   in Loop: Header=BB2_4607 Depth=3
	v_and_b32_e32 v2, 0x7c, v42
	v_and_b32_e32 v15, 3, v42
	v_cmp_ne_u32_e32 vcc, s71, v2
                                        ; implicit-def: $vgpr2
	s_and_saveexec_b64 s[36:37], vcc
	s_xor_b64 s[36:37], exec, s[36:37]
	s_cbranch_execz .LBB2_4851
; %bb.4850:                             ;   in Loop: Header=BB2_4607 Depth=3
	v_ffbh_u32_e32 v16, v15
	v_min_u32_e32 v31, 32, v16
	v_mov_b32_e32 v43, v3
	v_subrev_u32_e32 v16, 29, v31
	v_and_b32_e32 v2, 0xff, v42
	v_lshlrev_b64 v[16:17], v16, v[42:43]
	v_bfe_u32 v2, v2, 2, 5
	v_sub_u32_e32 v17, 30, v31
	v_and_b32_e32 v16, 3, v16
	v_cmp_eq_u32_e32 vcc, 0, v2
	v_cndmask_b32_e32 v2, v2, v17, vcc
	v_cndmask_b32_e32 v15, v15, v16, vcc
	v_and_b32_sdwa v16, sext(v42), s80 dst_sel:DWORD dst_unused:UNUSED_PAD src0_sel:WORD_0 src1_sel:DWORD
	v_lshl_add_u32 v2, v2, 23, v16
	v_lshl_or_b32 v2, v15, 21, v2
	v_add_u32_e32 v2, 0x38000000, v2
                                        ; implicit-def: $vgpr15
                                        ; implicit-def: $vgpr42
.LBB2_4851:                             ;   in Loop: Header=BB2_4607 Depth=3
	s_andn2_saveexec_b64 s[36:37], s[36:37]
; %bb.4852:                             ;   in Loop: Header=BB2_4607 Depth=3
	v_cmp_lt_i16_e32 vcc, -1, v42
	v_cndmask_b32_e32 v2, v27, v6, vcc
	v_cmp_eq_u32_e32 vcc, 0, v15
	v_cndmask_b32_e32 v2, v7, v2, vcc
; %bb.4853:                             ;   in Loop: Header=BB2_4607 Depth=3
	s_or_b64 exec, exec, s[36:37]
.LBB2_4854:                             ;   in Loop: Header=BB2_4607 Depth=3
	s_or_b64 exec, exec, s[34:35]
.LBB2_4855:                             ;   in Loop: Header=BB2_4607 Depth=3
	s_or_b64 exec, exec, s[28:29]
	v_cmp_ne_u16_e32 vcc, 0, v41
	s_and_saveexec_b64 s[28:29], vcc
	s_cbranch_execz .LBB2_4863
; %bb.4856:                             ;   in Loop: Header=BB2_4607 Depth=3
	v_cmp_ne_u16_e32 vcc, s70, v41
	v_bfrev_b32_e32 v1, 1
	s_and_saveexec_b64 s[34:35], vcc
	s_cbranch_execz .LBB2_4862
; %bb.4857:                             ;   in Loop: Header=BB2_4607 Depth=3
	v_and_b32_e32 v1, 0x7c, v41
	v_and_b32_e32 v15, 3, v41
	v_cmp_ne_u32_e32 vcc, s71, v1
                                        ; implicit-def: $vgpr1
	s_and_saveexec_b64 s[36:37], vcc
	s_xor_b64 s[36:37], exec, s[36:37]
	s_cbranch_execz .LBB2_4859
; %bb.4858:                             ;   in Loop: Header=BB2_4607 Depth=3
	v_ffbh_u32_e32 v16, v15
	v_min_u32_e32 v31, 32, v16
	v_mov_b32_e32 v42, v3
	v_subrev_u32_e32 v16, 29, v31
	v_and_b32_e32 v1, 0xff, v41
	v_lshlrev_b64 v[16:17], v16, v[41:42]
	v_bfe_u32 v1, v1, 2, 5
	v_sub_u32_e32 v17, 30, v31
	v_and_b32_e32 v16, 3, v16
	v_cmp_eq_u32_e32 vcc, 0, v1
	v_cndmask_b32_e32 v1, v1, v17, vcc
	v_cndmask_b32_e32 v15, v15, v16, vcc
	v_and_b32_sdwa v16, sext(v41), s80 dst_sel:DWORD dst_unused:UNUSED_PAD src0_sel:WORD_0 src1_sel:DWORD
	v_lshl_add_u32 v1, v1, 23, v16
	v_lshl_or_b32 v1, v15, 21, v1
	v_add_u32_e32 v1, 0x38000000, v1
                                        ; implicit-def: $vgpr15
                                        ; implicit-def: $vgpr41
.LBB2_4859:                             ;   in Loop: Header=BB2_4607 Depth=3
	s_andn2_saveexec_b64 s[36:37], s[36:37]
; %bb.4860:                             ;   in Loop: Header=BB2_4607 Depth=3
	v_cmp_lt_i16_e32 vcc, -1, v41
	v_cndmask_b32_e32 v1, v27, v6, vcc
	v_cmp_eq_u32_e32 vcc, 0, v15
	v_cndmask_b32_e32 v1, v7, v1, vcc
; %bb.4861:                             ;   in Loop: Header=BB2_4607 Depth=3
	s_or_b64 exec, exec, s[36:37]
.LBB2_4862:                             ;   in Loop: Header=BB2_4607 Depth=3
	s_or_b64 exec, exec, s[34:35]
.LBB2_4863:                             ;   in Loop: Header=BB2_4607 Depth=3
	s_or_b64 exec, exec, s[28:29]
	v_mul_f32_e32 v1, v2, v1
	v_and_b32_e32 v15, 0x7f800000, v1
	v_mov_b32_e32 v16, v3
	v_cmp_ne_u64_e32 vcc, s[62:63], v[15:16]
	v_and_b32_e32 v2, 0x7fffff, v1
                                        ; implicit-def: $vgpr17
	s_and_saveexec_b64 s[28:29], vcc
	s_xor_b64 s[34:35], exec, s[28:29]
	s_cbranch_execz .LBB2_4881
; %bb.4864:                             ;   in Loop: Header=BB2_4607 Depth=3
	v_and_b32_e32 v15, 0x7fffffff, v1
	v_mov_b32_e32 v16, v3
	v_cmp_gt_u64_e32 vcc, s[78:79], v[15:16]
	v_and_b32_sdwa v31, v1, s82 dst_sel:DWORD dst_unused:UNUSED_PAD src0_sel:BYTE_3 src1_sel:DWORD
                                        ; implicit-def: $vgpr17
	s_and_saveexec_b64 s[28:29], vcc
	s_xor_b64 s[36:37], exec, s[28:29]
	s_cbranch_execz .LBB2_4878
; %bb.4865:                             ;   in Loop: Header=BB2_4607 Depth=3
	v_cmp_ne_u32_e32 vcc, 0, v1
	v_mov_b32_e32 v17, 0
	s_and_saveexec_b64 s[38:39], vcc
	s_cbranch_execz .LBB2_4877
; %bb.4866:                             ;   in Loop: Header=BB2_4607 Depth=3
	v_bfe_u32 v1, v1, 23, 8
	v_cmp_gt_u32_e64 s[28:29], s44, v1
	v_sub_u32_e32 v15, 0x71, v1
	v_cmp_eq_u32_e32 vcc, 0, v1
	v_cndmask_b32_e64 v15, 0, v15, s[28:29]
	v_mov_b32_e32 v17, 0x70
	v_cndmask_b32_e32 v39, v15, v17, vcc
	v_or_b32_e32 v16, 0x800000, v2
	v_add_u32_e32 v15, 21, v39
	v_cndmask_b32_e32 v2, v16, v2, vcc
	v_lshlrev_b64 v[15:16], v15, -1
	v_add_u32_e32 v17, 20, v39
	v_lshlrev_b64 v[41:42], v17, 1
	v_bfi_b32 v16, v16, 0, 0
	v_bfi_b32 v15, v15, 0, v2
	v_cmp_eq_u64_e64 s[28:29], v[15:16], v[41:42]
	v_lshrrev_b64 v[15:16], v39, v[2:3]
	v_mov_b32_e32 v17, v16
	v_mov_b32_e32 v16, v15
	s_and_saveexec_b64 s[48:49], s[28:29]
; %bb.4867:                             ;   in Loop: Header=BB2_4607 Depth=3
	v_bfe_u32 v2, v15, 21, 1
	v_add_co_u32_e64 v2, s[28:29], v15, v2
	v_add_co_u32_e64 v16, s[28:29], -1, v2
; %bb.4868:                             ;   in Loop: Header=BB2_4607 Depth=3
	s_or_b64 exec, exec, s[48:49]
	v_add_u32_e32 v1, 0xffffff81, v1
	v_mov_b32_e32 v2, 0xffffff82
	v_cndmask_b32_e32 v1, v1, v2, vcc
	v_lshrrev_b32_e32 v2, 23, v15
	v_add3_u32 v39, v39, v1, v2
	v_add_u32_e32 v17, 14, v39
	v_and_b32_e32 v1, 0x1fffff, v16
	v_add_u32_e32 v2, v1, v15
	v_cmp_ne_u32_e32 vcc, 0, v17
                                        ; implicit-def: $vgpr15_vgpr16
                                        ; implicit-def: $vgpr1
	s_and_saveexec_b64 s[28:29], vcc
	s_xor_b64 s[28:29], exec, s[28:29]
; %bb.4869:                             ;   in Loop: Header=BB2_4607 Depth=3
	v_cmp_lt_u64_e32 vcc, s[88:89], v[2:3]
	v_add_u32_e32 v1, 15, v39
	v_cndmask_b32_e64 v15, 0, 1, vcc
	v_lshrrev_b64 v[15:16], v15, v[2:3]
	v_cndmask_b32_e32 v1, v17, v1, vcc
; %bb.4870:                             ;   in Loop: Header=BB2_4607 Depth=3
	s_andn2_saveexec_b64 s[28:29], s[28:29]
; %bb.4871:                             ;   in Loop: Header=BB2_4607 Depth=3
	v_mov_b32_e32 v16, v3
	v_bfe_u32 v1, v2, 23, 1
	v_mov_b32_e32 v15, v2
; %bb.4872:                             ;   in Loop: Header=BB2_4607 Depth=3
	s_or_b64 exec, exec, s[28:29]
	v_lshrrev_b64 v[15:16], 21, v[15:16]
	v_cmp_gt_i32_e32 vcc, 32, v1
	v_cndmask_b32_e32 v16, 0, v16, vcc
	v_cndmask_b32_e32 v15, 3, v15, vcc
	v_cmp_ne_u64_e32 vcc, 0, v[15:16]
	v_cmp_ne_u32_e64 s[28:29], 0, v1
	s_or_b64 s[28:29], s[28:29], vcc
                                        ; implicit-def: $vgpr17
	s_and_saveexec_b64 vcc, s[28:29]
	s_xor_b64 s[28:29], exec, vcc
; %bb.4873:                             ;   in Loop: Header=BB2_4607 Depth=3
	v_min_i32_e32 v1, 31, v1
	v_lshl_or_b32 v1, v1, 2, v31
	v_and_or_b32 v17, v15, 3, v1
                                        ; implicit-def: $vgpr31
; %bb.4874:                             ;   in Loop: Header=BB2_4607 Depth=3
	s_andn2_saveexec_b64 s[28:29], s[28:29]
; %bb.4875:                             ;   in Loop: Header=BB2_4607 Depth=3
	v_mov_b32_e32 v17, v31
; %bb.4876:                             ;   in Loop: Header=BB2_4607 Depth=3
	s_or_b64 exec, exec, s[28:29]
.LBB2_4877:                             ;   in Loop: Header=BB2_4607 Depth=3
	s_or_b64 exec, exec, s[38:39]
                                        ; implicit-def: $vgpr31
.LBB2_4878:                             ;   in Loop: Header=BB2_4607 Depth=3
	s_andn2_saveexec_b64 s[28:29], s[36:37]
; %bb.4879:                             ;   in Loop: Header=BB2_4607 Depth=3
	v_or_b32_e32 v17, 0x7b, v31
; %bb.4880:                             ;   in Loop: Header=BB2_4607 Depth=3
	s_or_b64 exec, exec, s[28:29]
                                        ; implicit-def: $vgpr1
.LBB2_4881:                             ;   in Loop: Header=BB2_4607 Depth=3
	s_andn2_saveexec_b64 s[28:29], s[34:35]
	s_cbranch_execz .LBB2_4887
; %bb.4882:                             ;   in Loop: Header=BB2_4607 Depth=3
	v_cmp_ne_u64_e32 vcc, 0, v[2:3]
                                        ; implicit-def: $vgpr17
	s_and_saveexec_b64 s[34:35], vcc
	s_xor_b64 vcc, exec, s[34:35]
; %bb.4883:                             ;   in Loop: Header=BB2_4607 Depth=3
	v_or_b32_sdwa v17, v1, s81 dst_sel:DWORD dst_unused:UNUSED_PAD src0_sel:BYTE_3 src1_sel:DWORD
                                        ; implicit-def: $vgpr1
; %bb.4884:                             ;   in Loop: Header=BB2_4607 Depth=3
	s_andn2_saveexec_b64 s[34:35], vcc
; %bb.4885:                             ;   in Loop: Header=BB2_4607 Depth=3
	v_cmp_lt_i32_e32 vcc, -1, v1
	v_cndmask_b32_e32 v17, -4, v49, vcc
; %bb.4886:                             ;   in Loop: Header=BB2_4607 Depth=3
	s_or_b64 exec, exec, s[34:35]
.LBB2_4887:                             ;   in Loop: Header=BB2_4607 Depth=3
	s_or_b64 exec, exec, s[28:29]
	v_cmp_ne_u16_e32 vcc, 0, v40
	v_mov_b32_e32 v1, 0
	v_mov_b32_e32 v2, 0
	s_and_saveexec_b64 s[28:29], vcc
	s_cbranch_execz .LBB2_4895
; %bb.4888:                             ;   in Loop: Header=BB2_4607 Depth=3
	v_cmp_ne_u16_e32 vcc, s70, v40
	v_bfrev_b32_e32 v2, 1
	s_and_saveexec_b64 s[34:35], vcc
	s_cbranch_execz .LBB2_4894
; %bb.4889:                             ;   in Loop: Header=BB2_4607 Depth=3
	v_and_b32_e32 v2, 0x7c, v40
	v_and_b32_e32 v15, 3, v40
	v_cmp_ne_u32_e32 vcc, s71, v2
                                        ; implicit-def: $vgpr2
	s_and_saveexec_b64 s[36:37], vcc
	s_xor_b64 s[36:37], exec, s[36:37]
	s_cbranch_execz .LBB2_4891
; %bb.4890:                             ;   in Loop: Header=BB2_4607 Depth=3
	v_ffbh_u32_e32 v16, v15
	v_min_u32_e32 v16, 32, v16
	v_and_b32_e32 v2, 0xff, v40
	v_mov_b32_e32 v41, v3
	v_subrev_u32_e32 v31, 29, v16
	v_bfe_u32 v2, v2, 2, 5
	v_lshlrev_b64 v[41:42], v31, v[40:41]
	v_sub_u32_e32 v16, 30, v16
	v_cmp_eq_u32_e32 vcc, 0, v2
	v_and_b32_e32 v31, 3, v41
	v_cndmask_b32_e32 v2, v2, v16, vcc
	v_and_b32_sdwa v16, sext(v40), s80 dst_sel:DWORD dst_unused:UNUSED_PAD src0_sel:WORD_0 src1_sel:DWORD
	v_cndmask_b32_e32 v15, v15, v31, vcc
	v_lshl_add_u32 v2, v2, 23, v16
	v_lshl_or_b32 v2, v15, 21, v2
	v_add_u32_e32 v2, 0x38000000, v2
                                        ; implicit-def: $vgpr15
                                        ; implicit-def: $vgpr40
.LBB2_4891:                             ;   in Loop: Header=BB2_4607 Depth=3
	s_andn2_saveexec_b64 s[36:37], s[36:37]
; %bb.4892:                             ;   in Loop: Header=BB2_4607 Depth=3
	v_cmp_lt_i16_e32 vcc, -1, v40
	v_cndmask_b32_e32 v2, v27, v6, vcc
	v_cmp_eq_u32_e32 vcc, 0, v15
	v_cndmask_b32_e32 v2, v7, v2, vcc
; %bb.4893:                             ;   in Loop: Header=BB2_4607 Depth=3
	s_or_b64 exec, exec, s[36:37]
.LBB2_4894:                             ;   in Loop: Header=BB2_4607 Depth=3
	s_or_b64 exec, exec, s[34:35]
.LBB2_4895:                             ;   in Loop: Header=BB2_4607 Depth=3
	s_or_b64 exec, exec, s[28:29]
	v_cmp_ne_u16_e32 vcc, 0, v14
	s_and_saveexec_b64 s[28:29], vcc
	s_cbranch_execz .LBB2_4903
; %bb.4896:                             ;   in Loop: Header=BB2_4607 Depth=3
	v_cmp_ne_u16_e32 vcc, s70, v14
	v_bfrev_b32_e32 v1, 1
	s_and_saveexec_b64 s[34:35], vcc
	s_cbranch_execz .LBB2_4902
; %bb.4897:                             ;   in Loop: Header=BB2_4607 Depth=3
	v_and_b32_e32 v1, 0x7c, v14
	v_and_b32_e32 v16, 3, v14
	v_cmp_ne_u32_e32 vcc, s71, v1
                                        ; implicit-def: $vgpr1
	s_and_saveexec_b64 s[36:37], vcc
	s_xor_b64 s[36:37], exec, s[36:37]
	s_cbranch_execz .LBB2_4899
; %bb.4898:                             ;   in Loop: Header=BB2_4607 Depth=3
	v_ffbh_u32_e32 v31, v16
	v_min_u32_e32 v31, 32, v31
	v_and_b32_e32 v1, 0xff, v14
	v_mov_b32_e32 v15, v3
	v_subrev_u32_e32 v39, 29, v31
	v_bfe_u32 v1, v1, 2, 5
	v_lshlrev_b64 v[39:40], v39, v[14:15]
	v_sub_u32_e32 v15, 30, v31
	v_cmp_eq_u32_e32 vcc, 0, v1
	v_and_b32_e32 v31, 3, v39
	v_cndmask_b32_e32 v1, v1, v15, vcc
	v_and_b32_sdwa v14, sext(v14), s80 dst_sel:DWORD dst_unused:UNUSED_PAD src0_sel:WORD_0 src1_sel:DWORD
	v_cndmask_b32_e32 v15, v16, v31, vcc
	v_lshl_add_u32 v1, v1, 23, v14
	v_lshl_or_b32 v1, v15, 21, v1
	v_add_u32_e32 v1, 0x38000000, v1
                                        ; implicit-def: $vgpr16
                                        ; implicit-def: $vgpr14
.LBB2_4899:                             ;   in Loop: Header=BB2_4607 Depth=3
	s_andn2_saveexec_b64 s[36:37], s[36:37]
; %bb.4900:                             ;   in Loop: Header=BB2_4607 Depth=3
	v_cmp_lt_i16_e32 vcc, -1, v14
	v_cndmask_b32_e32 v1, v27, v6, vcc
	v_cmp_eq_u32_e32 vcc, 0, v16
	v_cndmask_b32_e32 v1, v7, v1, vcc
; %bb.4901:                             ;   in Loop: Header=BB2_4607 Depth=3
	s_or_b64 exec, exec, s[36:37]
.LBB2_4902:                             ;   in Loop: Header=BB2_4607 Depth=3
	s_or_b64 exec, exec, s[34:35]
.LBB2_4903:                             ;   in Loop: Header=BB2_4607 Depth=3
	s_or_b64 exec, exec, s[28:29]
	v_mul_f32_e32 v1, v2, v1
	v_and_b32_e32 v14, 0x7f800000, v1
	v_mov_b32_e32 v15, v3
	v_cmp_ne_u64_e32 vcc, s[62:63], v[14:15]
	v_and_b32_e32 v2, 0x7fffff, v1
                                        ; implicit-def: $vgpr15
	s_and_saveexec_b64 s[28:29], vcc
	s_xor_b64 s[34:35], exec, s[28:29]
	s_cbranch_execz .LBB2_4921
; %bb.4904:                             ;   in Loop: Header=BB2_4607 Depth=3
	v_and_b32_e32 v14, 0x7fffffff, v1
	v_mov_b32_e32 v15, v3
	v_cmp_gt_u64_e32 vcc, s[78:79], v[14:15]
	v_and_b32_sdwa v31, v1, s82 dst_sel:DWORD dst_unused:UNUSED_PAD src0_sel:BYTE_3 src1_sel:DWORD
                                        ; implicit-def: $vgpr15
	s_and_saveexec_b64 s[28:29], vcc
	s_xor_b64 s[36:37], exec, s[28:29]
	s_cbranch_execz .LBB2_4918
; %bb.4905:                             ;   in Loop: Header=BB2_4607 Depth=3
	v_cmp_ne_u32_e32 vcc, 0, v1
	v_mov_b32_e32 v15, 0
	s_and_saveexec_b64 s[38:39], vcc
	s_cbranch_execz .LBB2_4917
; %bb.4906:                             ;   in Loop: Header=BB2_4607 Depth=3
	v_bfe_u32 v1, v1, 23, 8
	v_cmp_gt_u32_e64 s[28:29], s44, v1
	v_sub_u32_e32 v14, 0x71, v1
	v_cmp_eq_u32_e32 vcc, 0, v1
	v_cndmask_b32_e64 v14, 0, v14, s[28:29]
	v_mov_b32_e32 v16, 0x70
	v_cndmask_b32_e32 v39, v14, v16, vcc
	v_or_b32_e32 v15, 0x800000, v2
	v_add_u32_e32 v14, 21, v39
	v_cndmask_b32_e32 v2, v15, v2, vcc
	v_lshlrev_b64 v[14:15], v14, -1
	v_add_u32_e32 v16, 20, v39
	v_lshlrev_b64 v[40:41], v16, 1
	v_bfi_b32 v15, v15, 0, 0
	v_bfi_b32 v14, v14, 0, v2
	v_cmp_eq_u64_e64 s[28:29], v[14:15], v[40:41]
	v_lshrrev_b64 v[14:15], v39, v[2:3]
	v_mov_b32_e32 v16, v15
	v_mov_b32_e32 v15, v14
	s_and_saveexec_b64 s[48:49], s[28:29]
; %bb.4907:                             ;   in Loop: Header=BB2_4607 Depth=3
	v_bfe_u32 v2, v14, 21, 1
	v_add_co_u32_e64 v2, s[28:29], v14, v2
	v_add_co_u32_e64 v15, s[28:29], -1, v2
; %bb.4908:                             ;   in Loop: Header=BB2_4607 Depth=3
	s_or_b64 exec, exec, s[48:49]
	v_add_u32_e32 v1, 0xffffff81, v1
	v_mov_b32_e32 v2, 0xffffff82
	v_cndmask_b32_e32 v1, v1, v2, vcc
	v_lshrrev_b32_e32 v2, 23, v14
	v_add3_u32 v39, v39, v1, v2
	v_add_u32_e32 v16, 14, v39
	v_and_b32_e32 v1, 0x1fffff, v15
	v_add_u32_e32 v2, v1, v14
	v_cmp_ne_u32_e32 vcc, 0, v16
                                        ; implicit-def: $vgpr14_vgpr15
                                        ; implicit-def: $vgpr1
	s_and_saveexec_b64 s[28:29], vcc
	s_xor_b64 s[28:29], exec, s[28:29]
; %bb.4909:                             ;   in Loop: Header=BB2_4607 Depth=3
	v_cmp_lt_u64_e32 vcc, s[88:89], v[2:3]
	v_add_u32_e32 v1, 15, v39
	v_cndmask_b32_e64 v14, 0, 1, vcc
	v_lshrrev_b64 v[14:15], v14, v[2:3]
	v_cndmask_b32_e32 v1, v16, v1, vcc
; %bb.4910:                             ;   in Loop: Header=BB2_4607 Depth=3
	s_andn2_saveexec_b64 s[28:29], s[28:29]
; %bb.4911:                             ;   in Loop: Header=BB2_4607 Depth=3
	v_mov_b32_e32 v15, v3
	v_bfe_u32 v1, v2, 23, 1
	v_mov_b32_e32 v14, v2
; %bb.4912:                             ;   in Loop: Header=BB2_4607 Depth=3
	s_or_b64 exec, exec, s[28:29]
	v_lshrrev_b64 v[14:15], 21, v[14:15]
	v_cmp_gt_i32_e32 vcc, 32, v1
	v_cndmask_b32_e32 v15, 0, v15, vcc
	v_cndmask_b32_e32 v14, 3, v14, vcc
	v_cmp_ne_u64_e32 vcc, 0, v[14:15]
	v_cmp_ne_u32_e64 s[28:29], 0, v1
	s_or_b64 s[28:29], s[28:29], vcc
                                        ; implicit-def: $vgpr15
	s_and_saveexec_b64 vcc, s[28:29]
	s_xor_b64 s[28:29], exec, vcc
; %bb.4913:                             ;   in Loop: Header=BB2_4607 Depth=3
	v_min_i32_e32 v1, 31, v1
	v_lshl_or_b32 v1, v1, 2, v31
	v_and_or_b32 v15, v14, 3, v1
                                        ; implicit-def: $vgpr31
; %bb.4914:                             ;   in Loop: Header=BB2_4607 Depth=3
	s_andn2_saveexec_b64 s[28:29], s[28:29]
; %bb.4915:                             ;   in Loop: Header=BB2_4607 Depth=3
	v_mov_b32_e32 v15, v31
; %bb.4916:                             ;   in Loop: Header=BB2_4607 Depth=3
	s_or_b64 exec, exec, s[28:29]
.LBB2_4917:                             ;   in Loop: Header=BB2_4607 Depth=3
	s_or_b64 exec, exec, s[38:39]
                                        ; implicit-def: $vgpr31
.LBB2_4918:                             ;   in Loop: Header=BB2_4607 Depth=3
	s_andn2_saveexec_b64 s[28:29], s[36:37]
; %bb.4919:                             ;   in Loop: Header=BB2_4607 Depth=3
	v_or_b32_e32 v15, 0x7b, v31
; %bb.4920:                             ;   in Loop: Header=BB2_4607 Depth=3
	s_or_b64 exec, exec, s[28:29]
                                        ; implicit-def: $vgpr1
.LBB2_4921:                             ;   in Loop: Header=BB2_4607 Depth=3
	s_andn2_saveexec_b64 s[28:29], s[34:35]
	s_cbranch_execz .LBB2_4606
; %bb.4922:                             ;   in Loop: Header=BB2_4607 Depth=3
	v_cmp_ne_u64_e32 vcc, 0, v[2:3]
                                        ; implicit-def: $vgpr15
	s_and_saveexec_b64 s[34:35], vcc
	s_xor_b64 vcc, exec, s[34:35]
; %bb.4923:                             ;   in Loop: Header=BB2_4607 Depth=3
	v_or_b32_sdwa v15, v1, s81 dst_sel:DWORD dst_unused:UNUSED_PAD src0_sel:BYTE_3 src1_sel:DWORD
                                        ; implicit-def: $vgpr1
; %bb.4924:                             ;   in Loop: Header=BB2_4607 Depth=3
	s_andn2_saveexec_b64 s[34:35], vcc
	s_cbranch_execz .LBB2_4605
; %bb.4925:                             ;   in Loop: Header=BB2_4607 Depth=3
	v_cmp_lt_i32_e32 vcc, -1, v1
	v_cndmask_b32_e32 v15, -4, v49, vcc
	s_branch .LBB2_4605
.LBB2_4926:                             ;   in Loop: Header=BB2_1943 Depth=2
	s_or_b64 exec, exec, s[30:31]
	buffer_load_dword v47, off, s[0:3], s33 offset:168 ; 4-byte Folded Reload
	buffer_load_dword v56, off, s[0:3], s33 offset:172 ; 4-byte Folded Reload
	;; [unrolled: 1-line block ×8, first 2 shown]
.LBB2_4927:                             ;   in Loop: Header=BB2_1943 Depth=2
	s_or_b64 exec, exec, s[42:43]
	v_lshlrev_b32_e32 v1, 9, v37
	v_cmp_ne_u32_e32 vcc, v25, v1
	s_and_b64 exec, exec, vcc
	s_cbranch_execz .LBB2_4971
; %bb.4928:                             ;   in Loop: Header=BB2_1943 Depth=2
	v_add_u32_e32 v2, v36, v5
	v_and_b32_e32 v2, 0xffffffc0, v2
	v_sub_u32_e32 v2, v36, v2
	v_lshlrev_b32_e32 v4, 6, v4
	v_sub_u32_e32 v2, v2, v4
	v_add_u32_e32 v1, v1, v2
	v_sub_u32_e32 v4, v25, v1
	v_cmp_lt_i32_e32 vcc, 0, v4
	s_and_b64 exec, exec, vcc
	s_cbranch_execz .LBB2_4971
; %bb.4929:                             ;   in Loop: Header=BB2_1943 Depth=2
	s_trap 2
	ds_read_b128 v[8:11], v0
	v_add_u32_e32 v5, v1, v24
	ds_read_b64 v[1:2], v0
	v_ashrrev_i32_e32 v13, 31, v5
	s_mov_b64 s[42:43], 0
	s_waitcnt lgkmcnt(0)
	v_add_co_u32_e32 v8, vcc, v8, v5
	v_addc_co_u32_e32 v9, vcc, v9, v13, vcc
	v_add_co_u32_e32 v10, vcc, v10, v5
	v_addc_co_u32_e32 v11, vcc, v11, v13, vcc
	;; [unrolled: 2-line block ×3, first 2 shown]
	s_branch .LBB2_4932
.LBB2_4930:                             ;   in Loop: Header=BB2_4932 Depth=3
	s_or_b64 exec, exec, s[30:31]
.LBB2_4931:                             ;   in Loop: Header=BB2_4932 Depth=3
	s_or_b64 exec, exec, s[28:29]
	v_add_co_u32_e32 v8, vcc, v8, v46
	v_addc_co_u32_e32 v9, vcc, 0, v9, vcc
	v_add_co_u32_e32 v10, vcc, v10, v46
	v_addc_co_u32_e32 v11, vcc, 0, v11, vcc
	v_sub_u32_e32 v4, v4, v46
	v_cmp_gt_i32_e32 vcc, 1, v4
	flat_store_byte v[12:13], v1 glc slc
	s_or_b64 s[42:43], vcc, s[42:43]
	v_add_co_u32_e32 v12, vcc, v12, v46
	v_addc_co_u32_e32 v13, vcc, 0, v13, vcc
	s_andn2_b64 exec, exec, s[42:43]
	s_cbranch_execz .LBB2_4971
.LBB2_4932:                             ;   Parent Loop BB2_47 Depth=1
                                        ;     Parent Loop BB2_1943 Depth=2
                                        ; =>    This Inner Loop Header: Depth=3
	flat_load_sbyte v2, v[8:9] glc slc
	flat_load_sbyte v14, v[10:11] glc slc
	v_mov_b32_e32 v1, 0
	v_mov_b32_e32 v5, 0
	s_waitcnt vmcnt(0) lgkmcnt(0)
	v_cmp_ne_u16_e32 vcc, 0, v2
	s_and_saveexec_b64 s[28:29], vcc
	s_cbranch_execz .LBB2_4940
; %bb.4933:                             ;   in Loop: Header=BB2_4932 Depth=3
	v_cmp_ne_u16_e32 vcc, s70, v2
	v_bfrev_b32_e32 v5, 1
	s_and_saveexec_b64 s[30:31], vcc
	s_cbranch_execz .LBB2_4939
; %bb.4934:                             ;   in Loop: Header=BB2_4932 Depth=3
	v_and_b32_e32 v5, 0x7c, v2
	v_and_b32_e32 v15, 3, v2
	v_cmp_ne_u32_e32 vcc, s71, v5
                                        ; implicit-def: $vgpr5
	s_and_saveexec_b64 s[34:35], vcc
	s_xor_b64 s[34:35], exec, s[34:35]
	s_cbranch_execz .LBB2_4936
; %bb.4935:                             ;   in Loop: Header=BB2_4932 Depth=3
	v_ffbh_u32_e32 v16, v15
	v_min_u32_e32 v18, 32, v16
	v_and_b32_e32 v5, 0xff, v2
	v_subrev_u32_e32 v16, 29, v18
	v_bfe_u32 v5, v5, 2, 5
	v_lshlrev_b64 v[16:17], v16, v[2:3]
	v_sub_u32_e32 v17, 30, v18
	v_cmp_eq_u32_e32 vcc, 0, v5
	v_and_b32_e32 v16, 3, v16
	v_cndmask_b32_e32 v5, v5, v17, vcc
	v_and_b32_sdwa v2, sext(v2), s80 dst_sel:DWORD dst_unused:UNUSED_PAD src0_sel:WORD_0 src1_sel:DWORD
	v_cndmask_b32_e32 v15, v15, v16, vcc
	v_lshl_add_u32 v2, v5, 23, v2
	v_lshl_or_b32 v2, v15, 21, v2
	v_add_u32_e32 v5, 0x38000000, v2
                                        ; implicit-def: $vgpr15
.LBB2_4936:                             ;   in Loop: Header=BB2_4932 Depth=3
	s_andn2_saveexec_b64 s[34:35], s[34:35]
; %bb.4937:                             ;   in Loop: Header=BB2_4932 Depth=3
	v_cmp_lt_i16_e32 vcc, -1, v2
	v_cndmask_b32_e32 v2, v27, v6, vcc
	v_cmp_eq_u32_e32 vcc, 0, v15
	v_cndmask_b32_e32 v5, v7, v2, vcc
; %bb.4938:                             ;   in Loop: Header=BB2_4932 Depth=3
	s_or_b64 exec, exec, s[34:35]
.LBB2_4939:                             ;   in Loop: Header=BB2_4932 Depth=3
	s_or_b64 exec, exec, s[30:31]
.LBB2_4940:                             ;   in Loop: Header=BB2_4932 Depth=3
	s_or_b64 exec, exec, s[28:29]
	v_cmp_ne_u16_e32 vcc, 0, v14
	s_and_saveexec_b64 s[28:29], vcc
	s_cbranch_execz .LBB2_4948
; %bb.4941:                             ;   in Loop: Header=BB2_4932 Depth=3
	v_cmp_ne_u16_e32 vcc, s70, v14
	v_bfrev_b32_e32 v1, 1
	s_and_saveexec_b64 s[30:31], vcc
	s_cbranch_execz .LBB2_4947
; %bb.4942:                             ;   in Loop: Header=BB2_4932 Depth=3
	v_and_b32_e32 v1, 0x7c, v14
	v_and_b32_e32 v2, 3, v14
	v_cmp_ne_u32_e32 vcc, s71, v1
                                        ; implicit-def: $vgpr1
	s_and_saveexec_b64 s[34:35], vcc
	s_xor_b64 s[34:35], exec, s[34:35]
	s_cbranch_execz .LBB2_4944
; %bb.4943:                             ;   in Loop: Header=BB2_4932 Depth=3
	v_ffbh_u32_e32 v17, v2
	v_min_u32_e32 v17, 32, v17
	v_and_b32_e32 v1, 0xff, v14
	v_mov_b32_e32 v15, v3
	v_subrev_u32_e32 v18, 29, v17
	v_bfe_u32 v1, v1, 2, 5
	v_and_b32_sdwa v16, sext(v14), s80 dst_sel:DWORD dst_unused:UNUSED_PAD src0_sel:WORD_0 src1_sel:DWORD
	v_lshlrev_b64 v[14:15], v18, v[14:15]
	v_sub_u32_e32 v15, 30, v17
	v_cmp_eq_u32_e32 vcc, 0, v1
	v_and_b32_e32 v14, 3, v14
	v_cndmask_b32_e32 v1, v1, v15, vcc
	v_cndmask_b32_e32 v2, v2, v14, vcc
	v_lshl_add_u32 v1, v1, 23, v16
	v_lshl_or_b32 v1, v2, 21, v1
	v_add_u32_e32 v1, 0x38000000, v1
                                        ; implicit-def: $vgpr14
                                        ; implicit-def: $vgpr2
.LBB2_4944:                             ;   in Loop: Header=BB2_4932 Depth=3
	s_andn2_saveexec_b64 s[34:35], s[34:35]
; %bb.4945:                             ;   in Loop: Header=BB2_4932 Depth=3
	v_cmp_lt_i16_e32 vcc, -1, v14
	v_cndmask_b32_e32 v1, v27, v6, vcc
	v_cmp_eq_u32_e32 vcc, 0, v2
	v_cndmask_b32_e32 v1, v7, v1, vcc
; %bb.4946:                             ;   in Loop: Header=BB2_4932 Depth=3
	s_or_b64 exec, exec, s[34:35]
.LBB2_4947:                             ;   in Loop: Header=BB2_4932 Depth=3
	s_or_b64 exec, exec, s[30:31]
.LBB2_4948:                             ;   in Loop: Header=BB2_4932 Depth=3
	s_or_b64 exec, exec, s[28:29]
	v_mul_f32_e32 v14, v5, v1
	v_and_b32_e32 v1, 0x7f800000, v14
	v_mov_b32_e32 v2, v3
	v_cmp_ne_u64_e32 vcc, s[62:63], v[1:2]
	v_and_b32_e32 v2, 0x7fffff, v14
                                        ; implicit-def: $vgpr1
	s_and_saveexec_b64 s[28:29], vcc
	s_xor_b64 s[30:31], exec, s[28:29]
	s_cbranch_execz .LBB2_4966
; %bb.4949:                             ;   in Loop: Header=BB2_4932 Depth=3
	v_and_b32_e32 v15, 0x7fffffff, v14
	v_mov_b32_e32 v16, v3
	v_cmp_gt_u64_e32 vcc, s[78:79], v[15:16]
	v_and_b32_sdwa v5, v14, s82 dst_sel:DWORD dst_unused:UNUSED_PAD src0_sel:BYTE_3 src1_sel:DWORD
                                        ; implicit-def: $vgpr1
	s_and_saveexec_b64 s[28:29], vcc
	s_xor_b64 s[34:35], exec, s[28:29]
	s_cbranch_execz .LBB2_4963
; %bb.4950:                             ;   in Loop: Header=BB2_4932 Depth=3
	v_cmp_ne_u32_e32 vcc, 0, v14
	v_mov_b32_e32 v1, 0
	s_and_saveexec_b64 s[36:37], vcc
	s_cbranch_execz .LBB2_4962
; %bb.4951:                             ;   in Loop: Header=BB2_4932 Depth=3
	v_bfe_u32 v1, v14, 23, 8
	v_cmp_gt_u32_e64 s[28:29], s44, v1
	v_sub_u32_e32 v14, 0x71, v1
	v_cmp_eq_u32_e32 vcc, 0, v1
	v_cndmask_b32_e64 v14, 0, v14, s[28:29]
	v_mov_b32_e32 v16, 0x70
	v_cndmask_b32_e32 v17, v14, v16, vcc
	v_or_b32_e32 v15, 0x800000, v2
	v_add_u32_e32 v14, 21, v17
	v_cndmask_b32_e32 v2, v15, v2, vcc
	v_lshlrev_b64 v[14:15], v14, -1
	v_add_u32_e32 v16, 20, v17
	v_lshlrev_b64 v[18:19], v16, 1
	v_bfi_b32 v15, v15, 0, 0
	v_bfi_b32 v14, v14, 0, v2
	v_cmp_eq_u64_e64 s[28:29], v[14:15], v[18:19]
	v_lshrrev_b64 v[14:15], v17, v[2:3]
	v_mov_b32_e32 v16, v15
	v_mov_b32_e32 v15, v14
	s_and_saveexec_b64 s[38:39], s[28:29]
; %bb.4952:                             ;   in Loop: Header=BB2_4932 Depth=3
	v_bfe_u32 v2, v14, 21, 1
	v_add_co_u32_e64 v2, s[28:29], v14, v2
	v_add_co_u32_e64 v15, s[28:29], -1, v2
; %bb.4953:                             ;   in Loop: Header=BB2_4932 Depth=3
	s_or_b64 exec, exec, s[38:39]
	v_add_u32_e32 v1, 0xffffff81, v1
	v_mov_b32_e32 v2, 0xffffff82
	v_cndmask_b32_e32 v1, v1, v2, vcc
	v_lshrrev_b32_e32 v2, 23, v14
	v_add3_u32 v17, v17, v1, v2
	v_add_u32_e32 v1, 14, v17
	v_and_b32_e32 v2, 0x1fffff, v15
	v_add_u32_e32 v2, v2, v14
	v_cmp_ne_u32_e32 vcc, 0, v1
                                        ; implicit-def: $vgpr14_vgpr15
                                        ; implicit-def: $vgpr16
	s_and_saveexec_b64 s[28:29], vcc
	s_xor_b64 s[28:29], exec, s[28:29]
; %bb.4954:                             ;   in Loop: Header=BB2_4932 Depth=3
	v_cmp_lt_u64_e32 vcc, s[88:89], v[2:3]
	v_add_u32_e32 v14, 15, v17
	v_cndmask_b32_e32 v16, v1, v14, vcc
	v_cndmask_b32_e64 v1, 0, 1, vcc
	v_lshrrev_b64 v[14:15], v1, v[2:3]
; %bb.4955:                             ;   in Loop: Header=BB2_4932 Depth=3
	s_andn2_saveexec_b64 s[28:29], s[28:29]
; %bb.4956:                             ;   in Loop: Header=BB2_4932 Depth=3
	v_mov_b32_e32 v15, v3
	v_bfe_u32 v16, v2, 23, 1
	v_mov_b32_e32 v14, v2
; %bb.4957:                             ;   in Loop: Header=BB2_4932 Depth=3
	s_or_b64 exec, exec, s[28:29]
	v_lshrrev_b64 v[1:2], 21, v[14:15]
	v_cmp_gt_i32_e32 vcc, 32, v16
	v_cndmask_b32_e32 v15, 0, v2, vcc
	v_cndmask_b32_e32 v14, 3, v1, vcc
	v_cmp_ne_u64_e32 vcc, 0, v[14:15]
	v_cmp_ne_u32_e64 s[28:29], 0, v16
	s_or_b64 s[28:29], s[28:29], vcc
                                        ; implicit-def: $vgpr1
	s_and_saveexec_b64 vcc, s[28:29]
	s_xor_b64 s[28:29], exec, vcc
; %bb.4958:                             ;   in Loop: Header=BB2_4932 Depth=3
	v_min_i32_e32 v1, 31, v16
	v_lshl_or_b32 v1, v1, 2, v5
	v_and_or_b32 v1, v14, 3, v1
                                        ; implicit-def: $vgpr5
; %bb.4959:                             ;   in Loop: Header=BB2_4932 Depth=3
	s_andn2_saveexec_b64 s[28:29], s[28:29]
; %bb.4960:                             ;   in Loop: Header=BB2_4932 Depth=3
	v_mov_b32_e32 v1, v5
; %bb.4961:                             ;   in Loop: Header=BB2_4932 Depth=3
	s_or_b64 exec, exec, s[28:29]
.LBB2_4962:                             ;   in Loop: Header=BB2_4932 Depth=3
	s_or_b64 exec, exec, s[36:37]
                                        ; implicit-def: $vgpr5
.LBB2_4963:                             ;   in Loop: Header=BB2_4932 Depth=3
	s_andn2_saveexec_b64 s[28:29], s[34:35]
; %bb.4964:                             ;   in Loop: Header=BB2_4932 Depth=3
	v_or_b32_e32 v1, 0x7b, v5
; %bb.4965:                             ;   in Loop: Header=BB2_4932 Depth=3
	s_or_b64 exec, exec, s[28:29]
                                        ; implicit-def: $vgpr14
.LBB2_4966:                             ;   in Loop: Header=BB2_4932 Depth=3
	s_andn2_saveexec_b64 s[28:29], s[30:31]
	s_cbranch_execz .LBB2_4931
; %bb.4967:                             ;   in Loop: Header=BB2_4932 Depth=3
	v_cmp_ne_u64_e32 vcc, 0, v[2:3]
                                        ; implicit-def: $vgpr1
	s_and_saveexec_b64 s[30:31], vcc
	s_xor_b64 vcc, exec, s[30:31]
; %bb.4968:                             ;   in Loop: Header=BB2_4932 Depth=3
	v_or_b32_sdwa v1, v14, s81 dst_sel:DWORD dst_unused:UNUSED_PAD src0_sel:BYTE_3 src1_sel:DWORD
                                        ; implicit-def: $vgpr14
; %bb.4969:                             ;   in Loop: Header=BB2_4932 Depth=3
	s_andn2_saveexec_b64 s[30:31], vcc
	s_cbranch_execz .LBB2_4930
; %bb.4970:                             ;   in Loop: Header=BB2_4932 Depth=3
	v_cmp_lt_i32_e32 vcc, -1, v14
	v_cndmask_b32_e32 v1, -4, v49, vcc
	s_branch .LBB2_4930
.LBB2_4971:                             ;   in Loop: Header=BB2_1943 Depth=2
	s_or_b64 exec, exec, s[40:41]
.LBB2_4972:                             ;   in Loop: Header=BB2_1943 Depth=2
	s_waitcnt vmcnt(0)
	v_cmp_lt_i32_e64 s[28:29], 0, v44
	s_and_saveexec_b64 s[40:41], s[10:11]
	s_cbranch_execz .LBB2_4991
.LBB2_4973:                             ;   in Loop: Header=BB2_1943 Depth=2
	s_and_saveexec_b64 s[42:43], s[58:59]
	s_xor_b64 s[42:43], exec, s[42:43]
	s_cbranch_execz .LBB2_4988
; %bb.4974:                             ;   in Loop: Header=BB2_1943 Depth=2
	s_and_saveexec_b64 s[30:31], s[16:17]
	s_cbranch_execz .LBB2_4987
; %bb.4975:                             ;   in Loop: Header=BB2_1943 Depth=2
	s_mov_b64 s[36:37], exec
	v_mbcnt_lo_u32_b32 v1, s36, 0
	v_mbcnt_hi_u32_b32 v1, s37, v1
	v_cmp_eq_u32_e32 vcc, 0, v1
	s_waitcnt vmcnt(0) lgkmcnt(0)
	buffer_wbinvl1_vol
	s_and_saveexec_b64 s[34:35], vcc
	s_cbranch_execz .LBB2_4977
; %bb.4976:                             ;   in Loop: Header=BB2_1943 Depth=2
	s_bcnt1_i32_b64 s8, s[36:37]
	v_mov_b32_e32 v2, s8
	ds_add_u64 v0, v[2:3]
	s_trap 2
.LBB2_4977:                             ;   in Loop: Header=BB2_1943 Depth=2
	s_or_b64 exec, exec, s[34:35]
	s_trap 2
	ds_read_b64 v[1:2], v0
	s_waitcnt lgkmcnt(0)
	v_add_co_u32_e32 v28, vcc, v28, v35
	v_addc_co_u32_e32 v29, vcc, 0, v29, vcc
	v_cmp_lt_u64_e32 vcc, v[1:2], v[28:29]
	s_and_saveexec_b64 s[34:35], vcc
	s_cbranch_execz .LBB2_4986
; %bb.4978:                             ;   in Loop: Header=BB2_1943 Depth=2
	s_mov_b32 s8, 0
	s_mov_b64 s[36:37], 0
                                        ; implicit-def: $sgpr38_sgpr39
                                        ; implicit-def: $sgpr48_sgpr49
	s_branch .LBB2_4980
.LBB2_4979:                             ;   in Loop: Header=BB2_4980 Depth=3
	s_or_b64 exec, exec, s[52:53]
	s_and_b64 vcc, exec, vcc
	s_or_b64 s[36:37], vcc, s[36:37]
	s_andn2_b64 vcc, s[38:39], exec
	s_and_b64 s[38:39], s[48:49], exec
	s_or_b64 s[38:39], vcc, s[38:39]
	s_andn2_b64 exec, exec, s[36:37]
	s_cbranch_execz .LBB2_4984
.LBB2_4980:                             ;   Parent Loop BB2_47 Depth=1
                                        ;     Parent Loop BB2_1943 Depth=2
                                        ; =>    This Inner Loop Header: Depth=3
	s_add_i32 s8, s8, 1
	s_cmpk_lg_i32 s8, 0x2710
	s_cselect_b64 s[50:51], -1, 0
	s_and_b64 vcc, exec, s[50:51]
	s_cbranch_vccz .LBB2_4982
; %bb.4981:                             ;   in Loop: Header=BB2_4980 Depth=3
	s_mov_b64 vcc, -1
	s_or_b64 s[48:49], s[48:49], exec
	s_and_saveexec_b64 s[52:53], s[50:51]
	s_cbranch_execz .LBB2_4979
	s_branch .LBB2_4983
.LBB2_4982:                             ;   in Loop: Header=BB2_4980 Depth=3
	s_trap 2
	ds_read_b64 v[1:2], v0
	s_andn2_b64 s[50:51], s[50:51], exec
	s_mov_b32 s8, 0
	s_waitcnt lgkmcnt(0)
	flat_load_dword v1, v[1:2] glc
	s_waitcnt vmcnt(0) lgkmcnt(0)
	buffer_wbinvl1_vol
	v_cmp_eq_u32_e32 vcc, 0, v1
	s_and_b64 vcc, vcc, exec
	s_or_b64 s[50:51], s[50:51], vcc
	s_mov_b64 vcc, -1
	s_or_b64 s[48:49], s[48:49], exec
	s_and_saveexec_b64 s[52:53], s[50:51]
	s_cbranch_execz .LBB2_4979
.LBB2_4983:                             ;   in Loop: Header=BB2_4980 Depth=3
	s_sleep 1
	s_trap 2
	ds_read_b64 v[1:2], v0
	s_waitcnt lgkmcnt(0)
	s_andn2_b64 s[48:49], s[48:49], exec
	v_cmp_ge_u64_e32 vcc, v[1:2], v[28:29]
	s_orn2_b64 vcc, vcc, exec
	s_branch .LBB2_4979
.LBB2_4984:                             ;   in Loop: Header=BB2_1943 Depth=2
	s_or_b64 exec, exec, s[36:37]
	s_and_saveexec_b64 vcc, s[38:39]
	s_xor_b64 vcc, exec, vcc
	s_cbranch_execz .LBB2_4986
; %bb.4985:                             ;   in Loop: Header=BB2_1943 Depth=2
	v_mov_b32_e32 v1, 1
	ds_write_b32 v0, v1
	s_trap 2
.LBB2_4986:                             ;   in Loop: Header=BB2_1943 Depth=2
	s_or_b64 exec, exec, s[34:35]
	;;#ASMSTART
	s_wakeup
	;;#ASMEND
.LBB2_4987:                             ;   in Loop: Header=BB2_1943 Depth=2
	s_or_b64 exec, exec, s[30:31]
.LBB2_4988:                             ;   in Loop: Header=BB2_1943 Depth=2
	s_andn2_saveexec_b64 s[42:43], s[42:43]
	s_cbranch_execz .LBB2_4990
; %bb.4989:                             ;   in Loop: Header=BB2_1943 Depth=2
	s_waitcnt vmcnt(0) lgkmcnt(0)
	buffer_wbinvl1_vol
	s_barrier
.LBB2_4990:                             ;   in Loop: Header=BB2_1943 Depth=2
	s_or_b64 exec, exec, s[42:43]
.LBB2_4991:                             ;   in Loop: Header=BB2_1943 Depth=2
	s_or_b64 exec, exec, s[40:41]
	v_and_b32_e32 v4, 16, v38
	s_and_saveexec_b64 s[40:41], s[24:25]
	s_xor_b64 s[40:41], exec, s[40:41]
	s_cbranch_execz .LBB2_4995
; %bb.4992:                             ;   in Loop: Header=BB2_1943 Depth=2
	v_and_b32_e32 v1, 16, v38
	v_cmp_ne_u32_e32 vcc, 0, v1
	v_and_b32_e32 v4, 16, v38
	s_and_b64 s[42:43], vcc, s[28:29]
	s_and_saveexec_b64 s[28:29], s[42:43]
	s_cbranch_execz .LBB2_4994
; %bb.4993:                             ;   in Loop: Header=BB2_1943 Depth=2
	v_mov_b32_e32 v4, 1
	s_waitcnt vmcnt(0) lgkmcnt(0)
	buffer_wbinvl1_vol
.LBB2_4994:                             ;   in Loop: Header=BB2_1943 Depth=2
	s_or_b64 exec, exec, s[28:29]
.LBB2_4995:                             ;   in Loop: Header=BB2_1943 Depth=2
	s_andn2_saveexec_b64 s[28:29], s[40:41]
	s_cbranch_execz .LBB2_5014
; %bb.4996:                             ;   in Loop: Header=BB2_1943 Depth=2
	s_and_saveexec_b64 s[40:41], s[58:59]
	s_xor_b64 s[40:41], exec, s[40:41]
	s_cbranch_execz .LBB2_5011
; %bb.4997:                             ;   in Loop: Header=BB2_1943 Depth=2
	s_and_saveexec_b64 s[42:43], s[16:17]
	s_cbranch_execz .LBB2_5010
; %bb.4998:                             ;   in Loop: Header=BB2_1943 Depth=2
	s_mov_b64 s[34:35], exec
	v_mbcnt_lo_u32_b32 v1, s34, 0
	v_mbcnt_hi_u32_b32 v1, s35, v1
	v_cmp_eq_u32_e32 vcc, 0, v1
	;;#ASMSTART
	s_waitcnt lgkmcnt(0) vmcnt(0)
	;;#ASMEND
	s_and_saveexec_b64 s[30:31], vcc
	s_cbranch_execz .LBB2_5000
; %bb.4999:                             ;   in Loop: Header=BB2_1943 Depth=2
	s_bcnt1_i32_b64 s8, s[34:35]
	v_mov_b32_e32 v2, s8
	s_waitcnt lgkmcnt(0)
	ds_add_u64 v0, v[2:3]
	s_trap 2
.LBB2_5000:                             ;   in Loop: Header=BB2_1943 Depth=2
	s_or_b64 exec, exec, s[30:31]
	s_trap 2
	ds_read_b64 v[1:2], v0
	s_waitcnt lgkmcnt(0)
	v_add_co_u32_e32 v28, vcc, v28, v35
	v_addc_co_u32_e32 v29, vcc, 0, v29, vcc
	v_cmp_lt_u64_e32 vcc, v[1:2], v[28:29]
	s_and_saveexec_b64 s[30:31], vcc
	s_cbranch_execz .LBB2_5009
; %bb.5001:                             ;   in Loop: Header=BB2_1943 Depth=2
	s_mov_b32 s8, 0
	s_mov_b64 s[34:35], 0
                                        ; implicit-def: $sgpr36_sgpr37
                                        ; implicit-def: $sgpr38_sgpr39
	s_branch .LBB2_5003
.LBB2_5002:                             ;   in Loop: Header=BB2_5003 Depth=3
	s_or_b64 exec, exec, s[50:51]
	s_and_b64 vcc, exec, vcc
	s_or_b64 s[34:35], vcc, s[34:35]
	s_andn2_b64 vcc, s[36:37], exec
	s_and_b64 s[36:37], s[38:39], exec
	s_or_b64 s[36:37], vcc, s[36:37]
	s_andn2_b64 exec, exec, s[34:35]
	s_cbranch_execz .LBB2_5007
.LBB2_5003:                             ;   Parent Loop BB2_47 Depth=1
                                        ;     Parent Loop BB2_1943 Depth=2
                                        ; =>    This Inner Loop Header: Depth=3
	s_add_i32 s8, s8, 1
	s_cmpk_lg_i32 s8, 0x2710
	s_cselect_b64 s[48:49], -1, 0
	s_and_b64 vcc, exec, s[48:49]
	s_cbranch_vccz .LBB2_5005
; %bb.5004:                             ;   in Loop: Header=BB2_5003 Depth=3
	s_mov_b64 vcc, -1
	s_or_b64 s[38:39], s[38:39], exec
	s_and_saveexec_b64 s[50:51], s[48:49]
	s_cbranch_execz .LBB2_5002
	s_branch .LBB2_5006
.LBB2_5005:                             ;   in Loop: Header=BB2_5003 Depth=3
	s_trap 2
	ds_read_b64 v[1:2], v0
	s_andn2_b64 s[48:49], s[48:49], exec
	s_mov_b32 s8, 0
	s_waitcnt vmcnt(0) lgkmcnt(0)
	flat_load_dword v1, v[1:2] glc
	s_waitcnt vmcnt(0) lgkmcnt(0)
	buffer_wbinvl1_vol
	v_cmp_eq_u32_e32 vcc, 0, v1
	s_and_b64 vcc, vcc, exec
	s_or_b64 s[48:49], s[48:49], vcc
	s_mov_b64 vcc, -1
	s_or_b64 s[38:39], s[38:39], exec
	s_and_saveexec_b64 s[50:51], s[48:49]
	s_cbranch_execz .LBB2_5002
.LBB2_5006:                             ;   in Loop: Header=BB2_5003 Depth=3
	s_sleep 1
	s_trap 2
	ds_read_b64 v[1:2], v0
	s_waitcnt lgkmcnt(0)
	s_andn2_b64 s[38:39], s[38:39], exec
	v_cmp_ge_u64_e32 vcc, v[1:2], v[28:29]
	s_orn2_b64 vcc, vcc, exec
	s_branch .LBB2_5002
.LBB2_5007:                             ;   in Loop: Header=BB2_1943 Depth=2
	s_or_b64 exec, exec, s[34:35]
	s_and_saveexec_b64 vcc, s[36:37]
	s_xor_b64 vcc, exec, vcc
	s_cbranch_execz .LBB2_5009
; %bb.5008:                             ;   in Loop: Header=BB2_1943 Depth=2
	v_mov_b32_e32 v1, 1
	ds_write_b32 v0, v1
	s_trap 2
.LBB2_5009:                             ;   in Loop: Header=BB2_1943 Depth=2
	s_or_b64 exec, exec, s[30:31]
	;;#ASMSTART
	s_wakeup
	;;#ASMEND
.LBB2_5010:                             ;   in Loop: Header=BB2_1943 Depth=2
	s_or_b64 exec, exec, s[42:43]
.LBB2_5011:                             ;   in Loop: Header=BB2_1943 Depth=2
	s_andn2_saveexec_b64 s[40:41], s[40:41]
	s_cbranch_execz .LBB2_5013
; %bb.5012:                             ;   in Loop: Header=BB2_1943 Depth=2
	;;#ASMSTART
	s_waitcnt lgkmcnt(0) vmcnt(0)
	;;#ASMEND
	s_waitcnt vmcnt(0) lgkmcnt(0)
	s_barrier
.LBB2_5013:                             ;   in Loop: Header=BB2_1943 Depth=2
	s_or_b64 exec, exec, s[40:41]
.LBB2_5014:                             ;   in Loop: Header=BB2_1943 Depth=2
	s_or_b64 exec, exec, s[28:29]
	v_cmp_ne_u32_e32 vcc, 0, v4
	s_xor_b64 s[28:29], s[12:13], -1
	s_and_b64 s[40:41], vcc, s[28:29]
	s_and_saveexec_b64 s[28:29], s[40:41]
	s_cbranch_execz .LBB2_5016
; %bb.5015:                             ;   in Loop: Header=BB2_1943 Depth=2
	buffer_load_dword v1, off, s[0:3], s33 offset:92 ; 4-byte Folded Reload
	buffer_load_dword v2, off, s[0:3], s33 offset:96 ; 4-byte Folded Reload
	v_mov_b32_e32 v4, 1
	s_waitcnt vmcnt(0)
	flat_store_dword v[1:2], v4
.LBB2_5016:                             ;   in Loop: Header=BB2_1943 Depth=2
	s_or_b64 exec, exec, s[28:29]
	v_and_b32_e32 v1, 48, v38
	v_cmp_ne_u32_e32 vcc, 0, v1
	s_and_saveexec_b64 s[28:29], vcc
	s_cbranch_execz .LBB2_1942
; %bb.5017:                             ;   in Loop: Header=BB2_1943 Depth=2
	v_add_co_u32_e32 v50, vcc, 2, v50
	v_addc_co_u32_e32 v51, vcc, 0, v51, vcc
	flat_store_dwordx2 v[22:23], v[50:51]
	s_branch .LBB2_1942
.LBB2_5018:                             ;   in Loop: Header=BB2_47 Depth=1
	s_or_b64 exec, exec, s[92:93]
.LBB2_5019:                             ;   in Loop: Header=BB2_47 Depth=1
	s_or_b64 exec, exec, s[90:91]
	v_cmp_gt_i32_e32 vcc, 2, v1
	s_and_saveexec_b64 s[40:41], vcc
	s_cbranch_execz .LBB2_5095
; %bb.5020:                             ;   in Loop: Header=BB2_47 Depth=1
	buffer_load_dword v14, off, s[0:3], s33 offset:156 ; 4-byte Folded Reload
	buffer_load_dword v15, off, s[0:3], s33 offset:160 ; 4-byte Folded Reload
	v_cmp_eq_u32_e64 s[90:91], 0, v1
	s_mov_b64 s[42:43], 0
	s_branch .LBB2_5022
.LBB2_5021:                             ;   in Loop: Header=BB2_5022 Depth=2
	s_or_b64 exec, exec, s[28:29]
	v_add_u32_e32 v54, v14, v54
	s_mov_b64 s[90:91], 0
	s_andn2_b64 exec, exec, s[42:43]
	s_cbranch_execz .LBB2_5094
.LBB2_5022:                             ;   Parent Loop BB2_47 Depth=1
                                        ; =>  This Loop Header: Depth=2
                                        ;       Child Loop BB2_5028 Depth 3
                                        ;       Child Loop BB2_5056 Depth 3
                                        ;       Child Loop BB2_5079 Depth 3
	v_sub_u32_e32 v1, v45, v54
	s_waitcnt vmcnt(0)
	v_min_i32_e32 v14, v14, v1
	v_and_b32_e32 v1, 12, v38
	v_cmp_ne_u32_e32 vcc, 0, v1
	s_and_saveexec_b64 s[92:93], vcc
	s_cbranch_execz .LBB2_5048
; %bb.5023:                             ;   in Loop: Header=BB2_5022 Depth=2
	v_and_b32_e32 v2, 8, v38
	s_waitcnt lgkmcnt(0)
	v_add_co_u32_e32 v4, vcc, v32, v2
	v_addc_co_u32_e32 v5, vcc, 0, v33, vcc
	v_add_co_u32_e32 v8, vcc, 2, v50
	v_addc_co_u32_e32 v9, vcc, 0, v51, vcc
	v_cmp_lt_u64_e32 vcc, v[4:5], v[8:9]
	s_and_saveexec_b64 s[94:95], vcc
	s_cbranch_execz .LBB2_5035
; %bb.5024:                             ;   in Loop: Header=BB2_5022 Depth=2
	v_and_b32_e32 v1, 64, v38
	s_mov_b32 s8, 0
	v_cmp_eq_u32_e32 vcc, 0, v1
	s_mov_b64 s[30:31], 0
                                        ; implicit-def: $sgpr34_sgpr35
                                        ; implicit-def: $sgpr36_sgpr37
                                        ; implicit-def: $sgpr38_sgpr39
	s_branch .LBB2_5028
.LBB2_5025:                             ;   in Loop: Header=BB2_5028 Depth=3
	s_waitcnt vmcnt(0) lgkmcnt(0)
	v_add_co_u32_e64 v4, s[28:29], v32, v2
	v_addc_co_u32_e64 v5, s[28:29], 0, v33, s[28:29]
	v_cmp_ge_u64_e64 s[28:29], v[4:5], v[8:9]
	s_or_b64 s[52:53], s[52:53], exec
	s_orn2_b64 s[50:51], s[28:29], exec
.LBB2_5026:                             ;   in Loop: Header=BB2_5028 Depth=3
	s_or_b64 exec, exec, s[64:65]
	s_andn2_b64 s[28:29], s[38:39], exec
	s_and_b64 s[38:39], s[52:53], exec
	s_or_b64 s[38:39], s[28:29], s[38:39]
	s_andn2_b64 s[28:29], s[36:37], exec
	s_and_b64 s[36:37], s[50:51], exec
	s_or_b64 s[36:37], s[28:29], s[36:37]
.LBB2_5027:                             ;   in Loop: Header=BB2_5028 Depth=3
	s_or_b64 exec, exec, s[48:49]
	s_and_b64 s[28:29], exec, s[36:37]
	s_or_b64 s[30:31], s[28:29], s[30:31]
	s_andn2_b64 s[28:29], s[34:35], exec
	s_and_b64 s[34:35], s[38:39], exec
	s_or_b64 s[34:35], s[28:29], s[34:35]
	s_andn2_b64 exec, exec, s[30:31]
	s_cbranch_execz .LBB2_5032
.LBB2_5028:                             ;   Parent Loop BB2_47 Depth=1
                                        ;     Parent Loop BB2_5022 Depth=2
                                        ; =>    This Inner Loop Header: Depth=3
	s_sleep 1
	s_waitcnt vmcnt(0) lgkmcnt(0)
	flat_load_dwordx2 v[32:33], v[22:23] glc
	s_or_b64 s[38:39], s[38:39], exec
	s_or_b64 s[36:37], s[36:37], exec
                                        ; implicit-def: $vgpr1
	s_and_saveexec_b64 s[48:49], vcc
	s_cbranch_execz .LBB2_5027
; %bb.5029:                             ;   in Loop: Header=BB2_5028 Depth=3
	s_cmpk_lt_i32 s8, 0x270f
	s_cselect_b64 s[54:55], -1, 0
	s_cmpk_gt_i32 s8, 0x270e
	s_mov_b64 s[50:51], -1
	s_cbranch_scc0 .LBB2_5031
; %bb.5030:                             ;   in Loop: Header=BB2_5028 Depth=3
	s_trap 2
	ds_read_b64 v[4:5], v0
	s_andn2_b64 s[54:55], s[54:55], exec
	s_mov_b32 s8, 0
	s_mov_b64 s[52:53], 0
	s_waitcnt vmcnt(0) lgkmcnt(0)
	flat_load_dword v1, v[4:5] glc
	s_waitcnt vmcnt(0) lgkmcnt(0)
	buffer_wbinvl1_vol
	v_cmp_eq_u32_e64 s[28:29], 0, v1
	s_and_b64 s[28:29], s[28:29], exec
	s_or_b64 s[54:55], s[54:55], s[28:29]
	s_and_saveexec_b64 s[64:65], s[54:55]
	s_cbranch_execz .LBB2_5026
	s_branch .LBB2_5025
.LBB2_5031:                             ;   in Loop: Header=BB2_5028 Depth=3
	s_add_i32 s8, s8, 1
	s_mov_b64 s[52:53], -1
                                        ; implicit-def: $vgpr1
	s_and_saveexec_b64 s[64:65], s[54:55]
	s_cbranch_execz .LBB2_5026
	s_branch .LBB2_5025
.LBB2_5032:                             ;   in Loop: Header=BB2_5022 Depth=2
	s_or_b64 exec, exec, s[30:31]
	s_xor_b64 s[8:9], s[34:35], -1
	s_and_saveexec_b64 s[28:29], s[8:9]
	s_xor_b64 s[28:29], exec, s[28:29]
	s_cbranch_execz .LBB2_5034
; %bb.5033:                             ;   in Loop: Header=BB2_5022 Depth=2
	v_or_b32_e32 v38, 64, v38
	s_waitcnt lgkmcnt(0)
	ds_write_b32 v0, v1
	s_trap 2
.LBB2_5034:                             ;   in Loop: Header=BB2_5022 Depth=2
	s_or_b64 exec, exec, s[28:29]
.LBB2_5035:                             ;   in Loop: Header=BB2_5022 Depth=2
	s_or_b64 exec, exec, s[94:95]
	v_and_b32_e32 v1, 0x108, v38
	v_cmp_ne_u32_e32 vcc, s69, v1
	;;#ASMSTART
	s_wakeup
	;;#ASMEND
	s_and_saveexec_b64 s[8:9], vcc
	s_xor_b64 s[28:29], exec, s[8:9]
                                        ; implicit-def: $vgpr1
; %bb.5036:                             ;   in Loop: Header=BB2_5022 Depth=2
	v_and_b32_e32 v1, 7, v50
                                        ; implicit-def: $vgpr50_vgpr51
; %bb.5037:                             ;   in Loop: Header=BB2_5022 Depth=2
	s_andn2_saveexec_b64 s[28:29], s[28:29]
	s_cbranch_execz .LBB2_5039
; %bb.5038:                             ;   in Loop: Header=BB2_5022 Depth=2
	buffer_load_dword v10, off, s[0:3], s33 offset:76 ; 4-byte Folded Reload
	buffer_load_dword v11, off, s[0:3], s33 offset:80 ; 4-byte Folded Reload
	;; [unrolled: 1-line block ×4, first 2 shown]
	v_and_b32_e32 v1, 7, v50
	s_waitcnt vmcnt(0)
	v_mad_u64_u32 v[4:5], s[8:9], v1, 24, v[10:11]
	v_mov_b32_e32 v10, v14
	v_ashrrev_i32_e32 v11, 31, v10
	flat_store_dwordx2 v[4:5], v[10:11] offset:8
.LBB2_5039:                             ;   in Loop: Header=BB2_5022 Depth=2
	s_or_b64 exec, exec, s[28:29]
	v_and_b32_e32 v4, 0x100, v38
	v_cmp_ne_u32_e32 vcc, 0, v4
	s_mov_b64 s[28:29], -1
                                        ; implicit-def: $vgpr10_vgpr11
	s_and_saveexec_b64 s[94:95], vcc
	s_cbranch_execz .LBB2_5043
; %bb.5040:                             ;   in Loop: Header=BB2_5022 Depth=2
	buffer_load_dword v10, off, s[0:3], s33 offset:76 ; 4-byte Folded Reload
	buffer_load_dword v11, off, s[0:3], s33 offset:80 ; 4-byte Folded Reload
	;; [unrolled: 1-line block ×4, first 2 shown]
	s_waitcnt vmcnt(0)
	v_mad_u64_u32 v[4:5], s[8:9], v1, 24, v[10:11]
	v_mad_u64_u32 v[10:11], s[8:9], v3, 24, v[5:6]
	v_mov_b32_e32 v5, v10
	flat_load_dword v10, v[4:5]
	s_waitcnt vmcnt(0) lgkmcnt(0)
	v_cmp_ne_u32_e32 vcc, 1, v10
	v_cmp_eq_u32_e64 s[28:29], 1, v10
                                        ; implicit-def: $vgpr10_vgpr11
	s_and_saveexec_b64 s[30:31], s[28:29]
	s_cbranch_execz .LBB2_5042
; %bb.5041:                             ;   in Loop: Header=BB2_5022 Depth=2
	flat_load_dword v10, v[4:5] offset:4 glc
	s_waitcnt vmcnt(0) lgkmcnt(0)
	v_ashrrev_i32_e32 v11, 31, v10
.LBB2_5042:                             ;   in Loop: Header=BB2_5022 Depth=2
	s_or_b64 exec, exec, s[30:31]
	s_orn2_b64 s[28:29], vcc, exec
.LBB2_5043:                             ;   in Loop: Header=BB2_5022 Depth=2
	s_or_b64 exec, exec, s[94:95]
	s_and_saveexec_b64 s[94:95], s[28:29]
	s_cbranch_execz .LBB2_5045
; %bb.5044:                             ;   in Loop: Header=BB2_5022 Depth=2
	v_mul_lo_u32 v4, v3, v56
	v_mul_lo_u32 v5, v1, v43
	v_mad_u64_u32 v[10:11], s[8:9], v1, v56, 0
	v_add3_u32 v11, v11, v5, v4
.LBB2_5045:                             ;   in Loop: Header=BB2_5022 Depth=2
	s_or_b64 exec, exec, s[94:95]
	v_cmp_eq_u32_e32 vcc, 0, v2
	v_mov_b32_e32 v1, 0x90
	v_mov_b32_e32 v2, 0xd0
	v_cndmask_b32_e32 v4, v2, v1, vcc
	buffer_load_dword v1, off, s[0:3], s33 offset:68 ; 4-byte Folded Reload
	buffer_load_dword v2, off, s[0:3], s33 offset:72 ; 4-byte Folded Reload
	v_add_u32_e32 v4, v0, v4
	s_waitcnt vmcnt(0)
	v_add_co_u32_e32 v1, vcc, v1, v10
	v_addc_co_u32_e32 v2, vcc, v2, v11, vcc
	ds_write_b64 v4, v[1:2] offset:584
	v_and_b32_e32 v1, 0x2000, v38
	v_cmp_ne_u32_e32 vcc, 0, v1
	s_and_saveexec_b64 s[28:29], vcc
	s_cbranch_execz .LBB2_5047
; %bb.5046:                             ;   in Loop: Header=BB2_5022 Depth=2
	ds_read_b64 v[1:2], v0 offset:872
	s_waitcnt lgkmcnt(0)
	v_add_co_u32_e32 v1, vcc, 1, v1
	v_addc_co_u32_e32 v2, vcc, 0, v2, vcc
	ds_write_b64 v0, v[1:2] offset:872
.LBB2_5047:                             ;   in Loop: Header=BB2_5022 Depth=2
	s_or_b64 exec, exec, s[28:29]
	v_mov_b32_e32 v51, v9
	v_mov_b32_e32 v50, v8
.LBB2_5048:                             ;   in Loop: Header=BB2_5022 Depth=2
	s_or_b64 exec, exec, s[92:93]
	s_xor_b64 s[8:9], s[90:91], -1
	s_and_b64 s[8:9], exec, s[8:9]
	s_or_b64 s[42:43], s[8:9], s[42:43]
	s_and_saveexec_b64 s[28:29], s[10:11]
	s_cbranch_execz .LBB2_5067
; %bb.5049:                             ;   in Loop: Header=BB2_5022 Depth=2
	s_and_saveexec_b64 s[8:9], s[58:59]
	s_xor_b64 s[90:91], exec, s[8:9]
	s_cbranch_execz .LBB2_5064
; %bb.5050:                             ;   in Loop: Header=BB2_5022 Depth=2
	s_and_saveexec_b64 s[92:93], s[16:17]
	s_cbranch_execz .LBB2_5063
; %bb.5051:                             ;   in Loop: Header=BB2_5022 Depth=2
	s_mov_b64 s[30:31], exec
	v_mbcnt_lo_u32_b32 v1, s30, 0
	v_mbcnt_hi_u32_b32 v1, s31, v1
	v_cmp_eq_u32_e32 vcc, 0, v1
	s_waitcnt lgkmcnt(0)
	buffer_wbinvl1_vol
	s_and_saveexec_b64 s[94:95], vcc
	s_cbranch_execz .LBB2_5053
; %bb.5052:                             ;   in Loop: Header=BB2_5022 Depth=2
	s_bcnt1_i32_b64 s8, s[30:31]
	v_mov_b32_e32 v2, s8
	ds_add_u64 v0, v[2:3]
	s_trap 2
.LBB2_5053:                             ;   in Loop: Header=BB2_5022 Depth=2
	s_or_b64 exec, exec, s[94:95]
	s_trap 2
	ds_read_b64 v[1:2], v0
	s_waitcnt lgkmcnt(0)
	v_add_co_u32_e32 v28, vcc, v28, v35
	v_addc_co_u32_e32 v29, vcc, 0, v29, vcc
	v_cmp_lt_u64_e32 vcc, v[1:2], v[28:29]
	s_and_saveexec_b64 s[94:95], vcc
	s_cbranch_execz .LBB2_5062
; %bb.5054:                             ;   in Loop: Header=BB2_5022 Depth=2
	s_mov_b32 s8, 0
	s_mov_b64 s[30:31], 0
                                        ; implicit-def: $sgpr34_sgpr35
                                        ; implicit-def: $sgpr36_sgpr37
	s_branch .LBB2_5056
.LBB2_5055:                             ;   in Loop: Header=BB2_5056 Depth=3
	s_or_b64 exec, exec, s[48:49]
	s_and_b64 vcc, exec, vcc
	s_or_b64 s[30:31], vcc, s[30:31]
	s_andn2_b64 vcc, s[34:35], exec
	s_and_b64 s[34:35], s[36:37], exec
	s_or_b64 s[34:35], vcc, s[34:35]
	s_andn2_b64 exec, exec, s[30:31]
	s_cbranch_execz .LBB2_5060
.LBB2_5056:                             ;   Parent Loop BB2_47 Depth=1
                                        ;     Parent Loop BB2_5022 Depth=2
                                        ; =>    This Inner Loop Header: Depth=3
	s_add_i32 s8, s8, 1
	s_cmpk_lg_i32 s8, 0x2710
	s_cselect_b64 s[38:39], -1, 0
	s_and_b64 vcc, exec, s[38:39]
	s_cbranch_vccz .LBB2_5058
; %bb.5057:                             ;   in Loop: Header=BB2_5056 Depth=3
	s_mov_b64 vcc, -1
	s_or_b64 s[36:37], s[36:37], exec
	s_and_saveexec_b64 s[48:49], s[38:39]
	s_cbranch_execz .LBB2_5055
	s_branch .LBB2_5059
.LBB2_5058:                             ;   in Loop: Header=BB2_5056 Depth=3
	s_trap 2
	ds_read_b64 v[1:2], v0
	s_andn2_b64 s[38:39], s[38:39], exec
	s_mov_b32 s8, 0
	s_waitcnt lgkmcnt(0)
	flat_load_dword v1, v[1:2] glc
	s_waitcnt vmcnt(0) lgkmcnt(0)
	buffer_wbinvl1_vol
	v_cmp_eq_u32_e32 vcc, 0, v1
	s_and_b64 vcc, vcc, exec
	s_or_b64 s[38:39], s[38:39], vcc
	s_mov_b64 vcc, -1
	s_or_b64 s[36:37], s[36:37], exec
	s_and_saveexec_b64 s[48:49], s[38:39]
	s_cbranch_execz .LBB2_5055
.LBB2_5059:                             ;   in Loop: Header=BB2_5056 Depth=3
	s_sleep 1
	s_trap 2
	ds_read_b64 v[1:2], v0
	s_waitcnt lgkmcnt(0)
	s_andn2_b64 s[36:37], s[36:37], exec
	v_cmp_ge_u64_e32 vcc, v[1:2], v[28:29]
	s_orn2_b64 vcc, vcc, exec
	s_branch .LBB2_5055
.LBB2_5060:                             ;   in Loop: Header=BB2_5022 Depth=2
	s_or_b64 exec, exec, s[30:31]
	s_and_saveexec_b64 s[8:9], s[34:35]
	s_xor_b64 s[8:9], exec, s[8:9]
	s_cbranch_execz .LBB2_5062
; %bb.5061:                             ;   in Loop: Header=BB2_5022 Depth=2
	v_mov_b32_e32 v1, 1
	ds_write_b32 v0, v1
	s_trap 2
.LBB2_5062:                             ;   in Loop: Header=BB2_5022 Depth=2
	s_or_b64 exec, exec, s[94:95]
	;;#ASMSTART
	s_wakeup
	;;#ASMEND
.LBB2_5063:                             ;   in Loop: Header=BB2_5022 Depth=2
	s_or_b64 exec, exec, s[92:93]
.LBB2_5064:                             ;   in Loop: Header=BB2_5022 Depth=2
	s_andn2_saveexec_b64 s[90:91], s[90:91]
	s_cbranch_execz .LBB2_5066
; %bb.5065:                             ;   in Loop: Header=BB2_5022 Depth=2
	s_waitcnt lgkmcnt(0)
	buffer_wbinvl1_vol
	s_barrier
.LBB2_5066:                             ;   in Loop: Header=BB2_5022 Depth=2
	s_or_b64 exec, exec, s[90:91]
.LBB2_5067:                             ;   in Loop: Header=BB2_5022 Depth=2
	s_or_b64 exec, exec, s[28:29]
	v_and_b32_e32 v4, 16, v38
	s_and_saveexec_b64 s[8:9], s[24:25]
	s_xor_b64 s[28:29], exec, s[8:9]
	s_cbranch_execz .LBB2_5071
; %bb.5068:                             ;   in Loop: Header=BB2_5022 Depth=2
	s_trap 2
	ds_read_b32 v1, v0
	v_cmp_lt_i32_e32 vcc, 0, v14
	v_and_b32_e32 v4, 16, v38
	s_waitcnt lgkmcnt(0)
	v_readfirstlane_b32 s8, v1
	s_cmp_eq_u32 s8, 0
	s_cselect_b64 s[8:9], -1, 0
	v_and_b32_e32 v1, 16, v38
	s_and_b64 s[8:9], vcc, s[8:9]
	v_cmp_ne_u32_e32 vcc, 0, v1
	s_and_b64 s[8:9], vcc, s[8:9]
	s_and_saveexec_b64 s[90:91], s[8:9]
	s_cbranch_execz .LBB2_5070
; %bb.5069:                             ;   in Loop: Header=BB2_5022 Depth=2
	v_mov_b32_e32 v4, 1
	buffer_wbinvl1_vol
.LBB2_5070:                             ;   in Loop: Header=BB2_5022 Depth=2
	s_or_b64 exec, exec, s[90:91]
.LBB2_5071:                             ;   in Loop: Header=BB2_5022 Depth=2
	s_andn2_saveexec_b64 s[28:29], s[28:29]
	s_cbranch_execz .LBB2_5090
; %bb.5072:                             ;   in Loop: Header=BB2_5022 Depth=2
	s_and_saveexec_b64 s[8:9], s[58:59]
	s_xor_b64 s[90:91], exec, s[8:9]
	s_cbranch_execz .LBB2_5087
; %bb.5073:                             ;   in Loop: Header=BB2_5022 Depth=2
	s_and_saveexec_b64 s[92:93], s[16:17]
	s_cbranch_execz .LBB2_5086
; %bb.5074:                             ;   in Loop: Header=BB2_5022 Depth=2
	s_mov_b64 s[30:31], exec
	v_mbcnt_lo_u32_b32 v1, s30, 0
	v_mbcnt_hi_u32_b32 v1, s31, v1
	v_cmp_eq_u32_e32 vcc, 0, v1
	;;#ASMSTART
	s_waitcnt lgkmcnt(0) vmcnt(0)
	;;#ASMEND
	s_and_saveexec_b64 s[94:95], vcc
	s_cbranch_execz .LBB2_5076
; %bb.5075:                             ;   in Loop: Header=BB2_5022 Depth=2
	s_bcnt1_i32_b64 s8, s[30:31]
	v_mov_b32_e32 v2, s8
	s_waitcnt lgkmcnt(0)
	ds_add_u64 v0, v[2:3]
	s_trap 2
.LBB2_5076:                             ;   in Loop: Header=BB2_5022 Depth=2
	s_or_b64 exec, exec, s[94:95]
	s_trap 2
	ds_read_b64 v[1:2], v0
	s_waitcnt lgkmcnt(0)
	v_add_co_u32_e32 v28, vcc, v28, v35
	v_addc_co_u32_e32 v29, vcc, 0, v29, vcc
	v_cmp_lt_u64_e32 vcc, v[1:2], v[28:29]
	s_and_saveexec_b64 s[94:95], vcc
	s_cbranch_execz .LBB2_5085
; %bb.5077:                             ;   in Loop: Header=BB2_5022 Depth=2
	s_mov_b32 s8, 0
	s_mov_b64 s[30:31], 0
                                        ; implicit-def: $sgpr34_sgpr35
                                        ; implicit-def: $sgpr36_sgpr37
	s_branch .LBB2_5079
.LBB2_5078:                             ;   in Loop: Header=BB2_5079 Depth=3
	s_or_b64 exec, exec, s[48:49]
	s_and_b64 vcc, exec, vcc
	s_or_b64 s[30:31], vcc, s[30:31]
	s_andn2_b64 vcc, s[34:35], exec
	s_and_b64 s[34:35], s[36:37], exec
	s_or_b64 s[34:35], vcc, s[34:35]
	s_andn2_b64 exec, exec, s[30:31]
	s_cbranch_execz .LBB2_5083
.LBB2_5079:                             ;   Parent Loop BB2_47 Depth=1
                                        ;     Parent Loop BB2_5022 Depth=2
                                        ; =>    This Inner Loop Header: Depth=3
	s_add_i32 s8, s8, 1
	s_cmpk_lg_i32 s8, 0x2710
	s_cselect_b64 s[38:39], -1, 0
	s_and_b64 vcc, exec, s[38:39]
	s_cbranch_vccz .LBB2_5081
; %bb.5080:                             ;   in Loop: Header=BB2_5079 Depth=3
	s_mov_b64 vcc, -1
	s_or_b64 s[36:37], s[36:37], exec
	s_and_saveexec_b64 s[48:49], s[38:39]
	s_cbranch_execz .LBB2_5078
	s_branch .LBB2_5082
.LBB2_5081:                             ;   in Loop: Header=BB2_5079 Depth=3
	s_trap 2
	ds_read_b64 v[1:2], v0
	s_andn2_b64 s[38:39], s[38:39], exec
	s_mov_b32 s8, 0
	s_waitcnt lgkmcnt(0)
	flat_load_dword v1, v[1:2] glc
	s_waitcnt vmcnt(0) lgkmcnt(0)
	buffer_wbinvl1_vol
	v_cmp_eq_u32_e32 vcc, 0, v1
	s_and_b64 vcc, vcc, exec
	s_or_b64 s[38:39], s[38:39], vcc
	s_mov_b64 vcc, -1
	s_or_b64 s[36:37], s[36:37], exec
	s_and_saveexec_b64 s[48:49], s[38:39]
	s_cbranch_execz .LBB2_5078
.LBB2_5082:                             ;   in Loop: Header=BB2_5079 Depth=3
	s_sleep 1
	s_trap 2
	ds_read_b64 v[1:2], v0
	s_waitcnt lgkmcnt(0)
	s_andn2_b64 s[36:37], s[36:37], exec
	v_cmp_ge_u64_e32 vcc, v[1:2], v[28:29]
	s_orn2_b64 vcc, vcc, exec
	s_branch .LBB2_5078
.LBB2_5083:                             ;   in Loop: Header=BB2_5022 Depth=2
	s_or_b64 exec, exec, s[30:31]
	s_and_saveexec_b64 s[8:9], s[34:35]
	s_xor_b64 s[8:9], exec, s[8:9]
	s_cbranch_execz .LBB2_5085
; %bb.5084:                             ;   in Loop: Header=BB2_5022 Depth=2
	v_mov_b32_e32 v1, 1
	ds_write_b32 v0, v1
	s_trap 2
.LBB2_5085:                             ;   in Loop: Header=BB2_5022 Depth=2
	s_or_b64 exec, exec, s[94:95]
	;;#ASMSTART
	s_wakeup
	;;#ASMEND
.LBB2_5086:                             ;   in Loop: Header=BB2_5022 Depth=2
	s_or_b64 exec, exec, s[92:93]
.LBB2_5087:                             ;   in Loop: Header=BB2_5022 Depth=2
	s_andn2_saveexec_b64 s[90:91], s[90:91]
	s_cbranch_execz .LBB2_5089
; %bb.5088:                             ;   in Loop: Header=BB2_5022 Depth=2
	;;#ASMSTART
	s_waitcnt lgkmcnt(0) vmcnt(0)
	;;#ASMEND
	s_waitcnt lgkmcnt(0)
	s_barrier
.LBB2_5089:                             ;   in Loop: Header=BB2_5022 Depth=2
	s_or_b64 exec, exec, s[90:91]
.LBB2_5090:                             ;   in Loop: Header=BB2_5022 Depth=2
	s_or_b64 exec, exec, s[28:29]
	v_cmp_ne_u32_e32 vcc, 0, v4
	s_xor_b64 s[8:9], s[12:13], -1
	s_and_b64 s[8:9], vcc, s[8:9]
	s_and_saveexec_b64 s[28:29], s[8:9]
	s_cbranch_execz .LBB2_5092
; %bb.5091:                             ;   in Loop: Header=BB2_5022 Depth=2
	buffer_load_dword v1, off, s[0:3], s33 offset:92 ; 4-byte Folded Reload
	buffer_load_dword v2, off, s[0:3], s33 offset:96 ; 4-byte Folded Reload
	v_mov_b32_e32 v4, 1
	s_waitcnt vmcnt(0)
	flat_store_dword v[1:2], v4
.LBB2_5092:                             ;   in Loop: Header=BB2_5022 Depth=2
	s_or_b64 exec, exec, s[28:29]
	v_and_b32_e32 v1, 48, v38
	v_cmp_ne_u32_e32 vcc, 0, v1
	s_and_saveexec_b64 s[28:29], vcc
	s_cbranch_execz .LBB2_5021
; %bb.5093:                             ;   in Loop: Header=BB2_5022 Depth=2
	v_add_co_u32_e32 v50, vcc, 2, v50
	v_addc_co_u32_e32 v51, vcc, 0, v51, vcc
	flat_store_dwordx2 v[22:23], v[50:51]
	s_branch .LBB2_5021
.LBB2_5094:                             ;   in Loop: Header=BB2_47 Depth=1
	s_or_b64 exec, exec, s[42:43]
.LBB2_5095:                             ;   in Loop: Header=BB2_47 Depth=1
	s_or_b64 exec, exec, s[40:41]
	buffer_load_dword v36, off, s[0:3], s33 offset:120 ; 4-byte Folded Reload
	buffer_load_dword v37, off, s[0:3], s33 offset:124 ; 4-byte Folded Reload
	;; [unrolled: 1-line block ×4, first 2 shown]
	s_and_b64 vcc, exec, s[26:27]
	s_cbranch_vccnz .LBB2_5360
; %bb.5096:                             ;   in Loop: Header=BB2_47 Depth=1
	s_mov_b32 s8, 1
.LBB2_5097:                             ;   Parent Loop BB2_47 Depth=1
                                        ; =>  This Loop Header: Depth=2
                                        ;       Child Loop BB2_5100 Depth 3
                                        ;         Child Loop BB2_5108 Depth 4
                                        ;         Child Loop BB2_5136 Depth 4
	;; [unrolled: 1-line block ×4, first 2 shown]
                                        ;           Child Loop BB2_5180 Depth 5
                                        ;         Child Loop BB2_5186 Depth 4
                                        ;           Child Loop BB2_5187 Depth 5
                                        ;         Child Loop BB2_5196 Depth 4
                                        ;         Child Loop BB2_5201 Depth 4
                                        ;           Child Loop BB2_5202 Depth 5
                                        ;         Child Loop BB2_5214 Depth 4
                                        ;         Child Loop BB2_5219 Depth 4
	;; [unrolled: 1-line block ×6, first 2 shown]
                                        ;       Child Loop BB2_5284 Depth 3
                                        ;         Child Loop BB2_5290 Depth 4
                                        ;         Child Loop BB2_5318 Depth 4
	;; [unrolled: 1-line block ×3, first 2 shown]
	buffer_load_dword v4, off, s[0:3], s33 offset:208 ; 4-byte Folded Reload
	buffer_load_dword v5, off, s[0:3], s33 offset:212 ; 4-byte Folded Reload
	s_sub_i32 s9, s85, s8
	s_cmp_ge_i32 s9, s66
	s_cselect_b32 s26, s66, 0
	s_sub_i32 s9, s9, s26
	s_ashr_i32 s28, s9, 31
	v_mov_b32_e32 v20, 0
	s_waitcnt vmcnt(0)
	v_mad_u64_u32 v[8:9], s[26:27], v4, s9, 0
	v_mul_lo_u32 v1, v5, s9
	v_mul_lo_u32 v2, v4, s28
	v_add3_u32 v9, v9, v2, v1
	buffer_load_dword v1, off, s[0:3], s33 offset:200 ; 4-byte Folded Reload
	buffer_load_dword v2, off, s[0:3], s33 offset:204 ; 4-byte Folded Reload
	s_waitcnt vmcnt(0)
	v_sub_co_u32_e32 v1, vcc, v1, v8
	v_subb_co_u32_e32 v2, vcc, v2, v9, vcc
	v_cmp_lt_i64_e32 vcc, v[4:5], v[1:2]
	v_cndmask_b32_e32 v1, v1, v4, vcc
	v_max_i32_e32 v17, 0, v1
	v_add_u32_e32 v2, 31, v17
	v_lshrrev_b32_e32 v2, 1, v2
	v_and_b32_e32 v2, 0x3ffffff0, v2
	v_cmp_lt_i32_e32 vcc, 0, v1
	v_max_i32_e32 v12, s96, v2
	s_and_b64 s[26:27], s[76:77], vcc
	v_mov_b32_e32 v1, 0
	s_and_saveexec_b64 s[42:43], s[26:27]
	s_cbranch_execz .LBB2_5281
; %bb.5098:                             ;   in Loop: Header=BB2_5097 Depth=2
	buffer_load_dword v1, off, s[0:3], s33 offset:136 ; 4-byte Folded Reload
	s_mov_b32 s9, 1
	s_mov_b64 s[92:93], -1
	v_mov_b32_e32 v20, 0
	s_mov_b64 s[90:91], 0
	s_waitcnt vmcnt(0)
	v_add_co_u32_e32 v21, vcc, v8, v1
	buffer_load_dword v1, off, s[0:3], s33 offset:140 ; 4-byte Folded Reload
	s_waitcnt vmcnt(0)
	v_addc_co_u32_e32 v24, vcc, v9, v1, vcc
	s_branch .LBB2_5100
.LBB2_5099:                             ;   in Loop: Header=BB2_5100 Depth=3
	s_or_b64 exec, exec, s[26:27]
	v_add_u32_e32 v20, v12, v20
	v_cmp_ge_i32_e32 vcc, v20, v17
	s_xor_b64 s[26:27], s[92:93], -1
	s_or_b64 s[26:27], s[26:27], vcc
	s_and_b64 s[26:27], exec, s[26:27]
	s_or_b64 s[90:91], s[26:27], s[90:91]
	s_mov_b64 s[92:93], 0
	v_mov_b32_e32 v1, s9
	s_mov_b32 s9, 2
	s_andn2_b64 exec, exec, s[90:91]
	s_cbranch_execz .LBB2_5356
.LBB2_5100:                             ;   Parent Loop BB2_47 Depth=1
                                        ;     Parent Loop BB2_5097 Depth=2
                                        ; =>    This Loop Header: Depth=3
                                        ;         Child Loop BB2_5108 Depth 4
                                        ;         Child Loop BB2_5136 Depth 4
	;; [unrolled: 1-line block ×4, first 2 shown]
                                        ;           Child Loop BB2_5180 Depth 5
                                        ;         Child Loop BB2_5186 Depth 4
                                        ;           Child Loop BB2_5187 Depth 5
                                        ;         Child Loop BB2_5196 Depth 4
                                        ;         Child Loop BB2_5201 Depth 4
                                        ;           Child Loop BB2_5202 Depth 5
                                        ;         Child Loop BB2_5214 Depth 4
                                        ;         Child Loop BB2_5219 Depth 4
                                        ;         Child Loop BB2_5227 Depth 4
                                        ;         Child Loop BB2_5232 Depth 4
                                        ;         Child Loop BB2_5243 Depth 4
                                        ;         Child Loop BB2_5266 Depth 4
	s_and_saveexec_b64 s[26:27], s[4:5]
	s_cbranch_execz .LBB2_5102
; %bb.5101:                             ;   in Loop: Header=BB2_5100 Depth=3
	s_trap 2
	ds_read_b128 v[8:11], v0
	v_ashrrev_i32_e32 v4, 31, v20
	s_waitcnt lgkmcnt(0)
	v_add_co_u32_e32 v1, vcc, v8, v21
	v_addc_co_u32_e32 v2, vcc, v9, v24, vcc
	v_add_co_u32_e32 v1, vcc, v1, v20
	v_addc_co_u32_e32 v2, vcc, v2, v4, vcc
	ds_write_b64 v0, v[1:2]
	v_add_co_u32_e32 v1, vcc, v10, v21
	v_addc_co_u32_e32 v2, vcc, v11, v24, vcc
	v_add_co_u32_e32 v1, vcc, v1, v20
	v_addc_co_u32_e32 v2, vcc, v2, v4, vcc
	v_cmp_ne_u64_e32 vcc, 0, v[10:11]
	v_cndmask_b32_e32 v2, 0, v2, vcc
	v_cndmask_b32_e32 v1, 0, v1, vcc
	ds_write_b64 v0, v[1:2]
.LBB2_5102:                             ;   in Loop: Header=BB2_5100 Depth=3
	s_or_b64 exec, exec, s[26:27]
	v_sub_u32_e32 v1, v17, v20
	v_min_i32_e32 v12, v12, v1
	v_and_b32_e32 v1, 12, v38
	v_cmp_ne_u32_e32 vcc, 0, v1
	s_and_saveexec_b64 s[28:29], vcc
	s_cbranch_execz .LBB2_5128
; %bb.5103:                             ;   in Loop: Header=BB2_5100 Depth=3
	v_and_b32_e32 v2, 8, v38
	s_waitcnt lgkmcnt(0)
	v_add_co_u32_e32 v4, vcc, v32, v2
	v_addc_co_u32_e32 v5, vcc, 0, v33, vcc
	v_add_co_u32_e32 v8, vcc, 2, v50
	v_addc_co_u32_e32 v9, vcc, 0, v51, vcc
	v_cmp_lt_u64_e32 vcc, v[4:5], v[8:9]
	s_and_saveexec_b64 s[40:41], vcc
	s_cbranch_execz .LBB2_5115
; %bb.5104:                             ;   in Loop: Header=BB2_5100 Depth=3
	v_and_b32_e32 v1, 64, v38
	s_mov_b32 s64, 0
	v_cmp_eq_u32_e32 vcc, 0, v1
	s_mov_b64 s[94:95], 0
                                        ; implicit-def: $sgpr30_sgpr31
                                        ; implicit-def: $sgpr34_sgpr35
                                        ; implicit-def: $sgpr36_sgpr37
	s_branch .LBB2_5108
.LBB2_5105:                             ;   in Loop: Header=BB2_5108 Depth=4
	s_waitcnt vmcnt(0) lgkmcnt(0)
	v_add_co_u32_e64 v4, s[26:27], v32, v2
	v_addc_co_u32_e64 v5, s[26:27], 0, v33, s[26:27]
	v_cmp_ge_u64_e64 s[26:27], v[4:5], v[8:9]
	s_or_b64 s[50:51], s[50:51], exec
	s_orn2_b64 s[48:49], s[26:27], exec
.LBB2_5106:                             ;   in Loop: Header=BB2_5108 Depth=4
	s_or_b64 exec, exec, s[54:55]
	s_andn2_b64 s[26:27], s[36:37], exec
	s_and_b64 s[36:37], s[50:51], exec
	s_or_b64 s[36:37], s[26:27], s[36:37]
	s_andn2_b64 s[26:27], s[34:35], exec
	s_and_b64 s[34:35], s[48:49], exec
	s_or_b64 s[34:35], s[26:27], s[34:35]
.LBB2_5107:                             ;   in Loop: Header=BB2_5108 Depth=4
	s_or_b64 exec, exec, s[38:39]
	s_and_b64 s[26:27], exec, s[34:35]
	s_or_b64 s[94:95], s[26:27], s[94:95]
	s_andn2_b64 s[26:27], s[30:31], exec
	s_and_b64 s[30:31], s[36:37], exec
	s_or_b64 s[30:31], s[26:27], s[30:31]
	s_andn2_b64 exec, exec, s[94:95]
	s_cbranch_execz .LBB2_5112
.LBB2_5108:                             ;   Parent Loop BB2_47 Depth=1
                                        ;     Parent Loop BB2_5097 Depth=2
                                        ;       Parent Loop BB2_5100 Depth=3
                                        ; =>      This Inner Loop Header: Depth=4
	s_sleep 1
	s_waitcnt vmcnt(0) lgkmcnt(0)
	flat_load_dwordx2 v[32:33], v[22:23] glc
	s_or_b64 s[36:37], s[36:37], exec
	s_or_b64 s[34:35], s[34:35], exec
                                        ; implicit-def: $vgpr1
	s_and_saveexec_b64 s[38:39], vcc
	s_cbranch_execz .LBB2_5107
; %bb.5109:                             ;   in Loop: Header=BB2_5108 Depth=4
	s_cmpk_lt_i32 s64, 0x270f
	s_cselect_b64 s[52:53], -1, 0
	s_cmpk_gt_i32 s64, 0x270e
	s_mov_b64 s[48:49], -1
	s_cbranch_scc0 .LBB2_5111
; %bb.5110:                             ;   in Loop: Header=BB2_5108 Depth=4
	s_trap 2
	ds_read_b64 v[4:5], v0
	s_andn2_b64 s[52:53], s[52:53], exec
	s_mov_b32 s64, 0
	s_mov_b64 s[50:51], 0
	s_waitcnt vmcnt(0) lgkmcnt(0)
	flat_load_dword v1, v[4:5] glc
	s_waitcnt vmcnt(0) lgkmcnt(0)
	buffer_wbinvl1_vol
	v_cmp_eq_u32_e64 s[26:27], 0, v1
	s_and_b64 s[26:27], s[26:27], exec
	s_or_b64 s[52:53], s[52:53], s[26:27]
	s_and_saveexec_b64 s[54:55], s[52:53]
	s_cbranch_execz .LBB2_5106
	s_branch .LBB2_5105
.LBB2_5111:                             ;   in Loop: Header=BB2_5108 Depth=4
	s_add_i32 s64, s64, 1
	s_mov_b64 s[50:51], -1
                                        ; implicit-def: $vgpr1
	s_and_saveexec_b64 s[54:55], s[52:53]
	s_cbranch_execz .LBB2_5106
	s_branch .LBB2_5105
.LBB2_5112:                             ;   in Loop: Header=BB2_5100 Depth=3
	s_or_b64 exec, exec, s[94:95]
	s_xor_b64 s[26:27], s[30:31], -1
	s_and_saveexec_b64 s[94:95], s[26:27]
	s_xor_b64 s[26:27], exec, s[94:95]
	s_cbranch_execz .LBB2_5114
; %bb.5113:                             ;   in Loop: Header=BB2_5100 Depth=3
	v_or_b32_e32 v38, 64, v38
	s_waitcnt lgkmcnt(0)
	ds_write_b32 v0, v1
	s_trap 2
.LBB2_5114:                             ;   in Loop: Header=BB2_5100 Depth=3
	s_or_b64 exec, exec, s[26:27]
.LBB2_5115:                             ;   in Loop: Header=BB2_5100 Depth=3
	s_or_b64 exec, exec, s[40:41]
	v_and_b32_e32 v1, 0x108, v38
	v_cmp_ne_u32_e32 vcc, s69, v1
	;;#ASMSTART
	s_wakeup
	;;#ASMEND
	s_and_saveexec_b64 s[26:27], vcc
	s_xor_b64 s[26:27], exec, s[26:27]
                                        ; implicit-def: $vgpr1
; %bb.5116:                             ;   in Loop: Header=BB2_5100 Depth=3
	v_and_b32_e32 v1, 7, v50
                                        ; implicit-def: $vgpr50_vgpr51
; %bb.5117:                             ;   in Loop: Header=BB2_5100 Depth=3
	s_andn2_saveexec_b64 s[26:27], s[26:27]
	s_cbranch_execz .LBB2_5119
; %bb.5118:                             ;   in Loop: Header=BB2_5100 Depth=3
	buffer_load_dword v13, off, s[0:3], s33 offset:76 ; 4-byte Folded Reload
	buffer_load_dword v14, off, s[0:3], s33 offset:80 ; 4-byte Folded Reload
	;; [unrolled: 1-line block ×4, first 2 shown]
	v_and_b32_e32 v1, 7, v50
	s_waitcnt vmcnt(0)
	v_mad_u64_u32 v[4:5], s[40:41], v1, 24, v[13:14]
	v_ashrrev_i32_e32 v13, 31, v12
	flat_store_dwordx2 v[4:5], v[12:13] offset:8
.LBB2_5119:                             ;   in Loop: Header=BB2_5100 Depth=3
	s_or_b64 exec, exec, s[26:27]
	v_and_b32_e32 v4, 0x100, v38
	v_cmp_ne_u32_e32 vcc, 0, v4
	s_mov_b64 s[26:27], -1
                                        ; implicit-def: $vgpr10_vgpr11
	s_and_saveexec_b64 s[40:41], vcc
	s_cbranch_execz .LBB2_5123
; %bb.5120:                             ;   in Loop: Header=BB2_5100 Depth=3
	buffer_load_dword v13, off, s[0:3], s33 offset:76 ; 4-byte Folded Reload
	buffer_load_dword v14, off, s[0:3], s33 offset:80 ; 4-byte Folded Reload
	;; [unrolled: 1-line block ×4, first 2 shown]
	s_waitcnt vmcnt(0)
	v_mad_u64_u32 v[4:5], s[26:27], v1, 24, v[13:14]
	v_mad_u64_u32 v[10:11], s[26:27], v3, 24, v[5:6]
	v_mov_b32_e32 v5, v10
	flat_load_dword v10, v[4:5]
	s_waitcnt vmcnt(0) lgkmcnt(0)
	v_cmp_ne_u32_e32 vcc, 1, v10
	v_cmp_eq_u32_e64 s[26:27], 1, v10
                                        ; implicit-def: $vgpr10_vgpr11
	s_and_saveexec_b64 s[94:95], s[26:27]
	s_cbranch_execz .LBB2_5122
; %bb.5121:                             ;   in Loop: Header=BB2_5100 Depth=3
	flat_load_dword v10, v[4:5] offset:4 glc
	s_waitcnt vmcnt(0) lgkmcnt(0)
	v_ashrrev_i32_e32 v11, 31, v10
.LBB2_5122:                             ;   in Loop: Header=BB2_5100 Depth=3
	s_or_b64 exec, exec, s[94:95]
	s_orn2_b64 s[26:27], vcc, exec
.LBB2_5123:                             ;   in Loop: Header=BB2_5100 Depth=3
	s_or_b64 exec, exec, s[40:41]
	s_and_saveexec_b64 s[40:41], s[26:27]
	s_cbranch_execz .LBB2_5125
; %bb.5124:                             ;   in Loop: Header=BB2_5100 Depth=3
	v_mul_lo_u32 v4, v3, v56
	v_mul_lo_u32 v5, v1, v43
	v_mad_u64_u32 v[10:11], s[26:27], v1, v56, 0
	v_add3_u32 v11, v11, v5, v4
.LBB2_5125:                             ;   in Loop: Header=BB2_5100 Depth=3
	s_or_b64 exec, exec, s[40:41]
	v_cmp_eq_u32_e32 vcc, 0, v2
	v_mov_b32_e32 v1, 0xd0
	v_mov_b32_e32 v2, 0x88
	v_cndmask_b32_e32 v4, v1, v2, vcc
	buffer_load_dword v1, off, s[0:3], s33 offset:68 ; 4-byte Folded Reload
	buffer_load_dword v2, off, s[0:3], s33 offset:72 ; 4-byte Folded Reload
	v_add_u32_e32 v4, v0, v4
	s_waitcnt vmcnt(0)
	v_add_co_u32_e32 v1, vcc, v1, v10
	v_addc_co_u32_e32 v2, vcc, v2, v11, vcc
	ds_write_b64 v4, v[1:2] offset:584
	v_and_b32_e32 v1, 0x2000, v38
	v_cmp_ne_u32_e32 vcc, 0, v1
	s_and_saveexec_b64 s[26:27], vcc
	s_cbranch_execz .LBB2_5127
; %bb.5126:                             ;   in Loop: Header=BB2_5100 Depth=3
	ds_read_b64 v[1:2], v0 offset:872
	s_waitcnt lgkmcnt(0)
	v_add_co_u32_e32 v1, vcc, 1, v1
	v_addc_co_u32_e32 v2, vcc, 0, v2, vcc
	ds_write_b64 v0, v[1:2] offset:872
.LBB2_5127:                             ;   in Loop: Header=BB2_5100 Depth=3
	s_or_b64 exec, exec, s[26:27]
	v_mov_b32_e32 v51, v9
	v_mov_b32_e32 v50, v8
.LBB2_5128:                             ;   in Loop: Header=BB2_5100 Depth=3
	s_or_b64 exec, exec, s[28:29]
	s_and_saveexec_b64 s[26:27], s[10:11]
	s_cbranch_execz .LBB2_5147
; %bb.5129:                             ;   in Loop: Header=BB2_5100 Depth=3
	s_and_saveexec_b64 s[28:29], s[58:59]
	s_xor_b64 s[28:29], exec, s[28:29]
	s_cbranch_execz .LBB2_5144
; %bb.5130:                             ;   in Loop: Header=BB2_5100 Depth=3
	s_and_saveexec_b64 s[40:41], s[16:17]
	s_cbranch_execz .LBB2_5143
; %bb.5131:                             ;   in Loop: Header=BB2_5100 Depth=3
	s_mov_b64 s[30:31], exec
	v_mbcnt_lo_u32_b32 v1, s30, 0
	v_mbcnt_hi_u32_b32 v1, s31, v1
	v_cmp_eq_u32_e32 vcc, 0, v1
	s_waitcnt vmcnt(0) lgkmcnt(0)
	buffer_wbinvl1_vol
	s_and_saveexec_b64 s[94:95], vcc
	s_cbranch_execz .LBB2_5133
; %bb.5132:                             ;   in Loop: Header=BB2_5100 Depth=3
	s_bcnt1_i32_b64 vcc_lo, s[30:31]
	v_mov_b32_e32 v2, vcc_lo
	ds_add_u64 v0, v[2:3]
	s_trap 2
.LBB2_5133:                             ;   in Loop: Header=BB2_5100 Depth=3
	s_or_b64 exec, exec, s[94:95]
	s_trap 2
	ds_read_b64 v[1:2], v0
	s_waitcnt lgkmcnt(0)
	v_add_co_u32_e32 v28, vcc, v28, v35
	v_addc_co_u32_e32 v29, vcc, 0, v29, vcc
	v_cmp_lt_u64_e32 vcc, v[1:2], v[28:29]
	s_and_saveexec_b64 s[94:95], vcc
	s_cbranch_execz .LBB2_5142
; %bb.5134:                             ;   in Loop: Header=BB2_5100 Depth=3
	s_mov_b32 s50, 0
	s_mov_b64 s[30:31], 0
                                        ; implicit-def: $sgpr34_sgpr35
                                        ; implicit-def: $sgpr36_sgpr37
	s_branch .LBB2_5136
.LBB2_5135:                             ;   in Loop: Header=BB2_5136 Depth=4
	s_or_b64 exec, exec, s[48:49]
	s_and_b64 vcc, exec, vcc
	s_or_b64 s[30:31], vcc, s[30:31]
	s_andn2_b64 vcc, s[34:35], exec
	s_and_b64 s[34:35], s[36:37], exec
	s_or_b64 s[34:35], vcc, s[34:35]
	s_andn2_b64 exec, exec, s[30:31]
	s_cbranch_execz .LBB2_5140
.LBB2_5136:                             ;   Parent Loop BB2_47 Depth=1
                                        ;     Parent Loop BB2_5097 Depth=2
                                        ;       Parent Loop BB2_5100 Depth=3
                                        ; =>      This Inner Loop Header: Depth=4
	s_add_i32 s50, s50, 1
	s_cmpk_lg_i32 s50, 0x2710
	s_cselect_b64 s[38:39], -1, 0
	s_and_b64 vcc, exec, s[38:39]
	s_cbranch_vccz .LBB2_5138
; %bb.5137:                             ;   in Loop: Header=BB2_5136 Depth=4
	s_mov_b64 vcc, -1
	s_or_b64 s[36:37], s[36:37], exec
	s_and_saveexec_b64 s[48:49], s[38:39]
	s_cbranch_execz .LBB2_5135
	s_branch .LBB2_5139
.LBB2_5138:                             ;   in Loop: Header=BB2_5136 Depth=4
	s_trap 2
	ds_read_b64 v[1:2], v0
	s_andn2_b64 s[38:39], s[38:39], exec
	s_mov_b32 s50, 0
	s_waitcnt lgkmcnt(0)
	flat_load_dword v1, v[1:2] glc
	s_waitcnt vmcnt(0) lgkmcnt(0)
	buffer_wbinvl1_vol
	v_cmp_eq_u32_e32 vcc, 0, v1
	s_and_b64 vcc, vcc, exec
	s_or_b64 s[38:39], s[38:39], vcc
	s_mov_b64 vcc, -1
	s_or_b64 s[36:37], s[36:37], exec
	s_and_saveexec_b64 s[48:49], s[38:39]
	s_cbranch_execz .LBB2_5135
.LBB2_5139:                             ;   in Loop: Header=BB2_5136 Depth=4
	s_sleep 1
	s_trap 2
	ds_read_b64 v[1:2], v0
	s_waitcnt lgkmcnt(0)
	s_andn2_b64 s[36:37], s[36:37], exec
	v_cmp_ge_u64_e32 vcc, v[1:2], v[28:29]
	s_orn2_b64 vcc, vcc, exec
	s_branch .LBB2_5135
.LBB2_5140:                             ;   in Loop: Header=BB2_5100 Depth=3
	s_or_b64 exec, exec, s[30:31]
	s_and_saveexec_b64 vcc, s[34:35]
	s_xor_b64 vcc, exec, vcc
	s_cbranch_execz .LBB2_5142
; %bb.5141:                             ;   in Loop: Header=BB2_5100 Depth=3
	v_mov_b32_e32 v1, 1
	ds_write_b32 v0, v1
	s_trap 2
.LBB2_5142:                             ;   in Loop: Header=BB2_5100 Depth=3
	s_or_b64 exec, exec, s[94:95]
	;;#ASMSTART
	s_wakeup
	;;#ASMEND
.LBB2_5143:                             ;   in Loop: Header=BB2_5100 Depth=3
	s_or_b64 exec, exec, s[40:41]
.LBB2_5144:                             ;   in Loop: Header=BB2_5100 Depth=3
	s_andn2_saveexec_b64 s[28:29], s[28:29]
	s_cbranch_execz .LBB2_5146
; %bb.5145:                             ;   in Loop: Header=BB2_5100 Depth=3
	s_waitcnt vmcnt(0) lgkmcnt(0)
	buffer_wbinvl1_vol
	s_barrier
.LBB2_5146:                             ;   in Loop: Header=BB2_5100 Depth=3
	s_or_b64 exec, exec, s[28:29]
.LBB2_5147:                             ;   in Loop: Header=BB2_5100 Depth=3
	s_or_b64 exec, exec, s[26:27]
	s_trap 2
	ds_read_b32 v4, v0
	v_and_b32_e32 v1, 0x4000, v38
	v_cmp_ne_u32_e32 vcc, 0, v1
	s_xor_b64 s[26:27], s[6:7], -1
	s_and_b64 s[28:29], s[26:27], vcc
	s_and_saveexec_b64 s[26:27], s[28:29]
	s_cbranch_execz .LBB2_5166
; %bb.5148:                             ;   in Loop: Header=BB2_5100 Depth=3
	s_and_saveexec_b64 s[28:29], s[58:59]
	s_xor_b64 s[28:29], exec, s[28:29]
	s_cbranch_execz .LBB2_5163
; %bb.5149:                             ;   in Loop: Header=BB2_5100 Depth=3
	s_and_saveexec_b64 s[40:41], s[16:17]
	s_cbranch_execz .LBB2_5162
; %bb.5150:                             ;   in Loop: Header=BB2_5100 Depth=3
	s_mov_b64 s[30:31], exec
	v_mbcnt_lo_u32_b32 v1, s30, 0
	v_mbcnt_hi_u32_b32 v1, s31, v1
	v_cmp_eq_u32_e32 vcc, 0, v1
	s_waitcnt vmcnt(0) lgkmcnt(0)
	buffer_wbinvl1_vol
	s_and_saveexec_b64 s[94:95], vcc
	s_cbranch_execz .LBB2_5152
; %bb.5151:                             ;   in Loop: Header=BB2_5100 Depth=3
	s_bcnt1_i32_b64 vcc_lo, s[30:31]
	v_mov_b32_e32 v2, vcc_lo
	ds_add_u64 v0, v[2:3]
	s_trap 2
.LBB2_5152:                             ;   in Loop: Header=BB2_5100 Depth=3
	s_or_b64 exec, exec, s[94:95]
	s_trap 2
	ds_read_b64 v[1:2], v0
	s_waitcnt lgkmcnt(0)
	v_add_co_u32_e32 v28, vcc, v28, v35
	v_addc_co_u32_e32 v29, vcc, 0, v29, vcc
	v_cmp_lt_u64_e32 vcc, v[1:2], v[28:29]
	s_and_saveexec_b64 s[94:95], vcc
	s_cbranch_execz .LBB2_5161
; %bb.5153:                             ;   in Loop: Header=BB2_5100 Depth=3
	s_mov_b32 s50, 0
	s_mov_b64 s[30:31], 0
                                        ; implicit-def: $sgpr34_sgpr35
                                        ; implicit-def: $sgpr36_sgpr37
	s_branch .LBB2_5155
.LBB2_5154:                             ;   in Loop: Header=BB2_5155 Depth=4
	s_or_b64 exec, exec, s[48:49]
	s_and_b64 vcc, exec, vcc
	s_or_b64 s[30:31], vcc, s[30:31]
	s_andn2_b64 vcc, s[34:35], exec
	s_and_b64 s[34:35], s[36:37], exec
	s_or_b64 s[34:35], vcc, s[34:35]
	s_andn2_b64 exec, exec, s[30:31]
	s_cbranch_execz .LBB2_5159
.LBB2_5155:                             ;   Parent Loop BB2_47 Depth=1
                                        ;     Parent Loop BB2_5097 Depth=2
                                        ;       Parent Loop BB2_5100 Depth=3
                                        ; =>      This Inner Loop Header: Depth=4
	s_add_i32 s50, s50, 1
	s_cmpk_lg_i32 s50, 0x2710
	s_cselect_b64 s[38:39], -1, 0
	s_and_b64 vcc, exec, s[38:39]
	s_cbranch_vccz .LBB2_5157
; %bb.5156:                             ;   in Loop: Header=BB2_5155 Depth=4
	s_mov_b64 vcc, -1
	s_or_b64 s[36:37], s[36:37], exec
	s_and_saveexec_b64 s[48:49], s[38:39]
	s_cbranch_execz .LBB2_5154
	s_branch .LBB2_5158
.LBB2_5157:                             ;   in Loop: Header=BB2_5155 Depth=4
	s_trap 2
	ds_read_b64 v[1:2], v0
	s_andn2_b64 s[38:39], s[38:39], exec
	s_mov_b32 s50, 0
	s_waitcnt lgkmcnt(0)
	flat_load_dword v1, v[1:2] glc
	s_waitcnt vmcnt(0) lgkmcnt(0)
	buffer_wbinvl1_vol
	v_cmp_eq_u32_e32 vcc, 0, v1
	s_and_b64 vcc, vcc, exec
	s_or_b64 s[38:39], s[38:39], vcc
	s_mov_b64 vcc, -1
	s_or_b64 s[36:37], s[36:37], exec
	s_and_saveexec_b64 s[48:49], s[38:39]
	s_cbranch_execz .LBB2_5154
.LBB2_5158:                             ;   in Loop: Header=BB2_5155 Depth=4
	s_sleep 1
	s_trap 2
	ds_read_b64 v[1:2], v0
	s_waitcnt lgkmcnt(0)
	s_andn2_b64 s[36:37], s[36:37], exec
	v_cmp_ge_u64_e32 vcc, v[1:2], v[28:29]
	s_orn2_b64 vcc, vcc, exec
	s_branch .LBB2_5154
.LBB2_5159:                             ;   in Loop: Header=BB2_5100 Depth=3
	s_or_b64 exec, exec, s[30:31]
	s_and_saveexec_b64 vcc, s[34:35]
	s_xor_b64 vcc, exec, vcc
	s_cbranch_execz .LBB2_5161
; %bb.5160:                             ;   in Loop: Header=BB2_5100 Depth=3
	v_mov_b32_e32 v1, 1
	ds_write_b32 v0, v1
	s_trap 2
.LBB2_5161:                             ;   in Loop: Header=BB2_5100 Depth=3
	s_or_b64 exec, exec, s[94:95]
	;;#ASMSTART
	s_wakeup
	;;#ASMEND
.LBB2_5162:                             ;   in Loop: Header=BB2_5100 Depth=3
	s_or_b64 exec, exec, s[40:41]
.LBB2_5163:                             ;   in Loop: Header=BB2_5100 Depth=3
	s_andn2_saveexec_b64 s[28:29], s[28:29]
	s_cbranch_execz .LBB2_5165
; %bb.5164:                             ;   in Loop: Header=BB2_5100 Depth=3
	s_waitcnt vmcnt(0) lgkmcnt(0)
	buffer_wbinvl1_vol
	s_barrier
.LBB2_5165:                             ;   in Loop: Header=BB2_5100 Depth=3
	s_or_b64 exec, exec, s[28:29]
.LBB2_5166:                             ;   in Loop: Header=BB2_5100 Depth=3
	s_or_b64 exec, exec, s[26:27]
	s_trap 2
	ds_read_b64 v[13:14], v0
	s_waitcnt lgkmcnt(0)
	v_cmp_eq_u64_e32 vcc, 0, v[13:14]
	s_cbranch_vccnz .LBB2_5175
; %bb.5167:                             ;   in Loop: Header=BB2_5100 Depth=3
	s_trap 2
	ds_read_b64 v[54:55], v0
	s_waitcnt lgkmcnt(0)
	v_cmp_eq_u64_e32 vcc, 0, v[54:55]
	s_cbranch_vccnz .LBB2_5176
; %bb.5168:                             ;   in Loop: Header=BB2_5100 Depth=3
	s_trap 2
	ds_read_b64 v[18:19], v0
	v_cmp_eq_u32_e64 s[26:27], 0, v4
	v_cndmask_b32_e64 v2, 0, v12, s[26:27]
	s_mov_b64 s[26:27], -1
	s_waitcnt lgkmcnt(0)
	v_cmp_ne_u64_e32 vcc, 0, v[18:19]
	s_cbranch_vccz .LBB2_5205
; %bb.5169:                             ;   in Loop: Header=BB2_5100 Depth=3
	s_and_saveexec_b64 s[28:29], s[20:21]
	s_cbranch_execz .LBB2_5171
; %bb.5170:                             ;   in Loop: Header=BB2_5100 Depth=3
	ds_read_b32 v1, v0 offset:720
	s_waitcnt lgkmcnt(0)
	v_and_b32_e32 v1, 15, v1
	v_cmp_eq_u32_e32 vcc, 0, v1
	s_orn2_b64 s[26:27], vcc, exec
.LBB2_5171:                             ;   in Loop: Header=BB2_5100 Depth=3
	s_or_b64 exec, exec, s[28:29]
	s_and_saveexec_b64 s[28:29], s[22:23]
	s_cbranch_execz .LBB2_5173
; %bb.5172:                             ;   in Loop: Header=BB2_5100 Depth=3
	ds_read_b32 v1, v0 offset:784
	s_waitcnt lgkmcnt(0)
	v_and_b32_e32 v1, 15, v1
	v_cmp_eq_u32_e32 vcc, 0, v1
	s_and_b64 s[40:41], s[26:27], vcc
	s_andn2_b64 s[26:27], s[26:27], exec
	s_and_b64 s[40:41], s[40:41], exec
	s_or_b64 s[26:27], s[26:27], s[40:41]
.LBB2_5173:                             ;   in Loop: Header=BB2_5100 Depth=3
	s_or_b64 exec, exec, s[28:29]
	s_xor_b64 s[26:27], s[26:27], -1
	v_cndmask_b32_e64 v1, 0, 1, s[26:27]
	v_cmp_ne_u32_e32 vcc, 0, v1
	buffer_load_dword v1, off, s[0:3], s33 offset:116 ; 4-byte Folded Reload
	s_mov_b64 s[28:29], -1
	v_mov_b32_e32 v4, 0
	v_mov_b32_e32 v5, v2
	;; [unrolled: 1-line block ×3, first 2 shown]
	s_cbranch_vccz .LBB2_5177
; %bb.5174:                             ;   in Loop: Header=BB2_5100 Depth=3
	s_and_saveexec_b64 s[40:41], s[28:29]
	s_cbranch_execnz .LBB2_5194
	s_branch .LBB2_5204
.LBB2_5175:                             ;   in Loop: Header=BB2_5100 Depth=3
	s_mov_b64 s[26:27], 0
	s_and_saveexec_b64 s[28:29], s[10:11]
	s_cbranch_execnz .LBB2_5236
	s_branch .LBB2_5254
.LBB2_5176:                             ;   in Loop: Header=BB2_5100 Depth=3
	s_mov_b64 s[26:27], 0
	s_branch .LBB2_5235
.LBB2_5177:                             ;   in Loop: Header=BB2_5100 Depth=3
	v_ashrrev_i32_e32 v4, 31, v2
	v_lshrrev_b32_e32 v4, 22, v4
	v_add_u32_e32 v4, v2, v4
	buffer_load_dword v1, off, s[0:3], s33 offset:144 ; 4-byte Folded Reload
	v_ashrrev_i32_e32 v5, 10, v4
	v_and_b32_e32 v31, 0xfffffc00, v4
	buffer_load_dword v4, off, s[0:3], s33 offset:164 ; 4-byte Folded Reload
	v_sub_u32_e32 v37, v2, v31
	v_cmp_lt_i32_e64 s[26:27], 15, v37
	s_waitcnt vmcnt(0)
	v_sub_u32_e32 v1, v2, v1
	s_waitcnt vmcnt(0)
	v_addc_co_u32_e64 v36, vcc, v5, v4, s[26:27]
	v_cmp_lt_i32_e32 vcc, 15, v1
	s_and_saveexec_b64 s[94:95], vcc
	s_cbranch_execz .LBB2_5183
; %bb.5178:                             ;   in Loop: Header=BB2_5100 Depth=3
	buffer_load_dword v8, off, s[0:3], s33 offset:144 ; 4-byte Folded Reload
	buffer_load_dword v9, off, s[0:3], s33 offset:216 ; 4-byte Folded Reload
	s_mov_b64 s[30:31], 0
	s_waitcnt vmcnt(1)
	v_add_co_u32_e32 v15, vcc, v13, v8
	s_waitcnt vmcnt(0)
	v_addc_co_u32_e32 v16, vcc, v14, v9, vcc
	v_add_co_u32_e32 v4, vcc, v54, v8
	v_addc_co_u32_e32 v5, vcc, v55, v9, vcc
	v_add_co_u32_e32 v25, vcc, v18, v8
	v_addc_co_u32_e32 v30, vcc, v19, v9, vcc
.LBB2_5179:                             ;   Parent Loop BB2_47 Depth=1
                                        ;     Parent Loop BB2_5097 Depth=2
                                        ;       Parent Loop BB2_5100 Depth=3
                                        ; =>      This Loop Header: Depth=4
                                        ;           Child Loop BB2_5180 Depth 5
	global_load_dwordx4 v[8:11], v[15:16], off glc slc
	s_mov_b64 s[34:35], -1
	s_mov_b64 s[36:37], 0
	s_waitcnt vmcnt(0)
.LBB2_5180:                             ;   Parent Loop BB2_47 Depth=1
                                        ;     Parent Loop BB2_5097 Depth=2
                                        ;       Parent Loop BB2_5100 Depth=3
                                        ;         Parent Loop BB2_5179 Depth=4
                                        ; =>        This Inner Loop Header: Depth=5
	s_cmp_eq_u32 s36, 1
	s_cselect_b64 s[28:29], -1, 0
	v_cndmask_b32_e64 v40, v5, v30, s[28:29]
	v_cndmask_b32_e64 v39, v4, v25, s[28:29]
	global_store_dwordx4 v[39:40], v[8:11], off glc slc
	v_add_co_u32_e32 v39, vcc, 0x400, v39
	s_cmp_eq_u32 s36, 0
	v_addc_co_u32_e32 v52, vcc, 0, v40, vcc
	s_cselect_b64 vcc, -1, 0
	s_and_b64 s[40:41], exec, s[34:35]
	s_mov_b64 s[36:37], 1
	v_cndmask_b32_e64 v25, v25, v39, s[28:29]
	s_mov_b64 s[34:35], 0
	v_cndmask_b32_e64 v30, v30, v52, s[28:29]
	v_cndmask_b32_e32 v5, v5, v52, vcc
	v_cndmask_b32_e32 v4, v4, v39, vcc
	s_mov_b64 vcc, s[40:41]
	s_cbranch_vccnz .LBB2_5180
; %bb.5181:                             ;   in Loop: Header=BB2_5179 Depth=4
	buffer_load_dword v9, off, s[0:3], s33 offset:56 ; 4-byte Folded Reload
	v_add_u32_e32 v8, 0xfffffc00, v34
	v_add_co_u32_e32 v4, vcc, v4, v8
	v_sub_u32_e32 v1, v1, v34
	v_sub_u32_e32 v36, v36, v35
	s_waitcnt vmcnt(0)
	v_addc_co_u32_e32 v5, vcc, v5, v9, vcc
	v_add_co_u32_e32 v25, vcc, v25, v8
	buffer_load_dword v8, off, s[0:3], s33 offset:60 ; 4-byte Folded Reload
	v_addc_co_u32_e32 v30, vcc, v30, v9, vcc
	s_waitcnt vmcnt(0)
	v_add_co_u32_e32 v15, vcc, v8, v15
	buffer_load_dword v8, off, s[0:3], s33 offset:64 ; 4-byte Folded Reload
	s_waitcnt vmcnt(0)
	v_addc_co_u32_e32 v16, vcc, v8, v16, vcc
	v_cmp_gt_i32_e32 vcc, 16, v1
	s_or_b64 s[30:31], vcc, s[30:31]
	s_andn2_b64 exec, exec, s[30:31]
	s_cbranch_execnz .LBB2_5179
; %bb.5182:                             ;   in Loop: Header=BB2_5100 Depth=3
	s_or_b64 exec, exec, s[30:31]
.LBB2_5183:                             ;   in Loop: Header=BB2_5100 Depth=3
	s_or_b64 exec, exec, s[94:95]
	v_and_b32_e32 v8, 15, v2
	v_cndmask_b32_e64 v30, v37, v8, s[26:27]
	v_mov_b32_e32 v4, 0
	v_cmp_ne_u32_e32 vcc, 0, v30
	s_mov_b64 s[28:29], 0
                                        ; implicit-def: $vgpr5
                                        ; implicit-def: $vgpr25
                                        ; implicit-def: $vgpr1
	s_and_saveexec_b64 s[94:95], vcc
	s_cbranch_execz .LBB2_5193
; %bb.5184:                             ;   in Loop: Header=BB2_5100 Depth=3
	buffer_load_dword v4, off, s[0:3], s33 offset:184 ; 4-byte Folded Reload
	v_sub_u32_e32 v1, v37, v8
	v_cndmask_b32_e64 v1, 0, v1, s[26:27]
	v_cmp_lt_i32_e32 vcc, 0, v36
	v_add_u32_e32 v31, v1, v31
	v_cndmask_b32_e32 v1, 0, v35, vcc
	v_sub_u32_e32 v1, v1, v36
	v_ashrrev_i32_e32 v8, 31, v30
	v_lshrrev_b32_e32 v8, 22, v8
	v_add_u32_e32 v8, v30, v8
	v_and_b32_e32 v37, 0xfffffc00, v8
	v_sub_u32_e32 v52, v30, v37
	v_ashrrev_i32_e32 v9, 10, v8
	v_cmp_lt_i32_e64 s[26:27], 15, v52
	v_addc_co_u32_e64 v8, vcc, 0, v9, s[26:27]
	s_waitcnt vmcnt(0)
	v_lshl_add_u32 v1, v1, 6, v4
	v_ashrrev_i32_e32 v4, 31, v1
	v_lshrrev_b32_e32 v4, 26, v4
	v_add_u32_e32 v4, v1, v4
	v_ashrrev_i32_e32 v5, 6, v4
	v_and_b32_e32 v4, 0xffffffc0, v4
	v_sub_u32_e32 v36, v1, v4
	v_lshlrev_b32_e32 v1, 4, v36
	v_lshl_add_u32 v4, v5, 10, v1
	v_sub_u32_e32 v1, v30, v4
	v_sub_u32_e32 v39, v8, v5
	v_cmp_lt_i32_e32 vcc, 15, v1
	s_and_saveexec_b64 s[30:31], vcc
	s_cbranch_execz .LBB2_5190
; %bb.5185:                             ;   in Loop: Header=BB2_5100 Depth=3
	v_add_u32_e32 v8, v4, v31
	v_ashrrev_i32_e32 v9, 31, v8
	v_add_co_u32_e32 v15, vcc, v8, v13
	v_addc_co_u32_e32 v16, vcc, v9, v14, vcc
	v_add_co_u32_e32 v4, vcc, v8, v54
	v_addc_co_u32_e32 v5, vcc, v9, v55, vcc
	;; [unrolled: 2-line block ×3, first 2 shown]
	s_mov_b64 s[34:35], 0
.LBB2_5186:                             ;   Parent Loop BB2_47 Depth=1
                                        ;     Parent Loop BB2_5097 Depth=2
                                        ;       Parent Loop BB2_5100 Depth=3
                                        ; =>      This Loop Header: Depth=4
                                        ;           Child Loop BB2_5187 Depth 5
	global_load_dwordx4 v[8:11], v[15:16], off glc slc
	s_mov_b64 s[36:37], -1
	s_mov_b64 s[38:39], 0
	s_waitcnt vmcnt(0)
.LBB2_5187:                             ;   Parent Loop BB2_47 Depth=1
                                        ;     Parent Loop BB2_5097 Depth=2
                                        ;       Parent Loop BB2_5100 Depth=3
                                        ;         Parent Loop BB2_5186 Depth=4
                                        ; =>        This Inner Loop Header: Depth=5
	s_cmp_eq_u32 s38, 1
	s_cselect_b64 s[28:29], -1, 0
	v_cndmask_b32_e64 v42, v5, v40, s[28:29]
	v_cndmask_b32_e64 v41, v4, v25, s[28:29]
	global_store_dwordx4 v[41:42], v[8:11], off glc slc
	v_add_co_u32_e32 v41, vcc, 0x400, v41
	s_cmp_eq_u32 s38, 0
	v_addc_co_u32_e32 v42, vcc, 0, v42, vcc
	s_cselect_b64 vcc, -1, 0
	s_and_b64 s[40:41], exec, s[36:37]
	s_mov_b64 s[38:39], 1
	v_cndmask_b32_e64 v25, v25, v41, s[28:29]
	s_mov_b64 s[36:37], 0
	v_cndmask_b32_e64 v40, v40, v42, s[28:29]
	v_cndmask_b32_e32 v5, v5, v42, vcc
	v_cndmask_b32_e32 v4, v4, v41, vcc
	s_mov_b64 vcc, s[40:41]
	s_cbranch_vccnz .LBB2_5187
; %bb.5188:                             ;   in Loop: Header=BB2_5186 Depth=4
	buffer_load_dword v9, off, s[0:3], s33 offset:56 ; 4-byte Folded Reload
	v_add_u32_e32 v8, 0xfffffc00, v34
	v_add_co_u32_e32 v4, vcc, v4, v8
	v_sub_u32_e32 v1, v1, v34
	v_sub_u32_e32 v39, v39, v35
	s_waitcnt vmcnt(0)
	v_addc_co_u32_e32 v5, vcc, v5, v9, vcc
	v_add_co_u32_e32 v25, vcc, v25, v8
	buffer_load_dword v8, off, s[0:3], s33 offset:60 ; 4-byte Folded Reload
	v_addc_co_u32_e32 v40, vcc, v40, v9, vcc
	s_waitcnt vmcnt(0)
	v_add_co_u32_e32 v15, vcc, v8, v15
	buffer_load_dword v8, off, s[0:3], s33 offset:64 ; 4-byte Folded Reload
	s_waitcnt vmcnt(0)
	v_addc_co_u32_e32 v16, vcc, v8, v16, vcc
	v_cmp_gt_i32_e32 vcc, 16, v1
	s_or_b64 s[34:35], vcc, s[34:35]
	s_andn2_b64 exec, exec, s[34:35]
	s_cbranch_execnz .LBB2_5186
; %bb.5189:                             ;   in Loop: Header=BB2_5100 Depth=3
	s_or_b64 exec, exec, s[34:35]
.LBB2_5190:                             ;   in Loop: Header=BB2_5100 Depth=3
	s_or_b64 exec, exec, s[30:31]
	v_and_b32_e32 v8, 15, v30
	v_cndmask_b32_e64 v5, v52, v8, s[26:27]
	v_mov_b32_e32 v4, 0
	v_cmp_ne_u32_e32 vcc, 0, v5
	s_mov_b64 s[40:41], 0
                                        ; implicit-def: $vgpr25
                                        ; implicit-def: $vgpr1
	s_and_saveexec_b64 s[28:29], vcc
	s_cbranch_execz .LBB2_5192
; %bb.5191:                             ;   in Loop: Header=BB2_5100 Depth=3
	v_sub_u32_e32 v1, v52, v8
	v_cndmask_b32_e64 v1, 0, v1, s[26:27]
	v_cmp_lt_i32_e32 vcc, 0, v39
	v_add3_u32 v4, v37, v31, v1
	v_cndmask_b32_e32 v1, 0, v35, vcc
	v_sub_u32_e32 v1, v1, v39
	v_lshl_add_u32 v25, v1, 6, v36
	v_ashrrev_i32_e32 v1, 31, v25
	v_lshrrev_b32_e32 v1, 26, v1
	v_add_u32_e32 v1, v25, v1
	v_ashrrev_i32_e32 v1, 6, v1
	s_mov_b64 s[40:41], exec
.LBB2_5192:                             ;   in Loop: Header=BB2_5100 Depth=3
	s_or_b64 exec, exec, s[28:29]
	s_and_b64 s[28:29], s[40:41], exec
.LBB2_5193:                             ;   in Loop: Header=BB2_5100 Depth=3
	s_or_b64 exec, exec, s[94:95]
	s_and_saveexec_b64 s[40:41], s[28:29]
	s_cbranch_execz .LBB2_5204
.LBB2_5194:                             ;   in Loop: Header=BB2_5100 Depth=3
	v_ashrrev_i32_e32 v8, 31, v5
	v_lshrrev_b32_e32 v8, 23, v8
	v_add_u32_e32 v8, v5, v8
	v_ashrrev_i32_e32 v36, 9, v8
	s_waitcnt vmcnt(0)
	v_sub_u32_e32 v30, v36, v1
	v_ashrrev_i32_e32 v8, 31, v25
	v_cmp_lt_i32_e32 vcc, 0, v30
	v_lshrrev_b32_e32 v31, 26, v8
	s_and_saveexec_b64 s[26:27], vcc
	s_cbranch_execz .LBB2_5198
; %bb.5195:                             ;   in Loop: Header=BB2_5100 Depth=3
	v_add_u32_e32 v8, v25, v31
	v_and_b32_e32 v8, 0xffffffc0, v8
	v_sub_u32_e32 v8, v25, v8
	v_lshlrev_b32_e32 v1, 9, v1
	v_add3_u32 v1, v4, v8, v1
	v_ashrrev_i32_e32 v16, 31, v1
	v_add_co_u32_e32 v8, vcc, v1, v54
	v_addc_co_u32_e32 v9, vcc, v16, v55, vcc
	v_add_co_u32_e32 v10, vcc, v1, v18
	v_addc_co_u32_e32 v11, vcc, v16, v19, vcc
	;; [unrolled: 2-line block ×4, first 2 shown]
	s_mov_b64 s[28:29], 0
.LBB2_5196:                             ;   Parent Loop BB2_47 Depth=1
                                        ;     Parent Loop BB2_5097 Depth=2
                                        ;       Parent Loop BB2_5100 Depth=3
                                        ; =>      This Inner Loop Header: Depth=4
	v_add_co_u32_e32 v18, vcc, 0xfffffe40, v15
	v_addc_co_u32_e32 v19, vcc, -1, v16, vcc
	flat_load_ubyte v1, v[18:19] glc slc
	v_add_co_u32_e32 v18, vcc, 0xfffffe80, v15
	v_addc_co_u32_e32 v19, vcc, -1, v16, vcc
	v_add_co_u32_e32 v39, vcc, 0xfffffec0, v15
	v_addc_co_u32_e32 v40, vcc, -1, v16, vcc
	flat_load_ubyte v18, v[18:19] glc slc
	v_sub_u32_e32 v30, v30, v35
	flat_load_ubyte v19, v[39:40] glc slc
	v_add_co_u32_e32 v39, vcc, 0xffffff00, v15
	v_addc_co_u32_e32 v40, vcc, -1, v16, vcc
	flat_load_ubyte v37, v[39:40] glc slc
	v_add_co_u32_e32 v39, vcc, 0xffffff40, v15
	v_addc_co_u32_e32 v40, vcc, -1, v16, vcc
	;; [unrolled: 3-line block ×4, first 2 shown]
	flat_load_ubyte v39, v[39:40] glc slc
	s_nop 0
	flat_load_ubyte v40, v[15:16] glc slc
	s_waitcnt vmcnt(0) lgkmcnt(0)
	flat_store_byte v[8:9], v1 glc slc
	flat_store_byte v[8:9], v18 offset:64 glc slc
	flat_store_byte v[8:9], v19 offset:128 glc slc
	;; [unrolled: 1-line block ×7, first 2 shown]
	flat_store_byte v[10:11], v1 glc slc
	flat_store_byte v[10:11], v18 offset:64 glc slc
	flat_store_byte v[10:11], v19 offset:128 glc slc
	;; [unrolled: 1-line block ×7, first 2 shown]
	v_add_co_u32_e32 v8, vcc, v8, v48
	v_addc_co_u32_e32 v9, vcc, 0, v9, vcc
	v_add_co_u32_e32 v10, vcc, v10, v48
	v_addc_co_u32_e32 v11, vcc, 0, v11, vcc
	v_add_co_u32_e32 v15, vcc, v15, v48
	v_addc_co_u32_e32 v16, vcc, 0, v16, vcc
	v_cmp_gt_i32_e32 vcc, 1, v30
	s_or_b64 s[28:29], vcc, s[28:29]
	s_andn2_b64 exec, exec, s[28:29]
	s_cbranch_execnz .LBB2_5196
; %bb.5197:                             ;   in Loop: Header=BB2_5100 Depth=3
	s_or_b64 exec, exec, s[28:29]
.LBB2_5198:                             ;   in Loop: Header=BB2_5100 Depth=3
	s_or_b64 exec, exec, s[26:27]
	v_lshlrev_b32_e32 v1, 9, v36
	v_cmp_ne_u32_e32 vcc, v5, v1
	s_and_b64 exec, exec, vcc
	s_cbranch_execz .LBB2_5204
; %bb.5199:                             ;   in Loop: Header=BB2_5100 Depth=3
	v_add_u32_e32 v8, v25, v31
	v_and_b32_e32 v8, 0xffffffc0, v8
	v_sub_u32_e32 v8, v25, v8
	v_lshlrev_b32_e32 v9, 6, v30
	v_sub_u32_e32 v8, v8, v9
	v_add_u32_e32 v8, v1, v8
	v_sub_u32_e32 v1, v5, v8
	v_cmp_lt_i32_e32 vcc, 0, v1
	s_and_b64 exec, exec, vcc
	s_cbranch_execz .LBB2_5204
; %bb.5200:                             ;   in Loop: Header=BB2_5100 Depth=3
	v_add_u32_e32 v10, v8, v4
	s_trap 2
	ds_read_b64 v[4:5], v0
	ds_read_b128 v[39:42], v0
	v_ashrrev_i32_e32 v11, 31, v10
	s_mov_b64 s[94:95], 0
	s_waitcnt lgkmcnt(0)
	v_add_co_u32_e32 v8, vcc, v4, v10
	v_addc_co_u32_e32 v9, vcc, v5, v11, vcc
	v_add_co_u32_e32 v4, vcc, v39, v10
	v_addc_co_u32_e32 v5, vcc, v40, v11, vcc
	;; [unrolled: 2-line block ×3, first 2 shown]
.LBB2_5201:                             ;   Parent Loop BB2_47 Depth=1
                                        ;     Parent Loop BB2_5097 Depth=2
                                        ;       Parent Loop BB2_5100 Depth=3
                                        ; =>      This Loop Header: Depth=4
                                        ;           Child Loop BB2_5202 Depth 5
	flat_load_ubyte v15, v[8:9] glc slc
	s_mov_b64 s[30:31], -1
	s_mov_b64 s[34:35], 0
	s_waitcnt vmcnt(0)
.LBB2_5202:                             ;   Parent Loop BB2_47 Depth=1
                                        ;     Parent Loop BB2_5097 Depth=2
                                        ;       Parent Loop BB2_5100 Depth=3
                                        ;         Parent Loop BB2_5201 Depth=4
                                        ; =>        This Inner Loop Header: Depth=5
	s_cmp_eq_u32 s34, 1
	s_cselect_b64 vcc, -1, 0
	v_cndmask_b32_e32 v18, v4, v10, vcc
	v_cndmask_b32_e32 v19, v5, v11, vcc
	v_add_co_u32_e64 v16, s[26:27], 64, v18
	s_cmp_eq_u32 s34, 0
	s_waitcnt lgkmcnt(0)
	flat_store_byte v[18:19], v15 glc slc
	v_addc_co_u32_e64 v18, s[26:27], 0, v19, s[26:27]
	s_cselect_b64 s[26:27], -1, 0
	s_and_b64 s[28:29], exec, s[30:31]
	s_mov_b64 s[34:35], 1
	s_mov_b64 s[30:31], 0
	v_cndmask_b32_e32 v11, v11, v18, vcc
	v_cndmask_b32_e32 v10, v10, v16, vcc
	v_cndmask_b32_e64 v5, v5, v18, s[26:27]
	v_cndmask_b32_e64 v4, v4, v16, s[26:27]
	s_mov_b64 vcc, s[28:29]
	s_cbranch_vccnz .LBB2_5202
; %bb.5203:                             ;   in Loop: Header=BB2_5201 Depth=4
	buffer_load_dword v15, off, s[0:3], s33 offset:100 ; 4-byte Folded Reload
	buffer_load_dword v16, off, s[0:3], s33 offset:104 ; 4-byte Folded Reload
	v_sub_u32_e32 v1, v1, v46
	s_waitcnt vmcnt(0)
	v_add_co_u32_e32 v4, vcc, v4, v15
	v_addc_co_u32_e32 v5, vcc, v5, v16, vcc
	v_add_co_u32_e32 v10, vcc, v10, v15
	buffer_load_dword v15, off, s[0:3], s33 offset:108 ; 4-byte Folded Reload
	v_addc_co_u32_e32 v11, vcc, v11, v16, vcc
	v_cmp_gt_i32_e32 vcc, 1, v1
	s_or_b64 s[94:95], vcc, s[94:95]
	s_waitcnt vmcnt(0)
	v_add_co_u32_e32 v8, vcc, v15, v8
	buffer_load_dword v15, off, s[0:3], s33 offset:112 ; 4-byte Folded Reload
	s_waitcnt vmcnt(0)
	v_addc_co_u32_e32 v9, vcc, v15, v9, vcc
	s_andn2_b64 exec, exec, s[94:95]
	s_cbranch_execnz .LBB2_5201
.LBB2_5204:                             ;   in Loop: Header=BB2_5100 Depth=3
	s_or_b64 exec, exec, s[40:41]
	s_mov_b64 s[26:27], 0
.LBB2_5205:                             ;   in Loop: Header=BB2_5100 Depth=3
	s_and_b64 vcc, exec, s[26:27]
	s_cbranch_vccz .LBB2_5234
; %bb.5206:                             ;   in Loop: Header=BB2_5100 Depth=3
	s_mov_b64 s[26:27], -1
	s_and_saveexec_b64 s[28:29], s[20:21]
	s_cbranch_execz .LBB2_5208
; %bb.5207:                             ;   in Loop: Header=BB2_5100 Depth=3
	s_waitcnt vmcnt(0)
	ds_read_b32 v1, v0 offset:720
	s_waitcnt lgkmcnt(0)
	v_and_b32_e32 v1, 15, v1
	v_cmp_eq_u32_e32 vcc, 0, v1
	s_orn2_b64 s[26:27], vcc, exec
.LBB2_5208:                             ;   in Loop: Header=BB2_5100 Depth=3
	s_or_b64 exec, exec, s[28:29]
	s_mov_b64 s[28:29], exec
	s_and_b64 s[40:41], s[28:29], s[18:19]
	v_lshlrev_b32_e32 v11, 11, v35
	s_mov_b64 exec, s[40:41]
	s_cbranch_execz .LBB2_5210
; %bb.5209:                             ;   in Loop: Header=BB2_5100 Depth=3
	s_waitcnt vmcnt(0)
	ds_read_b32 v1, v0 offset:784
	s_waitcnt lgkmcnt(0)
	v_and_b32_e32 v1, 15, v1
	v_cmp_eq_u32_e32 vcc, 0, v1
	s_and_b64 s[40:41], s[26:27], vcc
	s_andn2_b64 s[26:27], s[26:27], exec
	s_and_b64 s[40:41], s[40:41], exec
	s_or_b64 s[26:27], s[26:27], s[40:41]
.LBB2_5210:                             ;   in Loop: Header=BB2_5100 Depth=3
	s_or_b64 exec, exec, s[28:29]
	buffer_load_dword v9, off, s[0:3], s33 offset:116 ; 4-byte Folded Reload
	s_xor_b64 s[26:27], s[26:27], -1
	s_waitcnt vmcnt(0)
	v_cndmask_b32_e64 v1, 0, 1, s[26:27]
	s_mov_b64 s[40:41], -1
	v_mov_b32_e32 v4, 0
	v_cmp_ne_u32_e32 vcc, 0, v1
	v_mov_b32_e32 v5, v2
	v_mov_b32_e32 v8, v47
	s_cbranch_vccz .LBB2_5212
; %bb.5211:                             ;   in Loop: Header=BB2_5100 Depth=3
	s_and_saveexec_b64 s[26:27], s[40:41]
	s_cbranch_execnz .LBB2_5225
	s_branch .LBB2_5233
.LBB2_5212:                             ;   in Loop: Header=BB2_5100 Depth=3
	buffer_load_dword v4, off, s[0:3], s33 offset:116 ; 4-byte Folded Reload
	v_ashrrev_i32_e32 v1, 31, v2
	v_lshrrev_b32_e32 v1, 21, v1
	v_add_u32_e32 v1, v2, v1
	v_ashrrev_i32_e32 v1, 11, v1
	s_waitcnt vmcnt(0)
	v_sub_u32_e32 v10, v1, v4
	v_cmp_lt_i32_e32 vcc, 0, v10
	s_and_saveexec_b64 s[26:27], vcc
	s_cbranch_execz .LBB2_5216
; %bb.5213:                             ;   in Loop: Header=BB2_5100 Depth=3
	buffer_load_dword v8, off, s[0:3], s33 offset:236 ; 4-byte Folded Reload
	buffer_load_dword v9, off, s[0:3], s33 offset:240 ; 4-byte Folded Reload
	s_mov_b64 s[28:29], 0
.LBB2_5214:                             ;   Parent Loop BB2_47 Depth=1
                                        ;     Parent Loop BB2_5097 Depth=2
                                        ;       Parent Loop BB2_5100 Depth=3
                                        ; =>      This Inner Loop Header: Depth=4
	s_waitcnt vmcnt(0)
	v_add_co_u32_e32 v4, vcc, v13, v8
	v_addc_co_u32_e32 v5, vcc, v14, v9, vcc
	global_load_dwordx4 v[39:42], v[4:5], off glc slc
	global_load_dwordx4 v[43:46], v[4:5], off offset:1024 glc slc
	v_add_co_u32_e32 v4, vcc, v54, v8
	v_addc_co_u32_e32 v5, vcc, v55, v9, vcc
	v_add_co_u32_e32 v8, vcc, v8, v11
	v_sub_u32_e32 v10, v10, v35
	v_addc_co_u32_e32 v9, vcc, 0, v9, vcc
	v_cmp_gt_i32_e32 vcc, 1, v10
	s_or_b64 s[28:29], vcc, s[28:29]
	s_waitcnt vmcnt(0)
	global_store_dwordx4 v[4:5], v[39:42], off glc slc
	global_store_dwordx4 v[4:5], v[43:46], off offset:1024 glc slc
	s_andn2_b64 exec, exec, s[28:29]
	s_cbranch_execnz .LBB2_5214
; %bb.5215:                             ;   in Loop: Header=BB2_5100 Depth=3
	s_or_b64 exec, exec, s[28:29]
	buffer_load_dword v43, off, s[0:3], s33 offset:148 ; 4-byte Folded Reload
	buffer_load_dword v46, off, s[0:3], s33 offset:152 ; 4-byte Folded Reload
.LBB2_5216:                             ;   in Loop: Header=BB2_5100 Depth=3
	s_or_b64 exec, exec, s[26:27]
	v_lshlrev_b32_e32 v1, 11, v1
	v_cmp_ne_u32_e32 vcc, v2, v1
	s_mov_b64 s[40:41], 0
	v_mov_b32_e32 v4, 0
                                        ; implicit-def: $vgpr5
                                        ; implicit-def: $vgpr8
                                        ; implicit-def: $vgpr9
	s_and_saveexec_b64 s[28:29], vcc
	s_cbranch_execz .LBB2_5224
; %bb.5217:                             ;   in Loop: Header=BB2_5100 Depth=3
	buffer_load_dword v5, off, s[0:3], s33 offset:184 ; 4-byte Folded Reload
	v_lshlrev_b32_e32 v4, 6, v10
	v_sub_u32_e32 v8, v2, v1
	v_ashrrev_i32_e32 v11, 31, v8
	v_lshrrev_b32_e32 v11, 22, v11
	v_add_u32_e32 v11, v8, v11
	v_ashrrev_i32_e32 v15, 10, v11
	v_and_b32_e32 v11, 0xfffffc00, v11
	v_sub_u32_e32 v16, v8, v11
	v_cmp_lt_i32_e32 vcc, 15, v16
	s_waitcnt vmcnt(0)
	v_sub_u32_e32 v4, v5, v4
	v_ashrrev_i32_e32 v5, 31, v4
	v_lshrrev_b32_e32 v5, 26, v5
	v_add_u32_e32 v5, v4, v5
	v_ashrrev_i32_e32 v9, 6, v5
	v_and_b32_e32 v5, 0xffffffc0, v5
	v_sub_u32_e32 v10, v4, v5
	v_lshlrev_b32_e32 v4, 4, v10
	v_lshl_add_u32 v5, v9, 10, v4
	v_sub_u32_e32 v4, v8, v5
	v_addc_co_u32_e64 v8, s[26:27], 0, v15, vcc
	v_sub_u32_e32 v15, v8, v9
	v_cmp_lt_i32_e64 s[26:27], 15, v4
	s_and_saveexec_b64 s[40:41], s[26:27]
	s_cbranch_execz .LBB2_5221
; %bb.5218:                             ;   in Loop: Header=BB2_5100 Depth=3
	v_add_u32_e32 v5, v5, v1
	v_ashrrev_i32_e32 v8, 31, v5
	s_mov_b64 s[94:95], 0
.LBB2_5219:                             ;   Parent Loop BB2_47 Depth=1
                                        ;     Parent Loop BB2_5097 Depth=2
                                        ;       Parent Loop BB2_5100 Depth=3
                                        ; =>      This Inner Loop Header: Depth=4
	v_add_co_u32_e64 v18, s[26:27], v13, v5
	v_addc_co_u32_e64 v19, s[26:27], v14, v8, s[26:27]
	global_load_dwordx4 v[39:42], v[18:19], off glc slc
	v_add_co_u32_e64 v18, s[26:27], v54, v5
	v_addc_co_u32_e64 v19, s[26:27], v55, v8, s[26:27]
	v_add_co_u32_e64 v5, s[26:27], v5, v34
	v_sub_u32_e32 v4, v4, v34
	v_addc_co_u32_e64 v8, s[26:27], 0, v8, s[26:27]
	v_cmp_gt_i32_e64 s[26:27], 16, v4
	v_sub_u32_e32 v15, v15, v35
	s_or_b64 s[94:95], s[26:27], s[94:95]
	s_waitcnt vmcnt(0)
	global_store_dwordx4 v[18:19], v[39:42], off glc slc
	s_andn2_b64 exec, exec, s[94:95]
	s_cbranch_execnz .LBB2_5219
; %bb.5220:                             ;   in Loop: Header=BB2_5100 Depth=3
	s_or_b64 exec, exec, s[94:95]
.LBB2_5221:                             ;   in Loop: Header=BB2_5100 Depth=3
	s_or_b64 exec, exec, s[40:41]
	v_and_b32_e32 v18, 15, v2
	v_cndmask_b32_e32 v5, v16, v18, vcc
	v_mov_b32_e32 v4, 0
	v_cmp_ne_u32_e64 s[26:27], 0, v5
	s_mov_b64 s[94:95], 0
                                        ; implicit-def: $vgpr8
                                        ; implicit-def: $vgpr9
	s_and_saveexec_b64 s[40:41], s[26:27]
	s_cbranch_execz .LBB2_5223
; %bb.5222:                             ;   in Loop: Header=BB2_5100 Depth=3
	v_sub_u32_e32 v4, v16, v18
	v_cndmask_b32_e32 v4, 0, v4, vcc
	v_cmp_lt_i32_e32 vcc, 0, v15
	v_add3_u32 v4, v11, v1, v4
	v_cndmask_b32_e32 v1, 0, v35, vcc
	v_sub_u32_e32 v1, v1, v15
	v_lshl_add_u32 v8, v1, 6, v10
	v_ashrrev_i32_e32 v1, 31, v8
	v_lshrrev_b32_e32 v1, 26, v1
	v_add_u32_e32 v1, v8, v1
	v_ashrrev_i32_e32 v9, 6, v1
	s_mov_b64 s[94:95], exec
.LBB2_5223:                             ;   in Loop: Header=BB2_5100 Depth=3
	s_or_b64 exec, exec, s[40:41]
	s_and_b64 s[40:41], s[94:95], exec
.LBB2_5224:                             ;   in Loop: Header=BB2_5100 Depth=3
	s_or_b64 exec, exec, s[28:29]
	s_and_saveexec_b64 s[26:27], s[40:41]
	s_cbranch_execz .LBB2_5233
.LBB2_5225:                             ;   in Loop: Header=BB2_5100 Depth=3
	v_ashrrev_i32_e32 v1, 31, v5
	v_lshrrev_b32_e32 v1, 23, v1
	v_add_u32_e32 v1, v5, v1
	v_ashrrev_i32_e32 v11, 9, v1
	v_sub_u32_e32 v1, v11, v9
	v_ashrrev_i32_e32 v10, 31, v8
	v_cmp_lt_i32_e32 vcc, 0, v1
	v_lshrrev_b32_e32 v10, 26, v10
	s_and_saveexec_b64 s[28:29], vcc
	s_cbranch_execz .LBB2_5229
; %bb.5226:                             ;   in Loop: Header=BB2_5100 Depth=3
	v_add_u32_e32 v15, v8, v10
	v_and_b32_e32 v15, 0xffffffc0, v15
	v_sub_u32_e32 v15, v8, v15
	v_lshlrev_b32_e32 v9, 9, v9
	v_add3_u32 v9, v4, v15, v9
	v_ashrrev_i32_e32 v15, 31, v9
	s_mov_b64 s[40:41], 0
.LBB2_5227:                             ;   Parent Loop BB2_47 Depth=1
                                        ;     Parent Loop BB2_5097 Depth=2
                                        ;       Parent Loop BB2_5100 Depth=3
                                        ; =>      This Inner Loop Header: Depth=4
	v_add_co_u32_e32 v18, vcc, v9, v13
	v_addc_co_u32_e32 v19, vcc, v15, v14, vcc
	flat_load_ubyte v16, v[18:19] glc slc
	flat_load_ubyte v25, v[18:19] offset:64 glc slc
	flat_load_ubyte v30, v[18:19] offset:128 glc slc
	;; [unrolled: 1-line block ×7, first 2 shown]
	v_add_co_u32_e32 v18, vcc, v9, v54
	v_addc_co_u32_e32 v19, vcc, v15, v55, vcc
	v_add_co_u32_e32 v13, vcc, v13, v48
	v_addc_co_u32_e32 v14, vcc, 0, v14, vcc
	v_add_co_u32_e32 v54, vcc, v54, v48
	v_sub_u32_e32 v1, v1, v35
	v_addc_co_u32_e32 v55, vcc, 0, v55, vcc
	v_cmp_gt_i32_e32 vcc, 1, v1
	s_or_b64 s[40:41], vcc, s[40:41]
	s_waitcnt vmcnt(0) lgkmcnt(0)
	flat_store_byte v[18:19], v16 glc slc
	flat_store_byte v[18:19], v25 offset:64 glc slc
	flat_store_byte v[18:19], v30 offset:128 glc slc
	;; [unrolled: 1-line block ×7, first 2 shown]
	s_andn2_b64 exec, exec, s[40:41]
	s_cbranch_execnz .LBB2_5227
; %bb.5228:                             ;   in Loop: Header=BB2_5100 Depth=3
	s_or_b64 exec, exec, s[40:41]
.LBB2_5229:                             ;   in Loop: Header=BB2_5100 Depth=3
	s_or_b64 exec, exec, s[28:29]
	v_lshlrev_b32_e32 v9, 9, v11
	v_cmp_ne_u32_e32 vcc, v5, v9
	s_and_b64 exec, exec, vcc
	s_cbranch_execz .LBB2_5233
; %bb.5230:                             ;   in Loop: Header=BB2_5100 Depth=3
	v_add_u32_e32 v10, v8, v10
	v_and_b32_e32 v10, 0xffffffc0, v10
	v_sub_u32_e32 v8, v8, v10
	v_lshlrev_b32_e32 v1, 6, v1
	v_sub_u32_e32 v1, v8, v1
	v_add_u32_e32 v8, v9, v1
	v_sub_u32_e32 v1, v5, v8
	v_cmp_lt_i32_e32 vcc, 0, v1
	s_and_b64 exec, exec, vcc
	s_cbranch_execz .LBB2_5233
; %bb.5231:                             ;   in Loop: Header=BB2_5100 Depth=3
	v_add_u32_e32 v4, v8, v4
	s_trap 2
	ds_read_b64 v[8:9], v0
	v_ashrrev_i32_e32 v5, 31, v4
	s_mov_b64 s[28:29], 0
.LBB2_5232:                             ;   Parent Loop BB2_47 Depth=1
                                        ;     Parent Loop BB2_5097 Depth=2
                                        ;       Parent Loop BB2_5100 Depth=3
                                        ; =>      This Inner Loop Header: Depth=4
	s_waitcnt lgkmcnt(0)
	v_add_co_u32_e32 v10, vcc, v8, v4
	v_addc_co_u32_e32 v11, vcc, v9, v5, vcc
	flat_load_ubyte v13, v[10:11] glc slc
	s_waitcnt vmcnt(0)
	v_add_co_u32_e32 v4, vcc, v4, v46
	v_sub_u32_e32 v1, v1, v46
	v_addc_co_u32_e32 v5, vcc, 0, v5, vcc
	v_cmp_gt_i32_e32 vcc, 1, v1
	s_or_b64 s[28:29], vcc, s[28:29]
	s_waitcnt lgkmcnt(0)
	flat_store_byte v[10:11], v13 glc slc
	s_andn2_b64 exec, exec, s[28:29]
	s_cbranch_execnz .LBB2_5232
.LBB2_5233:                             ;   in Loop: Header=BB2_5100 Depth=3
	s_or_b64 exec, exec, s[26:27]
.LBB2_5234:                             ;   in Loop: Header=BB2_5100 Depth=3
	v_cmp_lt_i32_e64 s[26:27], 0, v2
.LBB2_5235:                             ;   in Loop: Header=BB2_5100 Depth=3
	buffer_load_dword v36, off, s[0:3], s33 offset:120 ; 4-byte Folded Reload
	buffer_load_dword v37, off, s[0:3], s33 offset:124 ; 4-byte Folded Reload
	;; [unrolled: 1-line block ×4, first 2 shown]
	s_and_saveexec_b64 s[28:29], s[10:11]
	s_cbranch_execz .LBB2_5254
.LBB2_5236:                             ;   in Loop: Header=BB2_5100 Depth=3
	s_and_saveexec_b64 s[40:41], s[58:59]
	s_xor_b64 s[40:41], exec, s[40:41]
	s_cbranch_execz .LBB2_5251
; %bb.5237:                             ;   in Loop: Header=BB2_5100 Depth=3
	s_and_saveexec_b64 s[94:95], s[16:17]
	s_cbranch_execz .LBB2_5250
; %bb.5238:                             ;   in Loop: Header=BB2_5100 Depth=3
	s_mov_b64 s[34:35], exec
	s_waitcnt vmcnt(0)
	v_mbcnt_lo_u32_b32 v1, s34, 0
	v_mbcnt_hi_u32_b32 v1, s35, v1
	v_cmp_eq_u32_e32 vcc, 0, v1
	s_waitcnt lgkmcnt(0)
	buffer_wbinvl1_vol
	s_and_saveexec_b64 s[30:31], vcc
	s_cbranch_execz .LBB2_5240
; %bb.5239:                             ;   in Loop: Header=BB2_5100 Depth=3
	s_bcnt1_i32_b64 vcc_lo, s[34:35]
	v_mov_b32_e32 v2, vcc_lo
	ds_add_u64 v0, v[2:3]
	s_trap 2
.LBB2_5240:                             ;   in Loop: Header=BB2_5100 Depth=3
	s_or_b64 exec, exec, s[30:31]
	s_trap 2
	ds_read_b64 v[1:2], v0
	s_waitcnt lgkmcnt(0)
	v_add_co_u32_e32 v28, vcc, v28, v35
	v_addc_co_u32_e32 v29, vcc, 0, v29, vcc
	v_cmp_lt_u64_e32 vcc, v[1:2], v[28:29]
	s_and_saveexec_b64 s[30:31], vcc
	s_cbranch_execz .LBB2_5249
; %bb.5241:                             ;   in Loop: Header=BB2_5100 Depth=3
	s_mov_b32 s52, 0
	s_mov_b64 s[34:35], 0
                                        ; implicit-def: $sgpr36_sgpr37
                                        ; implicit-def: $sgpr38_sgpr39
	s_branch .LBB2_5243
.LBB2_5242:                             ;   in Loop: Header=BB2_5243 Depth=4
	s_or_b64 exec, exec, s[50:51]
	s_and_b64 vcc, exec, vcc
	s_or_b64 s[34:35], vcc, s[34:35]
	s_andn2_b64 vcc, s[36:37], exec
	s_and_b64 s[36:37], s[38:39], exec
	s_or_b64 s[36:37], vcc, s[36:37]
	s_andn2_b64 exec, exec, s[34:35]
	s_cbranch_execz .LBB2_5247
.LBB2_5243:                             ;   Parent Loop BB2_47 Depth=1
                                        ;     Parent Loop BB2_5097 Depth=2
                                        ;       Parent Loop BB2_5100 Depth=3
                                        ; =>      This Inner Loop Header: Depth=4
	s_add_i32 s52, s52, 1
	s_cmpk_lg_i32 s52, 0x2710
	s_cselect_b64 s[48:49], -1, 0
	s_and_b64 vcc, exec, s[48:49]
	s_cbranch_vccz .LBB2_5245
; %bb.5244:                             ;   in Loop: Header=BB2_5243 Depth=4
	s_mov_b64 vcc, -1
	s_or_b64 s[38:39], s[38:39], exec
	s_and_saveexec_b64 s[50:51], s[48:49]
	s_cbranch_execz .LBB2_5242
	s_branch .LBB2_5246
.LBB2_5245:                             ;   in Loop: Header=BB2_5243 Depth=4
	s_trap 2
	ds_read_b64 v[1:2], v0
	s_andn2_b64 s[48:49], s[48:49], exec
	s_mov_b32 s52, 0
	s_waitcnt lgkmcnt(0)
	flat_load_dword v1, v[1:2] glc
	s_waitcnt vmcnt(0) lgkmcnt(0)
	buffer_wbinvl1_vol
	v_cmp_eq_u32_e32 vcc, 0, v1
	s_and_b64 vcc, vcc, exec
	s_or_b64 s[48:49], s[48:49], vcc
	s_mov_b64 vcc, -1
	s_or_b64 s[38:39], s[38:39], exec
	s_and_saveexec_b64 s[50:51], s[48:49]
	s_cbranch_execz .LBB2_5242
.LBB2_5246:                             ;   in Loop: Header=BB2_5243 Depth=4
	s_sleep 1
	s_trap 2
	ds_read_b64 v[1:2], v0
	s_waitcnt lgkmcnt(0)
	s_andn2_b64 s[38:39], s[38:39], exec
	v_cmp_ge_u64_e32 vcc, v[1:2], v[28:29]
	s_orn2_b64 vcc, vcc, exec
	s_branch .LBB2_5242
.LBB2_5247:                             ;   in Loop: Header=BB2_5100 Depth=3
	s_or_b64 exec, exec, s[34:35]
	s_and_saveexec_b64 vcc, s[36:37]
	s_xor_b64 vcc, exec, vcc
	s_cbranch_execz .LBB2_5249
; %bb.5248:                             ;   in Loop: Header=BB2_5100 Depth=3
	v_mov_b32_e32 v1, 1
	ds_write_b32 v0, v1
	s_trap 2
.LBB2_5249:                             ;   in Loop: Header=BB2_5100 Depth=3
	s_or_b64 exec, exec, s[30:31]
	;;#ASMSTART
	s_wakeup
	;;#ASMEND
.LBB2_5250:                             ;   in Loop: Header=BB2_5100 Depth=3
	s_or_b64 exec, exec, s[94:95]
.LBB2_5251:                             ;   in Loop: Header=BB2_5100 Depth=3
	s_andn2_saveexec_b64 s[40:41], s[40:41]
	s_cbranch_execz .LBB2_5253
; %bb.5252:                             ;   in Loop: Header=BB2_5100 Depth=3
	s_waitcnt vmcnt(0) lgkmcnt(0)
	buffer_wbinvl1_vol
	s_barrier
.LBB2_5253:                             ;   in Loop: Header=BB2_5100 Depth=3
	s_or_b64 exec, exec, s[40:41]
.LBB2_5254:                             ;   in Loop: Header=BB2_5100 Depth=3
	s_or_b64 exec, exec, s[28:29]
	v_and_b32_e32 v4, 16, v38
	s_and_saveexec_b64 s[28:29], s[24:25]
	s_xor_b64 s[28:29], exec, s[28:29]
	s_cbranch_execz .LBB2_5258
; %bb.5255:                             ;   in Loop: Header=BB2_5100 Depth=3
	s_waitcnt vmcnt(0)
	v_and_b32_e32 v1, 16, v38
	v_cmp_ne_u32_e32 vcc, 0, v1
	v_and_b32_e32 v4, 16, v38
	s_and_b64 s[40:41], vcc, s[26:27]
	s_and_saveexec_b64 s[26:27], s[40:41]
	s_cbranch_execz .LBB2_5257
; %bb.5256:                             ;   in Loop: Header=BB2_5100 Depth=3
	v_mov_b32_e32 v4, 1
	s_waitcnt lgkmcnt(0)
	buffer_wbinvl1_vol
.LBB2_5257:                             ;   in Loop: Header=BB2_5100 Depth=3
	s_or_b64 exec, exec, s[26:27]
.LBB2_5258:                             ;   in Loop: Header=BB2_5100 Depth=3
	s_andn2_saveexec_b64 s[26:27], s[28:29]
	s_cbranch_execz .LBB2_5277
; %bb.5259:                             ;   in Loop: Header=BB2_5100 Depth=3
	s_and_saveexec_b64 s[28:29], s[58:59]
	s_xor_b64 s[28:29], exec, s[28:29]
	s_cbranch_execz .LBB2_5274
; %bb.5260:                             ;   in Loop: Header=BB2_5100 Depth=3
	s_and_saveexec_b64 s[40:41], s[16:17]
	s_cbranch_execz .LBB2_5273
; %bb.5261:                             ;   in Loop: Header=BB2_5100 Depth=3
	s_mov_b64 s[30:31], exec
	s_waitcnt vmcnt(0)
	v_mbcnt_lo_u32_b32 v1, s30, 0
	v_mbcnt_hi_u32_b32 v1, s31, v1
	v_cmp_eq_u32_e32 vcc, 0, v1
	;;#ASMSTART
	s_waitcnt lgkmcnt(0) vmcnt(0)
	;;#ASMEND
	s_and_saveexec_b64 s[94:95], vcc
	s_cbranch_execz .LBB2_5263
; %bb.5262:                             ;   in Loop: Header=BB2_5100 Depth=3
	s_bcnt1_i32_b64 vcc_lo, s[30:31]
	v_mov_b32_e32 v2, vcc_lo
	s_waitcnt lgkmcnt(0)
	ds_add_u64 v0, v[2:3]
	s_trap 2
.LBB2_5263:                             ;   in Loop: Header=BB2_5100 Depth=3
	s_or_b64 exec, exec, s[94:95]
	s_trap 2
	ds_read_b64 v[1:2], v0
	s_waitcnt lgkmcnt(0)
	v_add_co_u32_e32 v28, vcc, v28, v35
	v_addc_co_u32_e32 v29, vcc, 0, v29, vcc
	v_cmp_lt_u64_e32 vcc, v[1:2], v[28:29]
	s_and_saveexec_b64 s[94:95], vcc
	s_cbranch_execz .LBB2_5272
; %bb.5264:                             ;   in Loop: Header=BB2_5100 Depth=3
	s_mov_b32 s50, 0
	s_mov_b64 s[30:31], 0
                                        ; implicit-def: $sgpr34_sgpr35
                                        ; implicit-def: $sgpr36_sgpr37
	s_branch .LBB2_5266
.LBB2_5265:                             ;   in Loop: Header=BB2_5266 Depth=4
	s_or_b64 exec, exec, s[48:49]
	s_and_b64 vcc, exec, vcc
	s_or_b64 s[30:31], vcc, s[30:31]
	s_andn2_b64 vcc, s[34:35], exec
	s_and_b64 s[34:35], s[36:37], exec
	s_or_b64 s[34:35], vcc, s[34:35]
	s_andn2_b64 exec, exec, s[30:31]
	s_cbranch_execz .LBB2_5270
.LBB2_5266:                             ;   Parent Loop BB2_47 Depth=1
                                        ;     Parent Loop BB2_5097 Depth=2
                                        ;       Parent Loop BB2_5100 Depth=3
                                        ; =>      This Inner Loop Header: Depth=4
	s_add_i32 s50, s50, 1
	s_cmpk_lg_i32 s50, 0x2710
	s_cselect_b64 s[38:39], -1, 0
	s_and_b64 vcc, exec, s[38:39]
	s_cbranch_vccz .LBB2_5268
; %bb.5267:                             ;   in Loop: Header=BB2_5266 Depth=4
	s_mov_b64 vcc, -1
	s_or_b64 s[36:37], s[36:37], exec
	s_and_saveexec_b64 s[48:49], s[38:39]
	s_cbranch_execz .LBB2_5265
	s_branch .LBB2_5269
.LBB2_5268:                             ;   in Loop: Header=BB2_5266 Depth=4
	s_trap 2
	ds_read_b64 v[1:2], v0
	s_andn2_b64 s[38:39], s[38:39], exec
	s_mov_b32 s50, 0
	s_waitcnt lgkmcnt(0)
	flat_load_dword v1, v[1:2] glc
	s_waitcnt vmcnt(0) lgkmcnt(0)
	buffer_wbinvl1_vol
	v_cmp_eq_u32_e32 vcc, 0, v1
	s_and_b64 vcc, vcc, exec
	s_or_b64 s[38:39], s[38:39], vcc
	s_mov_b64 vcc, -1
	s_or_b64 s[36:37], s[36:37], exec
	s_and_saveexec_b64 s[48:49], s[38:39]
	s_cbranch_execz .LBB2_5265
.LBB2_5269:                             ;   in Loop: Header=BB2_5266 Depth=4
	s_sleep 1
	s_trap 2
	ds_read_b64 v[1:2], v0
	s_waitcnt lgkmcnt(0)
	s_andn2_b64 s[36:37], s[36:37], exec
	v_cmp_ge_u64_e32 vcc, v[1:2], v[28:29]
	s_orn2_b64 vcc, vcc, exec
	s_branch .LBB2_5265
.LBB2_5270:                             ;   in Loop: Header=BB2_5100 Depth=3
	s_or_b64 exec, exec, s[30:31]
	s_and_saveexec_b64 vcc, s[34:35]
	s_xor_b64 vcc, exec, vcc
	s_cbranch_execz .LBB2_5272
; %bb.5271:                             ;   in Loop: Header=BB2_5100 Depth=3
	v_mov_b32_e32 v1, 1
	ds_write_b32 v0, v1
	s_trap 2
.LBB2_5272:                             ;   in Loop: Header=BB2_5100 Depth=3
	s_or_b64 exec, exec, s[94:95]
	;;#ASMSTART
	s_wakeup
	;;#ASMEND
.LBB2_5273:                             ;   in Loop: Header=BB2_5100 Depth=3
	s_or_b64 exec, exec, s[40:41]
.LBB2_5274:                             ;   in Loop: Header=BB2_5100 Depth=3
	s_andn2_saveexec_b64 s[28:29], s[28:29]
	s_cbranch_execz .LBB2_5276
; %bb.5275:                             ;   in Loop: Header=BB2_5100 Depth=3
	;;#ASMSTART
	s_waitcnt lgkmcnt(0) vmcnt(0)
	;;#ASMEND
	s_waitcnt vmcnt(0) lgkmcnt(0)
	s_barrier
.LBB2_5276:                             ;   in Loop: Header=BB2_5100 Depth=3
	s_or_b64 exec, exec, s[28:29]
.LBB2_5277:                             ;   in Loop: Header=BB2_5100 Depth=3
	s_or_b64 exec, exec, s[26:27]
	v_cmp_ne_u32_e32 vcc, 0, v4
	s_xor_b64 s[26:27], s[12:13], -1
	s_and_b64 s[28:29], vcc, s[26:27]
	s_and_saveexec_b64 s[26:27], s[28:29]
	s_cbranch_execz .LBB2_5279
; %bb.5278:                             ;   in Loop: Header=BB2_5100 Depth=3
	buffer_load_dword v1, off, s[0:3], s33 offset:92 ; 4-byte Folded Reload
	buffer_load_dword v2, off, s[0:3], s33 offset:96 ; 4-byte Folded Reload
	v_mov_b32_e32 v4, 1
	s_waitcnt vmcnt(0)
	flat_store_dword v[1:2], v4
.LBB2_5279:                             ;   in Loop: Header=BB2_5100 Depth=3
	s_or_b64 exec, exec, s[26:27]
	s_waitcnt vmcnt(0)
	v_and_b32_e32 v1, 48, v38
	v_cmp_ne_u32_e32 vcc, 0, v1
	s_and_saveexec_b64 s[26:27], vcc
	s_cbranch_execz .LBB2_5099
; %bb.5280:                             ;   in Loop: Header=BB2_5100 Depth=3
	v_add_co_u32_e32 v50, vcc, 2, v50
	v_addc_co_u32_e32 v51, vcc, 0, v51, vcc
	flat_store_dwordx2 v[22:23], v[50:51]
	s_branch .LBB2_5099
.LBB2_5281:                             ;   in Loop: Header=BB2_5097 Depth=2
	s_or_b64 exec, exec, s[42:43]
	v_cmp_gt_i32_e32 vcc, 2, v1
	s_and_saveexec_b64 s[28:29], vcc
	s_cbranch_execz .LBB2_5357
.LBB2_5282:                             ;   in Loop: Header=BB2_5097 Depth=2
	v_cmp_eq_u32_e64 s[42:43], 0, v1
	s_mov_b64 s[40:41], 0
	s_branch .LBB2_5284
.LBB2_5283:                             ;   in Loop: Header=BB2_5284 Depth=3
	s_or_b64 exec, exec, s[26:27]
	v_add_u32_e32 v20, v12, v20
	s_mov_b64 s[42:43], 0
	s_andn2_b64 exec, exec, s[40:41]
	s_cbranch_execz .LBB2_5358
.LBB2_5284:                             ;   Parent Loop BB2_47 Depth=1
                                        ;     Parent Loop BB2_5097 Depth=2
                                        ; =>    This Loop Header: Depth=3
                                        ;         Child Loop BB2_5290 Depth 4
                                        ;         Child Loop BB2_5318 Depth 4
	;; [unrolled: 1-line block ×3, first 2 shown]
	v_sub_u32_e32 v1, v17, v20
	v_min_i32_e32 v12, v12, v1
	v_and_b32_e32 v1, 12, v38
	v_cmp_ne_u32_e32 vcc, 0, v1
	s_and_saveexec_b64 s[90:91], vcc
	s_cbranch_execz .LBB2_5310
; %bb.5285:                             ;   in Loop: Header=BB2_5284 Depth=3
	v_and_b32_e32 v2, 8, v38
	s_waitcnt lgkmcnt(0)
	v_add_co_u32_e32 v4, vcc, v32, v2
	v_addc_co_u32_e32 v5, vcc, 0, v33, vcc
	v_add_co_u32_e32 v8, vcc, 2, v50
	v_addc_co_u32_e32 v9, vcc, 0, v51, vcc
	v_cmp_lt_u64_e32 vcc, v[4:5], v[8:9]
	s_and_saveexec_b64 s[92:93], vcc
	s_cbranch_execz .LBB2_5297
; %bb.5286:                             ;   in Loop: Header=BB2_5284 Depth=3
	v_and_b32_e32 v1, 64, v38
	s_mov_b32 s9, 0
	v_cmp_eq_u32_e32 vcc, 0, v1
	s_mov_b64 s[94:95], 0
                                        ; implicit-def: $sgpr30_sgpr31
                                        ; implicit-def: $sgpr34_sgpr35
                                        ; implicit-def: $sgpr36_sgpr37
	s_branch .LBB2_5290
.LBB2_5287:                             ;   in Loop: Header=BB2_5290 Depth=4
	s_waitcnt vmcnt(0) lgkmcnt(0)
	v_add_co_u32_e64 v4, s[26:27], v32, v2
	v_addc_co_u32_e64 v5, s[26:27], 0, v33, s[26:27]
	v_cmp_ge_u64_e64 s[26:27], v[4:5], v[8:9]
	s_or_b64 s[50:51], s[50:51], exec
	s_orn2_b64 s[48:49], s[26:27], exec
.LBB2_5288:                             ;   in Loop: Header=BB2_5290 Depth=4
	s_or_b64 exec, exec, s[54:55]
	s_andn2_b64 s[26:27], s[36:37], exec
	s_and_b64 s[36:37], s[50:51], exec
	s_or_b64 s[36:37], s[26:27], s[36:37]
	s_andn2_b64 s[26:27], s[34:35], exec
	s_and_b64 s[34:35], s[48:49], exec
	s_or_b64 s[34:35], s[26:27], s[34:35]
.LBB2_5289:                             ;   in Loop: Header=BB2_5290 Depth=4
	s_or_b64 exec, exec, s[38:39]
	s_and_b64 s[26:27], exec, s[34:35]
	s_or_b64 s[94:95], s[26:27], s[94:95]
	s_andn2_b64 s[26:27], s[30:31], exec
	s_and_b64 s[30:31], s[36:37], exec
	s_or_b64 s[30:31], s[26:27], s[30:31]
	s_andn2_b64 exec, exec, s[94:95]
	s_cbranch_execz .LBB2_5294
.LBB2_5290:                             ;   Parent Loop BB2_47 Depth=1
                                        ;     Parent Loop BB2_5097 Depth=2
                                        ;       Parent Loop BB2_5284 Depth=3
                                        ; =>      This Inner Loop Header: Depth=4
	s_sleep 1
	s_waitcnt vmcnt(0) lgkmcnt(0)
	flat_load_dwordx2 v[32:33], v[22:23] glc
	s_or_b64 s[36:37], s[36:37], exec
	s_or_b64 s[34:35], s[34:35], exec
                                        ; implicit-def: $vgpr1
	s_and_saveexec_b64 s[38:39], vcc
	s_cbranch_execz .LBB2_5289
; %bb.5291:                             ;   in Loop: Header=BB2_5290 Depth=4
	s_cmpk_lt_i32 s9, 0x270f
	s_cselect_b64 s[52:53], -1, 0
	s_cmpk_gt_i32 s9, 0x270e
	s_mov_b64 s[48:49], -1
	s_cbranch_scc0 .LBB2_5293
; %bb.5292:                             ;   in Loop: Header=BB2_5290 Depth=4
	s_trap 2
	ds_read_b64 v[4:5], v0
	s_andn2_b64 s[52:53], s[52:53], exec
	s_mov_b32 s9, 0
	s_mov_b64 s[50:51], 0
	s_waitcnt vmcnt(0) lgkmcnt(0)
	flat_load_dword v1, v[4:5] glc
	s_waitcnt vmcnt(0) lgkmcnt(0)
	buffer_wbinvl1_vol
	v_cmp_eq_u32_e64 s[26:27], 0, v1
	s_and_b64 s[26:27], s[26:27], exec
	s_or_b64 s[52:53], s[52:53], s[26:27]
	s_and_saveexec_b64 s[54:55], s[52:53]
	s_cbranch_execz .LBB2_5288
	s_branch .LBB2_5287
.LBB2_5293:                             ;   in Loop: Header=BB2_5290 Depth=4
	s_add_i32 s9, s9, 1
	s_mov_b64 s[50:51], -1
                                        ; implicit-def: $vgpr1
	s_and_saveexec_b64 s[54:55], s[52:53]
	s_cbranch_execz .LBB2_5288
	s_branch .LBB2_5287
.LBB2_5294:                             ;   in Loop: Header=BB2_5284 Depth=3
	s_or_b64 exec, exec, s[94:95]
	s_xor_b64 s[26:27], s[30:31], -1
	s_and_saveexec_b64 s[94:95], s[26:27]
	s_xor_b64 s[26:27], exec, s[94:95]
	s_cbranch_execz .LBB2_5296
; %bb.5295:                             ;   in Loop: Header=BB2_5284 Depth=3
	v_or_b32_e32 v38, 64, v38
	s_waitcnt lgkmcnt(0)
	ds_write_b32 v0, v1
	s_trap 2
.LBB2_5296:                             ;   in Loop: Header=BB2_5284 Depth=3
	s_or_b64 exec, exec, s[26:27]
.LBB2_5297:                             ;   in Loop: Header=BB2_5284 Depth=3
	s_or_b64 exec, exec, s[92:93]
	v_and_b32_e32 v1, 0x108, v38
	v_cmp_ne_u32_e32 vcc, s69, v1
	;;#ASMSTART
	s_wakeup
	;;#ASMEND
	s_and_saveexec_b64 s[26:27], vcc
	s_xor_b64 s[26:27], exec, s[26:27]
                                        ; implicit-def: $vgpr1
; %bb.5298:                             ;   in Loop: Header=BB2_5284 Depth=3
	v_and_b32_e32 v1, 7, v50
                                        ; implicit-def: $vgpr50_vgpr51
; %bb.5299:                             ;   in Loop: Header=BB2_5284 Depth=3
	s_andn2_saveexec_b64 s[26:27], s[26:27]
	s_cbranch_execz .LBB2_5301
; %bb.5300:                             ;   in Loop: Header=BB2_5284 Depth=3
	buffer_load_dword v13, off, s[0:3], s33 offset:76 ; 4-byte Folded Reload
	buffer_load_dword v14, off, s[0:3], s33 offset:80 ; 4-byte Folded Reload
	;; [unrolled: 1-line block ×4, first 2 shown]
	v_and_b32_e32 v1, 7, v50
	s_waitcnt vmcnt(0)
	v_mad_u64_u32 v[4:5], s[92:93], v1, 24, v[13:14]
	v_ashrrev_i32_e32 v13, 31, v12
	flat_store_dwordx2 v[4:5], v[12:13] offset:8
.LBB2_5301:                             ;   in Loop: Header=BB2_5284 Depth=3
	s_or_b64 exec, exec, s[26:27]
	v_and_b32_e32 v4, 0x100, v38
	v_cmp_ne_u32_e32 vcc, 0, v4
	s_mov_b64 s[26:27], -1
                                        ; implicit-def: $vgpr10_vgpr11
	s_and_saveexec_b64 s[92:93], vcc
	s_cbranch_execz .LBB2_5305
; %bb.5302:                             ;   in Loop: Header=BB2_5284 Depth=3
	buffer_load_dword v13, off, s[0:3], s33 offset:76 ; 4-byte Folded Reload
	buffer_load_dword v14, off, s[0:3], s33 offset:80 ; 4-byte Folded Reload
	;; [unrolled: 1-line block ×4, first 2 shown]
	s_waitcnt vmcnt(0)
	v_mad_u64_u32 v[4:5], s[26:27], v1, 24, v[13:14]
	v_mad_u64_u32 v[10:11], s[26:27], v3, 24, v[5:6]
	v_mov_b32_e32 v5, v10
	flat_load_dword v10, v[4:5]
	s_waitcnt vmcnt(0) lgkmcnt(0)
	v_cmp_ne_u32_e32 vcc, 1, v10
	v_cmp_eq_u32_e64 s[26:27], 1, v10
                                        ; implicit-def: $vgpr10_vgpr11
	s_and_saveexec_b64 s[94:95], s[26:27]
	s_cbranch_execz .LBB2_5304
; %bb.5303:                             ;   in Loop: Header=BB2_5284 Depth=3
	flat_load_dword v10, v[4:5] offset:4 glc
	s_waitcnt vmcnt(0) lgkmcnt(0)
	v_ashrrev_i32_e32 v11, 31, v10
.LBB2_5304:                             ;   in Loop: Header=BB2_5284 Depth=3
	s_or_b64 exec, exec, s[94:95]
	s_orn2_b64 s[26:27], vcc, exec
.LBB2_5305:                             ;   in Loop: Header=BB2_5284 Depth=3
	s_or_b64 exec, exec, s[92:93]
	s_and_saveexec_b64 s[92:93], s[26:27]
	s_cbranch_execz .LBB2_5307
; %bb.5306:                             ;   in Loop: Header=BB2_5284 Depth=3
	v_mul_lo_u32 v4, v3, v56
	v_mul_lo_u32 v5, v1, v43
	v_mad_u64_u32 v[10:11], s[26:27], v1, v56, 0
	v_add3_u32 v11, v11, v5, v4
.LBB2_5307:                             ;   in Loop: Header=BB2_5284 Depth=3
	s_or_b64 exec, exec, s[92:93]
	v_cmp_eq_u32_e32 vcc, 0, v2
	v_mov_b32_e32 v1, 0xd0
	v_mov_b32_e32 v2, 0x88
	v_cndmask_b32_e32 v4, v1, v2, vcc
	buffer_load_dword v1, off, s[0:3], s33 offset:68 ; 4-byte Folded Reload
	buffer_load_dword v2, off, s[0:3], s33 offset:72 ; 4-byte Folded Reload
	v_add_u32_e32 v4, v0, v4
	s_waitcnt vmcnt(0)
	v_add_co_u32_e32 v1, vcc, v1, v10
	v_addc_co_u32_e32 v2, vcc, v2, v11, vcc
	ds_write_b64 v4, v[1:2] offset:584
	v_and_b32_e32 v1, 0x2000, v38
	v_cmp_ne_u32_e32 vcc, 0, v1
	s_and_saveexec_b64 s[26:27], vcc
	s_cbranch_execz .LBB2_5309
; %bb.5308:                             ;   in Loop: Header=BB2_5284 Depth=3
	ds_read_b64 v[1:2], v0 offset:872
	s_waitcnt lgkmcnt(0)
	v_add_co_u32_e32 v1, vcc, 1, v1
	v_addc_co_u32_e32 v2, vcc, 0, v2, vcc
	ds_write_b64 v0, v[1:2] offset:872
.LBB2_5309:                             ;   in Loop: Header=BB2_5284 Depth=3
	s_or_b64 exec, exec, s[26:27]
	v_mov_b32_e32 v51, v9
	v_mov_b32_e32 v50, v8
.LBB2_5310:                             ;   in Loop: Header=BB2_5284 Depth=3
	s_or_b64 exec, exec, s[90:91]
	s_xor_b64 s[26:27], s[42:43], -1
	s_and_b64 s[26:27], exec, s[26:27]
	s_or_b64 s[40:41], s[26:27], s[40:41]
	s_and_saveexec_b64 s[26:27], s[10:11]
	s_cbranch_execz .LBB2_5329
; %bb.5311:                             ;   in Loop: Header=BB2_5284 Depth=3
	s_and_saveexec_b64 s[42:43], s[58:59]
	s_xor_b64 s[42:43], exec, s[42:43]
	s_cbranch_execz .LBB2_5326
; %bb.5312:                             ;   in Loop: Header=BB2_5284 Depth=3
	s_and_saveexec_b64 s[90:91], s[16:17]
	s_cbranch_execz .LBB2_5325
; %bb.5313:                             ;   in Loop: Header=BB2_5284 Depth=3
	s_mov_b64 s[94:95], exec
	v_mbcnt_lo_u32_b32 v1, s94, 0
	v_mbcnt_hi_u32_b32 v1, s95, v1
	v_cmp_eq_u32_e32 vcc, 0, v1
	s_waitcnt vmcnt(0) lgkmcnt(0)
	buffer_wbinvl1_vol
	s_and_saveexec_b64 s[92:93], vcc
	s_cbranch_execz .LBB2_5315
; %bb.5314:                             ;   in Loop: Header=BB2_5284 Depth=3
	s_bcnt1_i32_b64 s9, s[94:95]
	v_mov_b32_e32 v2, s9
	ds_add_u64 v0, v[2:3]
	s_trap 2
.LBB2_5315:                             ;   in Loop: Header=BB2_5284 Depth=3
	s_or_b64 exec, exec, s[92:93]
	s_trap 2
	ds_read_b64 v[1:2], v0
	s_waitcnt lgkmcnt(0)
	v_add_co_u32_e32 v28, vcc, v28, v35
	v_addc_co_u32_e32 v29, vcc, 0, v29, vcc
	v_cmp_lt_u64_e32 vcc, v[1:2], v[28:29]
	s_and_saveexec_b64 s[92:93], vcc
	s_cbranch_execz .LBB2_5324
; %bb.5316:                             ;   in Loop: Header=BB2_5284 Depth=3
	s_mov_b32 s9, 0
	s_mov_b64 s[94:95], 0
                                        ; implicit-def: $sgpr30_sgpr31
                                        ; implicit-def: $sgpr34_sgpr35
	s_branch .LBB2_5318
.LBB2_5317:                             ;   in Loop: Header=BB2_5318 Depth=4
	s_or_b64 exec, exec, s[38:39]
	s_and_b64 vcc, exec, vcc
	s_or_b64 s[94:95], vcc, s[94:95]
	s_andn2_b64 vcc, s[30:31], exec
	s_and_b64 s[30:31], s[34:35], exec
	s_or_b64 s[30:31], vcc, s[30:31]
	s_andn2_b64 exec, exec, s[94:95]
	s_cbranch_execz .LBB2_5322
.LBB2_5318:                             ;   Parent Loop BB2_47 Depth=1
                                        ;     Parent Loop BB2_5097 Depth=2
                                        ;       Parent Loop BB2_5284 Depth=3
                                        ; =>      This Inner Loop Header: Depth=4
	s_add_i32 s9, s9, 1
	s_cmpk_lg_i32 s9, 0x2710
	s_cselect_b64 s[36:37], -1, 0
	s_and_b64 vcc, exec, s[36:37]
	s_cbranch_vccz .LBB2_5320
; %bb.5319:                             ;   in Loop: Header=BB2_5318 Depth=4
	s_mov_b64 vcc, -1
	s_or_b64 s[34:35], s[34:35], exec
	s_and_saveexec_b64 s[38:39], s[36:37]
	s_cbranch_execz .LBB2_5317
	s_branch .LBB2_5321
.LBB2_5320:                             ;   in Loop: Header=BB2_5318 Depth=4
	s_trap 2
	ds_read_b64 v[1:2], v0
	s_andn2_b64 s[36:37], s[36:37], exec
	s_mov_b32 s9, 0
	s_waitcnt lgkmcnt(0)
	flat_load_dword v1, v[1:2] glc
	s_waitcnt vmcnt(0) lgkmcnt(0)
	buffer_wbinvl1_vol
	v_cmp_eq_u32_e32 vcc, 0, v1
	s_and_b64 vcc, vcc, exec
	s_or_b64 s[36:37], s[36:37], vcc
	s_mov_b64 vcc, -1
	s_or_b64 s[34:35], s[34:35], exec
	s_and_saveexec_b64 s[38:39], s[36:37]
	s_cbranch_execz .LBB2_5317
.LBB2_5321:                             ;   in Loop: Header=BB2_5318 Depth=4
	s_sleep 1
	s_trap 2
	ds_read_b64 v[1:2], v0
	s_waitcnt lgkmcnt(0)
	s_andn2_b64 s[34:35], s[34:35], exec
	v_cmp_ge_u64_e32 vcc, v[1:2], v[28:29]
	s_orn2_b64 vcc, vcc, exec
	s_branch .LBB2_5317
.LBB2_5322:                             ;   in Loop: Header=BB2_5284 Depth=3
	s_or_b64 exec, exec, s[94:95]
	s_and_saveexec_b64 s[94:95], s[30:31]
	s_xor_b64 s[94:95], exec, s[94:95]
	s_cbranch_execz .LBB2_5324
; %bb.5323:                             ;   in Loop: Header=BB2_5284 Depth=3
	v_mov_b32_e32 v1, 1
	ds_write_b32 v0, v1
	s_trap 2
.LBB2_5324:                             ;   in Loop: Header=BB2_5284 Depth=3
	s_or_b64 exec, exec, s[92:93]
	;;#ASMSTART
	s_wakeup
	;;#ASMEND
.LBB2_5325:                             ;   in Loop: Header=BB2_5284 Depth=3
	s_or_b64 exec, exec, s[90:91]
.LBB2_5326:                             ;   in Loop: Header=BB2_5284 Depth=3
	s_andn2_saveexec_b64 s[42:43], s[42:43]
	s_cbranch_execz .LBB2_5328
; %bb.5327:                             ;   in Loop: Header=BB2_5284 Depth=3
	s_waitcnt vmcnt(0) lgkmcnt(0)
	buffer_wbinvl1_vol
	s_barrier
.LBB2_5328:                             ;   in Loop: Header=BB2_5284 Depth=3
	s_or_b64 exec, exec, s[42:43]
.LBB2_5329:                             ;   in Loop: Header=BB2_5284 Depth=3
	s_or_b64 exec, exec, s[26:27]
	v_and_b32_e32 v4, 16, v38
	s_and_saveexec_b64 s[26:27], s[24:25]
	s_xor_b64 s[26:27], exec, s[26:27]
	s_cbranch_execz .LBB2_5333
; %bb.5330:                             ;   in Loop: Header=BB2_5284 Depth=3
	s_trap 2
	ds_read_b32 v1, v0
	v_cmp_lt_i32_e32 vcc, 0, v12
	v_and_b32_e32 v4, 16, v38
	s_waitcnt lgkmcnt(0)
	v_readfirstlane_b32 s9, v1
	s_cmp_eq_u32 s9, 0
	s_cselect_b64 s[42:43], -1, 0
	v_and_b32_e32 v1, 16, v38
	s_and_b64 s[42:43], vcc, s[42:43]
	v_cmp_ne_u32_e32 vcc, 0, v1
	s_and_b64 s[90:91], vcc, s[42:43]
	s_and_saveexec_b64 s[42:43], s[90:91]
	s_cbranch_execz .LBB2_5332
; %bb.5331:                             ;   in Loop: Header=BB2_5284 Depth=3
	v_mov_b32_e32 v4, 1
	s_waitcnt vmcnt(0)
	buffer_wbinvl1_vol
.LBB2_5332:                             ;   in Loop: Header=BB2_5284 Depth=3
	s_or_b64 exec, exec, s[42:43]
.LBB2_5333:                             ;   in Loop: Header=BB2_5284 Depth=3
	s_andn2_saveexec_b64 s[26:27], s[26:27]
	s_cbranch_execz .LBB2_5352
; %bb.5334:                             ;   in Loop: Header=BB2_5284 Depth=3
	s_and_saveexec_b64 s[42:43], s[58:59]
	s_xor_b64 s[42:43], exec, s[42:43]
	s_cbranch_execz .LBB2_5349
; %bb.5335:                             ;   in Loop: Header=BB2_5284 Depth=3
	s_and_saveexec_b64 s[90:91], s[16:17]
	s_cbranch_execz .LBB2_5348
; %bb.5336:                             ;   in Loop: Header=BB2_5284 Depth=3
	s_mov_b64 s[94:95], exec
	v_mbcnt_lo_u32_b32 v1, s94, 0
	v_mbcnt_hi_u32_b32 v1, s95, v1
	v_cmp_eq_u32_e32 vcc, 0, v1
	;;#ASMSTART
	s_waitcnt lgkmcnt(0) vmcnt(0)
	;;#ASMEND
	s_and_saveexec_b64 s[92:93], vcc
	s_cbranch_execz .LBB2_5338
; %bb.5337:                             ;   in Loop: Header=BB2_5284 Depth=3
	s_bcnt1_i32_b64 s9, s[94:95]
	v_mov_b32_e32 v2, s9
	s_waitcnt lgkmcnt(0)
	ds_add_u64 v0, v[2:3]
	s_trap 2
.LBB2_5338:                             ;   in Loop: Header=BB2_5284 Depth=3
	s_or_b64 exec, exec, s[92:93]
	s_trap 2
	ds_read_b64 v[1:2], v0
	s_waitcnt lgkmcnt(0)
	v_add_co_u32_e32 v28, vcc, v28, v35
	v_addc_co_u32_e32 v29, vcc, 0, v29, vcc
	v_cmp_lt_u64_e32 vcc, v[1:2], v[28:29]
	s_and_saveexec_b64 s[92:93], vcc
	s_cbranch_execz .LBB2_5347
; %bb.5339:                             ;   in Loop: Header=BB2_5284 Depth=3
	s_mov_b32 s9, 0
	s_mov_b64 s[94:95], 0
                                        ; implicit-def: $sgpr30_sgpr31
                                        ; implicit-def: $sgpr34_sgpr35
	s_branch .LBB2_5341
.LBB2_5340:                             ;   in Loop: Header=BB2_5341 Depth=4
	s_or_b64 exec, exec, s[38:39]
	s_and_b64 vcc, exec, vcc
	s_or_b64 s[94:95], vcc, s[94:95]
	s_andn2_b64 vcc, s[30:31], exec
	s_and_b64 s[30:31], s[34:35], exec
	s_or_b64 s[30:31], vcc, s[30:31]
	s_andn2_b64 exec, exec, s[94:95]
	s_cbranch_execz .LBB2_5345
.LBB2_5341:                             ;   Parent Loop BB2_47 Depth=1
                                        ;     Parent Loop BB2_5097 Depth=2
                                        ;       Parent Loop BB2_5284 Depth=3
                                        ; =>      This Inner Loop Header: Depth=4
	s_add_i32 s9, s9, 1
	s_cmpk_lg_i32 s9, 0x2710
	s_cselect_b64 s[36:37], -1, 0
	s_and_b64 vcc, exec, s[36:37]
	s_cbranch_vccz .LBB2_5343
; %bb.5342:                             ;   in Loop: Header=BB2_5341 Depth=4
	s_mov_b64 vcc, -1
	s_or_b64 s[34:35], s[34:35], exec
	s_and_saveexec_b64 s[38:39], s[36:37]
	s_cbranch_execz .LBB2_5340
	s_branch .LBB2_5344
.LBB2_5343:                             ;   in Loop: Header=BB2_5341 Depth=4
	s_trap 2
	ds_read_b64 v[1:2], v0
	s_andn2_b64 s[36:37], s[36:37], exec
	s_mov_b32 s9, 0
	s_waitcnt vmcnt(0) lgkmcnt(0)
	flat_load_dword v1, v[1:2] glc
	s_waitcnt vmcnt(0) lgkmcnt(0)
	buffer_wbinvl1_vol
	v_cmp_eq_u32_e32 vcc, 0, v1
	s_and_b64 vcc, vcc, exec
	s_or_b64 s[36:37], s[36:37], vcc
	s_mov_b64 vcc, -1
	s_or_b64 s[34:35], s[34:35], exec
	s_and_saveexec_b64 s[38:39], s[36:37]
	s_cbranch_execz .LBB2_5340
.LBB2_5344:                             ;   in Loop: Header=BB2_5341 Depth=4
	s_sleep 1
	s_trap 2
	ds_read_b64 v[1:2], v0
	s_waitcnt lgkmcnt(0)
	s_andn2_b64 s[34:35], s[34:35], exec
	v_cmp_ge_u64_e32 vcc, v[1:2], v[28:29]
	s_orn2_b64 vcc, vcc, exec
	s_branch .LBB2_5340
.LBB2_5345:                             ;   in Loop: Header=BB2_5284 Depth=3
	s_or_b64 exec, exec, s[94:95]
	s_and_saveexec_b64 s[94:95], s[30:31]
	s_xor_b64 s[94:95], exec, s[94:95]
	s_cbranch_execz .LBB2_5347
; %bb.5346:                             ;   in Loop: Header=BB2_5284 Depth=3
	v_mov_b32_e32 v1, 1
	ds_write_b32 v0, v1
	s_trap 2
.LBB2_5347:                             ;   in Loop: Header=BB2_5284 Depth=3
	s_or_b64 exec, exec, s[92:93]
	;;#ASMSTART
	s_wakeup
	;;#ASMEND
.LBB2_5348:                             ;   in Loop: Header=BB2_5284 Depth=3
	s_or_b64 exec, exec, s[90:91]
.LBB2_5349:                             ;   in Loop: Header=BB2_5284 Depth=3
	s_andn2_saveexec_b64 s[42:43], s[42:43]
	s_cbranch_execz .LBB2_5351
; %bb.5350:                             ;   in Loop: Header=BB2_5284 Depth=3
	;;#ASMSTART
	s_waitcnt lgkmcnt(0) vmcnt(0)
	;;#ASMEND
	s_waitcnt vmcnt(0) lgkmcnt(0)
	s_barrier
.LBB2_5351:                             ;   in Loop: Header=BB2_5284 Depth=3
	s_or_b64 exec, exec, s[42:43]
.LBB2_5352:                             ;   in Loop: Header=BB2_5284 Depth=3
	s_or_b64 exec, exec, s[26:27]
	v_cmp_ne_u32_e32 vcc, 0, v4
	s_xor_b64 s[26:27], s[12:13], -1
	s_and_b64 s[42:43], vcc, s[26:27]
	s_and_saveexec_b64 s[26:27], s[42:43]
	s_cbranch_execz .LBB2_5354
; %bb.5353:                             ;   in Loop: Header=BB2_5284 Depth=3
	buffer_load_dword v1, off, s[0:3], s33 offset:92 ; 4-byte Folded Reload
	buffer_load_dword v2, off, s[0:3], s33 offset:96 ; 4-byte Folded Reload
	v_mov_b32_e32 v4, 1
	s_waitcnt vmcnt(0)
	flat_store_dword v[1:2], v4
.LBB2_5354:                             ;   in Loop: Header=BB2_5284 Depth=3
	s_or_b64 exec, exec, s[26:27]
	v_and_b32_e32 v1, 48, v38
	v_cmp_ne_u32_e32 vcc, 0, v1
	s_and_saveexec_b64 s[26:27], vcc
	s_cbranch_execz .LBB2_5283
; %bb.5355:                             ;   in Loop: Header=BB2_5284 Depth=3
	v_add_co_u32_e32 v50, vcc, 2, v50
	v_addc_co_u32_e32 v51, vcc, 0, v51, vcc
	flat_store_dwordx2 v[22:23], v[50:51]
	s_branch .LBB2_5283
.LBB2_5356:                             ;   in Loop: Header=BB2_5097 Depth=2
	s_or_b64 exec, exec, s[90:91]
	s_or_b64 exec, exec, s[42:43]
	v_cmp_gt_i32_e32 vcc, 2, v1
	s_and_saveexec_b64 s[28:29], vcc
	s_cbranch_execnz .LBB2_5282
.LBB2_5357:                             ;   in Loop: Header=BB2_5097 Depth=2
	s_or_b64 exec, exec, s[28:29]
	s_add_i32 s9, s8, 1
	s_cmp_eq_u32 s8, s97
	s_cbranch_scc0 .LBB2_5359
	s_branch .LBB2_5360
.LBB2_5358:                             ;   in Loop: Header=BB2_5097 Depth=2
	s_or_b64 exec, exec, s[40:41]
	s_or_b64 exec, exec, s[28:29]
	s_add_i32 s9, s8, 1
	s_cmp_eq_u32 s8, s97
	s_cbranch_scc1 .LBB2_5360
.LBB2_5359:                             ;   in Loop: Header=BB2_5097 Depth=2
	s_mov_b32 s8, s9
	s_branch .LBB2_5097
.LBB2_5360:                             ;   in Loop: Header=BB2_47 Depth=1
	buffer_load_dword v4, off, s[0:3], s33 offset:208 ; 4-byte Folded Reload
	buffer_load_dword v5, off, s[0:3], s33 offset:212 ; 4-byte Folded Reload
	v_mov_b32_e32 v16, 0
	s_waitcnt vmcnt(0)
	v_mul_lo_u32 v2, v4, s47
	v_mul_lo_u32 v1, v5, s46
	v_mad_u64_u32 v[8:9], s[8:9], v4, s46, 0
	v_add3_u32 v9, v9, v2, v1
	buffer_load_dword v1, off, s[0:3], s33 offset:200 ; 4-byte Folded Reload
	buffer_load_dword v2, off, s[0:3], s33 offset:204 ; 4-byte Folded Reload
	s_waitcnt vmcnt(0)
	v_sub_co_u32_e32 v1, vcc, v1, v8
	v_subb_co_u32_e32 v2, vcc, v2, v9, vcc
	v_cmp_lt_i64_e32 vcc, v[4:5], v[1:2]
	v_cndmask_b32_e32 v2, v1, v4, vcc
	v_max_i32_e32 v14, 0, v2
	v_add_u32_e32 v4, 31, v14
	v_lshrrev_b32_e32 v4, 1, v4
	v_and_b32_e32 v4, 0x3ffffff0, v4
	v_cmp_lt_i32_e32 vcc, 0, v2
	v_mov_b32_e32 v1, 0
	v_max_i32_e32 v15, s96, v4
	s_and_b64 s[8:9], s[76:77], vcc
	s_and_saveexec_b64 s[28:29], s[8:9]
	s_cbranch_execz .LBB2_5500
; %bb.5361:                             ;   in Loop: Header=BB2_47 Depth=1
	buffer_load_dword v1, off, s[0:3], s33 offset:136 ; 4-byte Folded Reload
	s_mov_b32 s8, 1
	s_mov_b64 s[42:43], -1
	v_mov_b32_e32 v16, 0
	s_mov_b64 s[40:41], 0
	s_waitcnt vmcnt(0)
	v_add_co_u32_e32 v17, vcc, v8, v1
	buffer_load_dword v1, off, s[0:3], s33 offset:140 ; 4-byte Folded Reload
	s_waitcnt vmcnt(0)
	v_addc_co_u32_e32 v18, vcc, v9, v1, vcc
	s_branch .LBB2_5363
.LBB2_5362:                             ;   in Loop: Header=BB2_5363 Depth=2
	s_or_b64 exec, exec, s[26:27]
	v_add_u32_e32 v16, v15, v16
	v_cmp_ge_i32_e32 vcc, v16, v14
	s_xor_b64 s[26:27], s[42:43], -1
	s_or_b64 s[26:27], s[26:27], vcc
	s_and_b64 s[26:27], exec, s[26:27]
	s_or_b64 s[40:41], s[26:27], s[40:41]
	s_mov_b64 s[42:43], 0
	v_mov_b32_e32 v1, s8
	s_mov_b32 s8, 2
	s_andn2_b64 exec, exec, s[40:41]
	s_cbranch_execz .LBB2_5499
.LBB2_5363:                             ;   Parent Loop BB2_47 Depth=1
                                        ; =>  This Loop Header: Depth=2
                                        ;       Child Loop BB2_5371 Depth 3
                                        ;       Child Loop BB2_5395 Depth 3
	;; [unrolled: 1-line block ×9, first 2 shown]
	s_and_saveexec_b64 s[26:27], s[4:5]
	s_cbranch_execz .LBB2_5365
; %bb.5364:                             ;   in Loop: Header=BB2_5363 Depth=2
	s_trap 2
	ds_read_b128 v[8:11], v0
	v_ashrrev_i32_e32 v4, 31, v16
	s_waitcnt lgkmcnt(0)
	v_add_co_u32_e32 v1, vcc, v8, v17
	v_addc_co_u32_e32 v2, vcc, v9, v18, vcc
	v_add_co_u32_e32 v1, vcc, v1, v16
	v_addc_co_u32_e32 v2, vcc, v2, v4, vcc
	ds_write_b64 v0, v[1:2]
	v_add_co_u32_e32 v1, vcc, v10, v17
	v_addc_co_u32_e32 v2, vcc, v11, v18, vcc
	v_add_co_u32_e32 v1, vcc, v1, v16
	v_addc_co_u32_e32 v2, vcc, v2, v4, vcc
	v_cmp_ne_u64_e32 vcc, 0, v[10:11]
	v_cndmask_b32_e32 v2, 0, v2, vcc
	v_cndmask_b32_e32 v1, 0, v1, vcc
	ds_write_b64 v0, v[1:2]
.LBB2_5365:                             ;   in Loop: Header=BB2_5363 Depth=2
	s_or_b64 exec, exec, s[26:27]
	v_and_b32_e32 v1, 4, v38
	v_cmp_ne_u32_e32 vcc, 0, v1
	s_and_saveexec_b64 s[90:91], vcc
	s_cbranch_execz .LBB2_5387
; %bb.5366:                             ;   in Loop: Header=BB2_5363 Depth=2
	v_add_co_u32_e32 v8, vcc, 2, v50
	v_addc_co_u32_e32 v9, vcc, 0, v51, vcc
	s_waitcnt lgkmcnt(0)
	v_cmp_lt_u64_e32 vcc, v[32:33], v[8:9]
	s_and_saveexec_b64 s[92:93], vcc
	s_cbranch_execz .LBB2_5378
; %bb.5367:                             ;   in Loop: Header=BB2_5363 Depth=2
	v_and_b32_e32 v1, 64, v38
	s_mov_b32 s9, 0
	v_cmp_eq_u32_e32 vcc, 0, v1
	s_mov_b64 s[94:95], 0
                                        ; implicit-def: $sgpr30_sgpr31
                                        ; implicit-def: $sgpr34_sgpr35
                                        ; implicit-def: $sgpr36_sgpr37
	s_branch .LBB2_5371
.LBB2_5368:                             ;   in Loop: Header=BB2_5371 Depth=3
	s_waitcnt vmcnt(0) lgkmcnt(0)
	v_cmp_ge_u64_e64 s[26:27], v[32:33], v[8:9]
	s_or_b64 s[50:51], s[50:51], exec
	s_orn2_b64 s[48:49], s[26:27], exec
.LBB2_5369:                             ;   in Loop: Header=BB2_5371 Depth=3
	s_or_b64 exec, exec, s[54:55]
	s_andn2_b64 s[26:27], s[36:37], exec
	s_and_b64 s[36:37], s[50:51], exec
	s_or_b64 s[36:37], s[26:27], s[36:37]
	s_andn2_b64 s[26:27], s[34:35], exec
	s_and_b64 s[34:35], s[48:49], exec
	s_or_b64 s[34:35], s[26:27], s[34:35]
.LBB2_5370:                             ;   in Loop: Header=BB2_5371 Depth=3
	s_or_b64 exec, exec, s[38:39]
	s_and_b64 s[26:27], exec, s[34:35]
	s_or_b64 s[94:95], s[26:27], s[94:95]
	s_andn2_b64 s[26:27], s[30:31], exec
	s_and_b64 s[30:31], s[36:37], exec
	s_or_b64 s[30:31], s[26:27], s[30:31]
	s_andn2_b64 exec, exec, s[94:95]
	s_cbranch_execz .LBB2_5375
.LBB2_5371:                             ;   Parent Loop BB2_47 Depth=1
                                        ;     Parent Loop BB2_5363 Depth=2
                                        ; =>    This Inner Loop Header: Depth=3
	s_sleep 1
	s_waitcnt vmcnt(0) lgkmcnt(0)
	flat_load_dwordx2 v[32:33], v[22:23] glc
	s_or_b64 s[36:37], s[36:37], exec
	s_or_b64 s[34:35], s[34:35], exec
                                        ; implicit-def: $vgpr1
	s_and_saveexec_b64 s[38:39], vcc
	s_cbranch_execz .LBB2_5370
; %bb.5372:                             ;   in Loop: Header=BB2_5371 Depth=3
	s_cmpk_lt_i32 s9, 0x270f
	s_cselect_b64 s[52:53], -1, 0
	s_cmpk_gt_i32 s9, 0x270e
	s_mov_b64 s[48:49], -1
	s_cbranch_scc0 .LBB2_5374
; %bb.5373:                             ;   in Loop: Header=BB2_5371 Depth=3
	s_trap 2
	ds_read_b64 v[1:2], v0
	s_andn2_b64 s[52:53], s[52:53], exec
	s_mov_b32 s9, 0
	s_mov_b64 s[50:51], 0
	s_waitcnt vmcnt(0) lgkmcnt(0)
	flat_load_dword v1, v[1:2] glc
	s_waitcnt vmcnt(0) lgkmcnt(0)
	buffer_wbinvl1_vol
	v_cmp_eq_u32_e64 s[26:27], 0, v1
	s_and_b64 s[26:27], s[26:27], exec
	s_or_b64 s[52:53], s[52:53], s[26:27]
	s_and_saveexec_b64 s[54:55], s[52:53]
	s_cbranch_execz .LBB2_5369
	s_branch .LBB2_5368
.LBB2_5374:                             ;   in Loop: Header=BB2_5371 Depth=3
	s_add_i32 s9, s9, 1
	s_mov_b64 s[50:51], -1
                                        ; implicit-def: $vgpr1
	s_and_saveexec_b64 s[54:55], s[52:53]
	s_cbranch_execz .LBB2_5369
	s_branch .LBB2_5368
.LBB2_5375:                             ;   in Loop: Header=BB2_5363 Depth=2
	s_or_b64 exec, exec, s[94:95]
	s_xor_b64 s[26:27], s[30:31], -1
	s_and_saveexec_b64 s[94:95], s[26:27]
	s_xor_b64 s[26:27], exec, s[94:95]
	s_cbranch_execz .LBB2_5377
; %bb.5376:                             ;   in Loop: Header=BB2_5363 Depth=2
	v_or_b32_e32 v38, 64, v38
	s_waitcnt lgkmcnt(0)
	ds_write_b32 v0, v1
	s_trap 2
.LBB2_5377:                             ;   in Loop: Header=BB2_5363 Depth=2
	s_or_b64 exec, exec, s[26:27]
.LBB2_5378:                             ;   in Loop: Header=BB2_5363 Depth=2
	s_or_b64 exec, exec, s[92:93]
	v_and_b32_e32 v1, 0x100, v38
	v_cmp_ne_u32_e32 vcc, 0, v1
	v_and_b32_e32 v1, 7, v50
	s_mov_b64 s[26:27], -1
	;;#ASMSTART
	s_wakeup
	;;#ASMEND
                                        ; implicit-def: $vgpr10_vgpr11
	s_and_saveexec_b64 s[92:93], vcc
	s_cbranch_execz .LBB2_5382
; %bb.5379:                             ;   in Loop: Header=BB2_5363 Depth=2
	buffer_load_dword v10, off, s[0:3], s33 offset:76 ; 4-byte Folded Reload
	buffer_load_dword v11, off, s[0:3], s33 offset:80 ; 4-byte Folded Reload
	;; [unrolled: 1-line block ×4, first 2 shown]
	s_waitcnt vmcnt(0)
	v_mad_u64_u32 v[4:5], s[26:27], v1, 24, v[10:11]
                                        ; implicit-def: $vgpr10_vgpr11
	flat_load_dword v2, v[4:5]
	s_waitcnt vmcnt(0) lgkmcnt(0)
	v_cmp_ne_u32_e32 vcc, 1, v2
	v_cmp_eq_u32_e64 s[26:27], 1, v2
	s_and_saveexec_b64 s[94:95], s[26:27]
	s_cbranch_execz .LBB2_5381
; %bb.5380:                             ;   in Loop: Header=BB2_5363 Depth=2
	flat_load_dword v10, v[4:5] offset:4 glc
	s_waitcnt vmcnt(0) lgkmcnt(0)
	v_ashrrev_i32_e32 v11, 31, v10
.LBB2_5381:                             ;   in Loop: Header=BB2_5363 Depth=2
	s_or_b64 exec, exec, s[94:95]
	s_orn2_b64 s[26:27], vcc, exec
.LBB2_5382:                             ;   in Loop: Header=BB2_5363 Depth=2
	s_or_b64 exec, exec, s[92:93]
	s_and_saveexec_b64 s[92:93], s[26:27]
; %bb.5383:                             ;   in Loop: Header=BB2_5363 Depth=2
	v_mad_i64_i32 v[10:11], s[26:27], v1, v56, 0
; %bb.5384:                             ;   in Loop: Header=BB2_5363 Depth=2
	s_or_b64 exec, exec, s[92:93]
	buffer_load_dword v1, off, s[0:3], s33 offset:68 ; 4-byte Folded Reload
	buffer_load_dword v2, off, s[0:3], s33 offset:72 ; 4-byte Folded Reload
	s_waitcnt vmcnt(0)
	v_add_co_u32_e32 v1, vcc, v1, v10
	v_addc_co_u32_e32 v2, vcc, v2, v11, vcc
	ds_write_b64 v0, v[1:2] offset:720
	v_and_b32_e32 v1, 0x2000, v38
	v_cmp_ne_u32_e32 vcc, 0, v1
	s_and_saveexec_b64 s[26:27], vcc
	s_cbranch_execz .LBB2_5386
; %bb.5385:                             ;   in Loop: Header=BB2_5363 Depth=2
	ds_read_b64 v[1:2], v0 offset:872
	s_waitcnt lgkmcnt(0)
	v_add_co_u32_e32 v1, vcc, 1, v1
	v_addc_co_u32_e32 v2, vcc, 0, v2, vcc
	ds_write_b64 v0, v[1:2] offset:872
.LBB2_5386:                             ;   in Loop: Header=BB2_5363 Depth=2
	s_or_b64 exec, exec, s[26:27]
	v_mov_b32_e32 v51, v9
	v_mov_b32_e32 v50, v8
.LBB2_5387:                             ;   in Loop: Header=BB2_5363 Depth=2
	s_or_b64 exec, exec, s[90:91]
	s_and_saveexec_b64 s[26:27], s[10:11]
	s_cbranch_execz .LBB2_5406
; %bb.5388:                             ;   in Loop: Header=BB2_5363 Depth=2
	s_and_saveexec_b64 s[90:91], s[58:59]
	s_xor_b64 s[90:91], exec, s[90:91]
	s_cbranch_execz .LBB2_5403
; %bb.5389:                             ;   in Loop: Header=BB2_5363 Depth=2
	s_and_saveexec_b64 s[92:93], s[16:17]
	s_cbranch_execz .LBB2_5402
; %bb.5390:                             ;   in Loop: Header=BB2_5363 Depth=2
	s_mov_b64 s[30:31], exec
	v_mbcnt_lo_u32_b32 v1, s30, 0
	v_mbcnt_hi_u32_b32 v1, s31, v1
	v_cmp_eq_u32_e32 vcc, 0, v1
	s_waitcnt vmcnt(0) lgkmcnt(0)
	buffer_wbinvl1_vol
	s_and_saveexec_b64 s[94:95], vcc
	s_cbranch_execz .LBB2_5392
; %bb.5391:                             ;   in Loop: Header=BB2_5363 Depth=2
	s_bcnt1_i32_b64 s9, s[30:31]
	v_mov_b32_e32 v2, s9
	ds_add_u64 v0, v[2:3]
	s_trap 2
.LBB2_5392:                             ;   in Loop: Header=BB2_5363 Depth=2
	s_or_b64 exec, exec, s[94:95]
	s_trap 2
	ds_read_b64 v[1:2], v0
	s_waitcnt lgkmcnt(0)
	v_add_co_u32_e32 v28, vcc, v28, v35
	v_addc_co_u32_e32 v29, vcc, 0, v29, vcc
	v_cmp_lt_u64_e32 vcc, v[1:2], v[28:29]
	s_and_saveexec_b64 s[94:95], vcc
	s_cbranch_execz .LBB2_5401
; %bb.5393:                             ;   in Loop: Header=BB2_5363 Depth=2
	s_mov_b32 s9, 0
	s_mov_b64 s[30:31], 0
                                        ; implicit-def: $sgpr34_sgpr35
                                        ; implicit-def: $sgpr36_sgpr37
	s_branch .LBB2_5395
.LBB2_5394:                             ;   in Loop: Header=BB2_5395 Depth=3
	s_or_b64 exec, exec, s[48:49]
	s_and_b64 vcc, exec, vcc
	s_or_b64 s[30:31], vcc, s[30:31]
	s_andn2_b64 vcc, s[34:35], exec
	s_and_b64 s[34:35], s[36:37], exec
	s_or_b64 s[34:35], vcc, s[34:35]
	s_andn2_b64 exec, exec, s[30:31]
	s_cbranch_execz .LBB2_5399
.LBB2_5395:                             ;   Parent Loop BB2_47 Depth=1
                                        ;     Parent Loop BB2_5363 Depth=2
                                        ; =>    This Inner Loop Header: Depth=3
	s_add_i32 s9, s9, 1
	s_cmpk_lg_i32 s9, 0x2710
	s_cselect_b64 s[38:39], -1, 0
	s_and_b64 vcc, exec, s[38:39]
	s_cbranch_vccz .LBB2_5397
; %bb.5396:                             ;   in Loop: Header=BB2_5395 Depth=3
	s_mov_b64 vcc, -1
	s_or_b64 s[36:37], s[36:37], exec
	s_and_saveexec_b64 s[48:49], s[38:39]
	s_cbranch_execz .LBB2_5394
	s_branch .LBB2_5398
.LBB2_5397:                             ;   in Loop: Header=BB2_5395 Depth=3
	s_trap 2
	ds_read_b64 v[1:2], v0
	s_andn2_b64 s[38:39], s[38:39], exec
	s_mov_b32 s9, 0
	s_waitcnt lgkmcnt(0)
	flat_load_dword v1, v[1:2] glc
	s_waitcnt vmcnt(0) lgkmcnt(0)
	buffer_wbinvl1_vol
	v_cmp_eq_u32_e32 vcc, 0, v1
	s_and_b64 vcc, vcc, exec
	s_or_b64 s[38:39], s[38:39], vcc
	s_mov_b64 vcc, -1
	s_or_b64 s[36:37], s[36:37], exec
	s_and_saveexec_b64 s[48:49], s[38:39]
	s_cbranch_execz .LBB2_5394
.LBB2_5398:                             ;   in Loop: Header=BB2_5395 Depth=3
	s_sleep 1
	s_trap 2
	ds_read_b64 v[1:2], v0
	s_waitcnt lgkmcnt(0)
	s_andn2_b64 s[36:37], s[36:37], exec
	v_cmp_ge_u64_e32 vcc, v[1:2], v[28:29]
	s_orn2_b64 vcc, vcc, exec
	s_branch .LBB2_5394
.LBB2_5399:                             ;   in Loop: Header=BB2_5363 Depth=2
	s_or_b64 exec, exec, s[30:31]
	s_and_saveexec_b64 vcc, s[34:35]
	s_xor_b64 vcc, exec, vcc
	s_cbranch_execz .LBB2_5401
; %bb.5400:                             ;   in Loop: Header=BB2_5363 Depth=2
	v_mov_b32_e32 v1, 1
	ds_write_b32 v0, v1
	s_trap 2
.LBB2_5401:                             ;   in Loop: Header=BB2_5363 Depth=2
	s_or_b64 exec, exec, s[94:95]
	;;#ASMSTART
	s_wakeup
	;;#ASMEND
.LBB2_5402:                             ;   in Loop: Header=BB2_5363 Depth=2
	s_or_b64 exec, exec, s[92:93]
.LBB2_5403:                             ;   in Loop: Header=BB2_5363 Depth=2
	s_andn2_saveexec_b64 s[90:91], s[90:91]
	s_cbranch_execz .LBB2_5405
; %bb.5404:                             ;   in Loop: Header=BB2_5363 Depth=2
	s_waitcnt vmcnt(0) lgkmcnt(0)
	buffer_wbinvl1_vol
	s_barrier
.LBB2_5405:                             ;   in Loop: Header=BB2_5363 Depth=2
	s_or_b64 exec, exec, s[90:91]
.LBB2_5406:                             ;   in Loop: Header=BB2_5363 Depth=2
	s_or_b64 exec, exec, s[26:27]
	s_trap 2
	ds_read_b32 v4, v0
	v_and_b32_e32 v1, 0x4000, v38
	v_cmp_ne_u32_e32 vcc, 0, v1
	s_xor_b64 s[26:27], s[6:7], -1
	s_and_b64 s[90:91], s[26:27], vcc
	s_and_saveexec_b64 s[26:27], s[90:91]
	s_cbranch_execz .LBB2_5425
; %bb.5407:                             ;   in Loop: Header=BB2_5363 Depth=2
	s_and_saveexec_b64 s[90:91], s[58:59]
	s_xor_b64 s[90:91], exec, s[90:91]
	s_cbranch_execz .LBB2_5422
; %bb.5408:                             ;   in Loop: Header=BB2_5363 Depth=2
	s_and_saveexec_b64 s[92:93], s[16:17]
	s_cbranch_execz .LBB2_5421
; %bb.5409:                             ;   in Loop: Header=BB2_5363 Depth=2
	s_mov_b64 s[30:31], exec
	v_mbcnt_lo_u32_b32 v1, s30, 0
	v_mbcnt_hi_u32_b32 v1, s31, v1
	v_cmp_eq_u32_e32 vcc, 0, v1
	s_waitcnt vmcnt(0) lgkmcnt(0)
	buffer_wbinvl1_vol
	s_and_saveexec_b64 s[94:95], vcc
	s_cbranch_execz .LBB2_5411
; %bb.5410:                             ;   in Loop: Header=BB2_5363 Depth=2
	s_bcnt1_i32_b64 s9, s[30:31]
	v_mov_b32_e32 v2, s9
	ds_add_u64 v0, v[2:3]
	s_trap 2
.LBB2_5411:                             ;   in Loop: Header=BB2_5363 Depth=2
	s_or_b64 exec, exec, s[94:95]
	s_trap 2
	ds_read_b64 v[1:2], v0
	s_waitcnt lgkmcnt(0)
	v_add_co_u32_e32 v28, vcc, v28, v35
	v_addc_co_u32_e32 v29, vcc, 0, v29, vcc
	v_cmp_lt_u64_e32 vcc, v[1:2], v[28:29]
	s_and_saveexec_b64 s[94:95], vcc
	s_cbranch_execz .LBB2_5420
; %bb.5412:                             ;   in Loop: Header=BB2_5363 Depth=2
	s_mov_b32 s9, 0
	s_mov_b64 s[30:31], 0
                                        ; implicit-def: $sgpr34_sgpr35
                                        ; implicit-def: $sgpr36_sgpr37
	s_branch .LBB2_5414
.LBB2_5413:                             ;   in Loop: Header=BB2_5414 Depth=3
	s_or_b64 exec, exec, s[48:49]
	s_and_b64 vcc, exec, vcc
	s_or_b64 s[30:31], vcc, s[30:31]
	s_andn2_b64 vcc, s[34:35], exec
	s_and_b64 s[34:35], s[36:37], exec
	s_or_b64 s[34:35], vcc, s[34:35]
	s_andn2_b64 exec, exec, s[30:31]
	s_cbranch_execz .LBB2_5418
.LBB2_5414:                             ;   Parent Loop BB2_47 Depth=1
                                        ;     Parent Loop BB2_5363 Depth=2
                                        ; =>    This Inner Loop Header: Depth=3
	s_add_i32 s9, s9, 1
	s_cmpk_lg_i32 s9, 0x2710
	s_cselect_b64 s[38:39], -1, 0
	s_and_b64 vcc, exec, s[38:39]
	s_cbranch_vccz .LBB2_5416
; %bb.5415:                             ;   in Loop: Header=BB2_5414 Depth=3
	s_mov_b64 vcc, -1
	s_or_b64 s[36:37], s[36:37], exec
	s_and_saveexec_b64 s[48:49], s[38:39]
	s_cbranch_execz .LBB2_5413
	s_branch .LBB2_5417
.LBB2_5416:                             ;   in Loop: Header=BB2_5414 Depth=3
	s_trap 2
	ds_read_b64 v[1:2], v0
	s_andn2_b64 s[38:39], s[38:39], exec
	s_mov_b32 s9, 0
	s_waitcnt lgkmcnt(0)
	flat_load_dword v1, v[1:2] glc
	s_waitcnt vmcnt(0) lgkmcnt(0)
	buffer_wbinvl1_vol
	v_cmp_eq_u32_e32 vcc, 0, v1
	s_and_b64 vcc, vcc, exec
	s_or_b64 s[38:39], s[38:39], vcc
	s_mov_b64 vcc, -1
	s_or_b64 s[36:37], s[36:37], exec
	s_and_saveexec_b64 s[48:49], s[38:39]
	s_cbranch_execz .LBB2_5413
.LBB2_5417:                             ;   in Loop: Header=BB2_5414 Depth=3
	s_sleep 1
	s_trap 2
	ds_read_b64 v[1:2], v0
	s_waitcnt lgkmcnt(0)
	s_andn2_b64 s[36:37], s[36:37], exec
	v_cmp_ge_u64_e32 vcc, v[1:2], v[28:29]
	s_orn2_b64 vcc, vcc, exec
	s_branch .LBB2_5413
.LBB2_5418:                             ;   in Loop: Header=BB2_5363 Depth=2
	s_or_b64 exec, exec, s[30:31]
	s_and_saveexec_b64 vcc, s[34:35]
	s_xor_b64 vcc, exec, vcc
	s_cbranch_execz .LBB2_5420
; %bb.5419:                             ;   in Loop: Header=BB2_5363 Depth=2
	v_mov_b32_e32 v1, 1
	ds_write_b32 v0, v1
	s_trap 2
.LBB2_5420:                             ;   in Loop: Header=BB2_5363 Depth=2
	s_or_b64 exec, exec, s[94:95]
	;;#ASMSTART
	s_wakeup
	;;#ASMEND
.LBB2_5421:                             ;   in Loop: Header=BB2_5363 Depth=2
	s_or_b64 exec, exec, s[92:93]
.LBB2_5422:                             ;   in Loop: Header=BB2_5363 Depth=2
	s_andn2_saveexec_b64 s[90:91], s[90:91]
	s_cbranch_execz .LBB2_5424
; %bb.5423:                             ;   in Loop: Header=BB2_5363 Depth=2
	s_waitcnt vmcnt(0) lgkmcnt(0)
	buffer_wbinvl1_vol
	s_barrier
.LBB2_5424:                             ;   in Loop: Header=BB2_5363 Depth=2
	s_or_b64 exec, exec, s[90:91]
.LBB2_5425:                             ;   in Loop: Header=BB2_5363 Depth=2
	s_or_b64 exec, exec, s[26:27]
	s_trap 2
	ds_read_b64 v[8:9], v0
	v_sub_u32_e32 v1, v14, v16
	v_min_i32_e32 v15, v15, v1
	s_waitcnt lgkmcnt(0)
	v_cmp_eq_u64_e32 vcc, 0, v[8:9]
	s_cbranch_vccnz .LBB2_5433
; %bb.5426:                             ;   in Loop: Header=BB2_5363 Depth=2
	s_trap 2
	ds_read_b64 v[10:11], v0
	s_waitcnt lgkmcnt(0)
	v_cmp_eq_u64_e32 vcc, 0, v[10:11]
	s_cbranch_vccnz .LBB2_5433
; %bb.5427:                             ;   in Loop: Header=BB2_5363 Depth=2
	s_mov_b64 s[26:27], -1
	s_and_saveexec_b64 s[90:91], s[20:21]
	s_cbranch_execz .LBB2_5429
; %bb.5428:                             ;   in Loop: Header=BB2_5363 Depth=2
	ds_read_b32 v1, v0 offset:720
	s_waitcnt lgkmcnt(0)
	v_and_b32_e32 v1, 15, v1
	v_cmp_eq_u32_e32 vcc, 0, v1
	s_orn2_b64 s[26:27], vcc, exec
.LBB2_5429:                             ;   in Loop: Header=BB2_5363 Depth=2
	s_or_b64 exec, exec, s[90:91]
	s_and_saveexec_b64 s[90:91], s[18:19]
	s_cbranch_execz .LBB2_5431
; %bb.5430:                             ;   in Loop: Header=BB2_5363 Depth=2
	ds_read_b32 v1, v0 offset:784
	s_waitcnt lgkmcnt(0)
	v_and_b32_e32 v1, 15, v1
	v_cmp_eq_u32_e32 vcc, 0, v1
	s_and_b64 s[92:93], s[26:27], vcc
	s_andn2_b64 s[26:27], s[26:27], exec
	s_and_b64 s[92:93], s[92:93], exec
	s_or_b64 s[26:27], s[26:27], s[92:93]
.LBB2_5431:                             ;   in Loop: Header=BB2_5363 Depth=2
	s_or_b64 exec, exec, s[90:91]
	buffer_load_dword v13, off, s[0:3], s33 offset:116 ; 4-byte Folded Reload
	v_cmp_eq_u32_e32 vcc, 0, v4
	s_xor_b64 s[26:27], s[26:27], -1
	v_cndmask_b32_e32 v2, 0, v15, vcc
	v_cndmask_b32_e64 v1, 0, 1, s[26:27]
	s_mov_b64 s[92:93], -1
	v_cmp_ne_u32_e32 vcc, 0, v1
	v_mov_b32_e32 v4, 0
	v_mov_b32_e32 v5, v2
	;; [unrolled: 1-line block ×3, first 2 shown]
	s_cbranch_vccz .LBB2_5438
; %bb.5432:                             ;   in Loop: Header=BB2_5363 Depth=2
	s_and_saveexec_b64 s[26:27], s[92:93]
	s_cbranch_execnz .LBB2_5451
	s_branch .LBB2_5459
.LBB2_5433:                             ;   in Loop: Header=BB2_5363 Depth=2
	s_mov_b64 s[26:27], 0
	s_and_saveexec_b64 s[90:91], s[10:11]
	s_cbranch_execnz .LBB2_5460
.LBB2_5434:                             ;   in Loop: Header=BB2_5363 Depth=2
	s_or_b64 exec, exec, s[90:91]
	s_and_saveexec_b64 s[90:91], s[24:25]
	s_xor_b64 s[90:91], exec, s[90:91]
	s_cbranch_execz .LBB2_5478
.LBB2_5435:                             ;   in Loop: Header=BB2_5363 Depth=2
	v_and_b32_e32 v1, 16, v38
	v_cmp_ne_u32_e32 vcc, 0, v1
	s_and_b64 s[92:93], vcc, s[26:27]
	s_and_saveexec_b64 s[26:27], s[92:93]
	s_cbranch_execz .LBB2_5437
; %bb.5436:                             ;   in Loop: Header=BB2_5363 Depth=2
	s_waitcnt vmcnt(0) lgkmcnt(0)
	buffer_wbinvl1_vol
.LBB2_5437:                             ;   in Loop: Header=BB2_5363 Depth=2
	s_or_b64 exec, exec, s[26:27]
	s_andn2_saveexec_b64 s[26:27], s[90:91]
	s_cbranch_execz .LBB2_5497
	s_branch .LBB2_5479
.LBB2_5438:                             ;   in Loop: Header=BB2_5363 Depth=2
	buffer_load_dword v4, off, s[0:3], s33 offset:116 ; 4-byte Folded Reload
	v_ashrrev_i32_e32 v1, 31, v2
	v_lshrrev_b32_e32 v1, 21, v1
	v_add_u32_e32 v1, v2, v1
	v_ashrrev_i32_e32 v1, 11, v1
	s_waitcnt vmcnt(0)
	v_sub_u32_e32 v19, v1, v4
	v_cmp_lt_i32_e32 vcc, 0, v19
	s_and_saveexec_b64 s[26:27], vcc
	s_cbranch_execz .LBB2_5442
; %bb.5439:                             ;   in Loop: Header=BB2_5363 Depth=2
	buffer_load_dword v12, off, s[0:3], s33 offset:236 ; 4-byte Folded Reload
	buffer_load_dword v13, off, s[0:3], s33 offset:240 ; 4-byte Folded Reload
	s_mov_b64 s[90:91], 0
	v_lshlrev_b32_e32 v20, 11, v35
.LBB2_5440:                             ;   Parent Loop BB2_47 Depth=1
                                        ;     Parent Loop BB2_5363 Depth=2
                                        ; =>    This Inner Loop Header: Depth=3
	s_waitcnt vmcnt(1)
	v_add_co_u32_e32 v4, vcc, v8, v12
	s_waitcnt vmcnt(0)
	v_addc_co_u32_e32 v5, vcc, v9, v13, vcc
	global_load_dwordx4 v[39:42], v[4:5], off glc slc
	global_load_dwordx4 v[43:46], v[4:5], off offset:1024 glc slc
	v_add_co_u32_e32 v4, vcc, v10, v12
	v_addc_co_u32_e32 v5, vcc, v11, v13, vcc
	v_add_co_u32_e32 v12, vcc, v12, v20
	v_sub_u32_e32 v19, v19, v35
	v_addc_co_u32_e32 v13, vcc, 0, v13, vcc
	v_cmp_gt_i32_e32 vcc, 1, v19
	s_or_b64 s[90:91], vcc, s[90:91]
	s_waitcnt vmcnt(1)
	global_store_dwordx4 v[4:5], v[39:42], off glc slc
	s_waitcnt vmcnt(1)
	global_store_dwordx4 v[4:5], v[43:46], off offset:1024 glc slc
	s_andn2_b64 exec, exec, s[90:91]
	s_cbranch_execnz .LBB2_5440
; %bb.5441:                             ;   in Loop: Header=BB2_5363 Depth=2
	s_or_b64 exec, exec, s[90:91]
	buffer_load_dword v43, off, s[0:3], s33 offset:148 ; 4-byte Folded Reload
	buffer_load_dword v46, off, s[0:3], s33 offset:152 ; 4-byte Folded Reload
.LBB2_5442:                             ;   in Loop: Header=BB2_5363 Depth=2
	s_or_b64 exec, exec, s[26:27]
	v_lshlrev_b32_e32 v1, 11, v1
	v_cmp_ne_u32_e32 vcc, v2, v1
	s_mov_b64 s[92:93], 0
	v_mov_b32_e32 v4, 0
                                        ; implicit-def: $vgpr5
                                        ; implicit-def: $vgpr12
                                        ; implicit-def: $vgpr13
	s_and_saveexec_b64 s[90:91], vcc
	s_cbranch_execz .LBB2_5450
; %bb.5443:                             ;   in Loop: Header=BB2_5363 Depth=2
	buffer_load_dword v5, off, s[0:3], s33 offset:184 ; 4-byte Folded Reload
	v_lshlrev_b32_e32 v4, 6, v19
	v_sub_u32_e32 v12, v2, v1
	v_ashrrev_i32_e32 v20, 31, v12
	v_lshrrev_b32_e32 v20, 22, v20
	v_add_u32_e32 v20, v12, v20
	v_ashrrev_i32_e32 v21, 10, v20
	v_and_b32_e32 v20, 0xfffffc00, v20
	v_sub_u32_e32 v24, v12, v20
	v_cmp_lt_i32_e32 vcc, 15, v24
	s_waitcnt vmcnt(0)
	v_sub_u32_e32 v4, v5, v4
	v_ashrrev_i32_e32 v5, 31, v4
	v_lshrrev_b32_e32 v5, 26, v5
	v_add_u32_e32 v5, v4, v5
	v_ashrrev_i32_e32 v13, 6, v5
	v_and_b32_e32 v5, 0xffffffc0, v5
	v_sub_u32_e32 v19, v4, v5
	v_lshlrev_b32_e32 v4, 4, v19
	v_lshl_add_u32 v5, v13, 10, v4
	v_sub_u32_e32 v4, v12, v5
	v_addc_co_u32_e64 v12, s[26:27], 0, v21, vcc
	v_sub_u32_e32 v21, v12, v13
	v_cmp_lt_i32_e64 s[26:27], 15, v4
	s_and_saveexec_b64 s[92:93], s[26:27]
	s_cbranch_execz .LBB2_5447
; %bb.5444:                             ;   in Loop: Header=BB2_5363 Depth=2
	v_add_u32_e32 v5, v5, v1
	v_ashrrev_i32_e32 v12, 31, v5
	s_mov_b64 s[94:95], 0
.LBB2_5445:                             ;   Parent Loop BB2_47 Depth=1
                                        ;     Parent Loop BB2_5363 Depth=2
                                        ; =>    This Inner Loop Header: Depth=3
	v_add_co_u32_e64 v30, s[26:27], v8, v5
	v_addc_co_u32_e64 v31, s[26:27], v9, v12, s[26:27]
	global_load_dwordx4 v[39:42], v[30:31], off glc slc
	v_add_co_u32_e64 v30, s[26:27], v10, v5
	v_addc_co_u32_e64 v31, s[26:27], v11, v12, s[26:27]
	v_add_co_u32_e64 v5, s[26:27], v5, v34
	v_sub_u32_e32 v4, v4, v34
	v_addc_co_u32_e64 v12, s[26:27], 0, v12, s[26:27]
	v_cmp_gt_i32_e64 s[26:27], 16, v4
	v_sub_u32_e32 v21, v21, v35
	s_or_b64 s[94:95], s[26:27], s[94:95]
	s_waitcnt vmcnt(0)
	global_store_dwordx4 v[30:31], v[39:42], off glc slc
	s_andn2_b64 exec, exec, s[94:95]
	s_cbranch_execnz .LBB2_5445
; %bb.5446:                             ;   in Loop: Header=BB2_5363 Depth=2
	s_or_b64 exec, exec, s[94:95]
.LBB2_5447:                             ;   in Loop: Header=BB2_5363 Depth=2
	s_or_b64 exec, exec, s[92:93]
	v_and_b32_e32 v25, 15, v2
	v_cndmask_b32_e32 v5, v24, v25, vcc
	v_mov_b32_e32 v4, 0
	v_cmp_ne_u32_e64 s[26:27], 0, v5
	s_mov_b64 s[94:95], 0
                                        ; implicit-def: $vgpr12
                                        ; implicit-def: $vgpr13
	s_and_saveexec_b64 s[92:93], s[26:27]
	s_cbranch_execz .LBB2_5449
; %bb.5448:                             ;   in Loop: Header=BB2_5363 Depth=2
	v_sub_u32_e32 v4, v24, v25
	v_cndmask_b32_e32 v4, 0, v4, vcc
	v_cmp_lt_i32_e32 vcc, 0, v21
	v_add3_u32 v4, v20, v1, v4
	v_cndmask_b32_e32 v1, 0, v35, vcc
	v_sub_u32_e32 v1, v1, v21
	v_lshl_add_u32 v12, v1, 6, v19
	v_ashrrev_i32_e32 v1, 31, v12
	v_lshrrev_b32_e32 v1, 26, v1
	v_add_u32_e32 v1, v12, v1
	v_ashrrev_i32_e32 v13, 6, v1
	s_mov_b64 s[94:95], exec
.LBB2_5449:                             ;   in Loop: Header=BB2_5363 Depth=2
	s_or_b64 exec, exec, s[92:93]
	s_and_b64 s[92:93], s[94:95], exec
.LBB2_5450:                             ;   in Loop: Header=BB2_5363 Depth=2
	s_or_b64 exec, exec, s[90:91]
	s_and_saveexec_b64 s[26:27], s[92:93]
	s_cbranch_execz .LBB2_5459
.LBB2_5451:                             ;   in Loop: Header=BB2_5363 Depth=2
	v_ashrrev_i32_e32 v1, 31, v5
	v_lshrrev_b32_e32 v1, 23, v1
	v_add_u32_e32 v1, v5, v1
	v_ashrrev_i32_e32 v20, 9, v1
	s_waitcnt vmcnt(0)
	v_sub_u32_e32 v1, v20, v13
	v_ashrrev_i32_e32 v19, 31, v12
	v_cmp_lt_i32_e32 vcc, 0, v1
	v_lshrrev_b32_e32 v19, 26, v19
	s_and_saveexec_b64 s[90:91], vcc
	s_cbranch_execz .LBB2_5455
; %bb.5452:                             ;   in Loop: Header=BB2_5363 Depth=2
	v_add_u32_e32 v21, v12, v19
	v_and_b32_e32 v21, 0xffffffc0, v21
	v_sub_u32_e32 v21, v12, v21
	v_lshlrev_b32_e32 v13, 9, v13
	v_add3_u32 v13, v4, v21, v13
	v_ashrrev_i32_e32 v21, 31, v13
	s_mov_b64 s[92:93], 0
.LBB2_5453:                             ;   Parent Loop BB2_47 Depth=1
                                        ;     Parent Loop BB2_5363 Depth=2
                                        ; =>    This Inner Loop Header: Depth=3
	v_add_co_u32_e32 v24, vcc, v13, v8
	v_addc_co_u32_e32 v25, vcc, v21, v9, vcc
	flat_load_ubyte v30, v[24:25] glc slc
	flat_load_ubyte v31, v[24:25] offset:64 glc slc
	flat_load_ubyte v36, v[24:25] offset:128 glc slc
	;; [unrolled: 1-line block ×7, first 2 shown]
	v_add_co_u32_e32 v24, vcc, v13, v10
	v_addc_co_u32_e32 v25, vcc, v21, v11, vcc
	v_add_co_u32_e32 v8, vcc, v8, v48
	v_addc_co_u32_e32 v9, vcc, 0, v9, vcc
	v_add_co_u32_e32 v10, vcc, v10, v48
	v_sub_u32_e32 v1, v1, v35
	v_addc_co_u32_e32 v11, vcc, 0, v11, vcc
	v_cmp_gt_i32_e32 vcc, 1, v1
	s_or_b64 s[92:93], vcc, s[92:93]
	s_waitcnt vmcnt(0) lgkmcnt(0)
	flat_store_byte v[24:25], v30 glc slc
	flat_store_byte v[24:25], v31 offset:64 glc slc
	flat_store_byte v[24:25], v36 offset:128 glc slc
	;; [unrolled: 1-line block ×7, first 2 shown]
	s_andn2_b64 exec, exec, s[92:93]
	s_cbranch_execnz .LBB2_5453
; %bb.5454:                             ;   in Loop: Header=BB2_5363 Depth=2
	s_or_b64 exec, exec, s[92:93]
	buffer_load_dword v36, off, s[0:3], s33 offset:120 ; 4-byte Folded Reload
	buffer_load_dword v37, off, s[0:3], s33 offset:124 ; 4-byte Folded Reload
	;; [unrolled: 1-line block ×4, first 2 shown]
.LBB2_5455:                             ;   in Loop: Header=BB2_5363 Depth=2
	s_or_b64 exec, exec, s[90:91]
	v_lshlrev_b32_e32 v8, 9, v20
	v_cmp_ne_u32_e32 vcc, v5, v8
	s_and_b64 exec, exec, vcc
	s_cbranch_execz .LBB2_5459
; %bb.5456:                             ;   in Loop: Header=BB2_5363 Depth=2
	v_add_u32_e32 v9, v12, v19
	v_and_b32_e32 v9, 0xffffffc0, v9
	v_sub_u32_e32 v9, v12, v9
	v_lshlrev_b32_e32 v1, 6, v1
	v_sub_u32_e32 v1, v9, v1
	v_add_u32_e32 v8, v8, v1
	v_sub_u32_e32 v1, v5, v8
	v_cmp_lt_i32_e32 vcc, 0, v1
	s_and_b64 exec, exec, vcc
	s_cbranch_execz .LBB2_5459
; %bb.5457:                             ;   in Loop: Header=BB2_5363 Depth=2
	v_add_u32_e32 v4, v8, v4
	s_trap 2
	ds_read_b64 v[8:9], v0
	v_ashrrev_i32_e32 v5, 31, v4
	s_mov_b64 s[90:91], 0
.LBB2_5458:                             ;   Parent Loop BB2_47 Depth=1
                                        ;     Parent Loop BB2_5363 Depth=2
                                        ; =>    This Inner Loop Header: Depth=3
	s_waitcnt lgkmcnt(0)
	v_add_co_u32_e32 v10, vcc, v8, v4
	v_addc_co_u32_e32 v11, vcc, v9, v5, vcc
	flat_load_ubyte v12, v[10:11] glc slc
	v_add_co_u32_e32 v4, vcc, v4, v46
	v_sub_u32_e32 v1, v1, v46
	v_addc_co_u32_e32 v5, vcc, 0, v5, vcc
	v_cmp_gt_i32_e32 vcc, 1, v1
	s_or_b64 s[90:91], vcc, s[90:91]
	s_waitcnt vmcnt(0) lgkmcnt(0)
	flat_store_byte v[10:11], v12 glc slc
	s_andn2_b64 exec, exec, s[90:91]
	s_cbranch_execnz .LBB2_5458
.LBB2_5459:                             ;   in Loop: Header=BB2_5363 Depth=2
	s_or_b64 exec, exec, s[26:27]
	v_cmp_lt_i32_e64 s[26:27], 0, v2
	s_and_saveexec_b64 s[90:91], s[10:11]
	s_cbranch_execz .LBB2_5434
.LBB2_5460:                             ;   in Loop: Header=BB2_5363 Depth=2
	s_and_saveexec_b64 s[92:93], s[58:59]
	s_xor_b64 s[92:93], exec, s[92:93]
	s_cbranch_execz .LBB2_5475
; %bb.5461:                             ;   in Loop: Header=BB2_5363 Depth=2
	s_and_saveexec_b64 s[94:95], s[16:17]
	s_cbranch_execz .LBB2_5474
; %bb.5462:                             ;   in Loop: Header=BB2_5363 Depth=2
	s_mov_b64 s[34:35], exec
	v_mbcnt_lo_u32_b32 v1, s34, 0
	v_mbcnt_hi_u32_b32 v1, s35, v1
	v_cmp_eq_u32_e32 vcc, 0, v1
	s_waitcnt vmcnt(0) lgkmcnt(0)
	buffer_wbinvl1_vol
	s_and_saveexec_b64 s[30:31], vcc
	s_cbranch_execz .LBB2_5464
; %bb.5463:                             ;   in Loop: Header=BB2_5363 Depth=2
	s_bcnt1_i32_b64 s9, s[34:35]
	v_mov_b32_e32 v2, s9
	ds_add_u64 v0, v[2:3]
	s_trap 2
.LBB2_5464:                             ;   in Loop: Header=BB2_5363 Depth=2
	s_or_b64 exec, exec, s[30:31]
	s_trap 2
	ds_read_b64 v[1:2], v0
	s_waitcnt lgkmcnt(0)
	v_add_co_u32_e32 v28, vcc, v28, v35
	v_addc_co_u32_e32 v29, vcc, 0, v29, vcc
	v_cmp_lt_u64_e32 vcc, v[1:2], v[28:29]
	s_and_saveexec_b64 s[30:31], vcc
	s_cbranch_execz .LBB2_5473
; %bb.5465:                             ;   in Loop: Header=BB2_5363 Depth=2
	s_mov_b32 s9, 0
	s_mov_b64 s[34:35], 0
                                        ; implicit-def: $sgpr36_sgpr37
                                        ; implicit-def: $sgpr38_sgpr39
	s_branch .LBB2_5467
.LBB2_5466:                             ;   in Loop: Header=BB2_5467 Depth=3
	s_or_b64 exec, exec, s[50:51]
	s_and_b64 vcc, exec, vcc
	s_or_b64 s[34:35], vcc, s[34:35]
	s_andn2_b64 vcc, s[36:37], exec
	s_and_b64 s[36:37], s[38:39], exec
	s_or_b64 s[36:37], vcc, s[36:37]
	s_andn2_b64 exec, exec, s[34:35]
	s_cbranch_execz .LBB2_5471
.LBB2_5467:                             ;   Parent Loop BB2_47 Depth=1
                                        ;     Parent Loop BB2_5363 Depth=2
                                        ; =>    This Inner Loop Header: Depth=3
	s_add_i32 s9, s9, 1
	s_cmpk_lg_i32 s9, 0x2710
	s_cselect_b64 s[48:49], -1, 0
	s_and_b64 vcc, exec, s[48:49]
	s_cbranch_vccz .LBB2_5469
; %bb.5468:                             ;   in Loop: Header=BB2_5467 Depth=3
	s_mov_b64 vcc, -1
	s_or_b64 s[38:39], s[38:39], exec
	s_and_saveexec_b64 s[50:51], s[48:49]
	s_cbranch_execz .LBB2_5466
	s_branch .LBB2_5470
.LBB2_5469:                             ;   in Loop: Header=BB2_5467 Depth=3
	s_trap 2
	ds_read_b64 v[1:2], v0
	s_andn2_b64 s[48:49], s[48:49], exec
	s_mov_b32 s9, 0
	s_waitcnt lgkmcnt(0)
	flat_load_dword v1, v[1:2] glc
	s_waitcnt vmcnt(0) lgkmcnt(0)
	buffer_wbinvl1_vol
	v_cmp_eq_u32_e32 vcc, 0, v1
	s_and_b64 vcc, vcc, exec
	s_or_b64 s[48:49], s[48:49], vcc
	s_mov_b64 vcc, -1
	s_or_b64 s[38:39], s[38:39], exec
	s_and_saveexec_b64 s[50:51], s[48:49]
	s_cbranch_execz .LBB2_5466
.LBB2_5470:                             ;   in Loop: Header=BB2_5467 Depth=3
	s_sleep 1
	s_trap 2
	ds_read_b64 v[1:2], v0
	s_waitcnt lgkmcnt(0)
	s_andn2_b64 s[38:39], s[38:39], exec
	v_cmp_ge_u64_e32 vcc, v[1:2], v[28:29]
	s_orn2_b64 vcc, vcc, exec
	s_branch .LBB2_5466
.LBB2_5471:                             ;   in Loop: Header=BB2_5363 Depth=2
	s_or_b64 exec, exec, s[34:35]
	s_and_saveexec_b64 vcc, s[36:37]
	s_xor_b64 vcc, exec, vcc
	s_cbranch_execz .LBB2_5473
; %bb.5472:                             ;   in Loop: Header=BB2_5363 Depth=2
	v_mov_b32_e32 v1, 1
	ds_write_b32 v0, v1
	s_trap 2
.LBB2_5473:                             ;   in Loop: Header=BB2_5363 Depth=2
	s_or_b64 exec, exec, s[30:31]
	;;#ASMSTART
	s_wakeup
	;;#ASMEND
.LBB2_5474:                             ;   in Loop: Header=BB2_5363 Depth=2
	s_or_b64 exec, exec, s[94:95]
.LBB2_5475:                             ;   in Loop: Header=BB2_5363 Depth=2
	s_andn2_saveexec_b64 s[92:93], s[92:93]
	s_cbranch_execz .LBB2_5477
; %bb.5476:                             ;   in Loop: Header=BB2_5363 Depth=2
	s_waitcnt vmcnt(0) lgkmcnt(0)
	buffer_wbinvl1_vol
	s_barrier
.LBB2_5477:                             ;   in Loop: Header=BB2_5363 Depth=2
	s_or_b64 exec, exec, s[92:93]
	s_or_b64 exec, exec, s[90:91]
	s_and_saveexec_b64 s[90:91], s[24:25]
	s_xor_b64 s[90:91], exec, s[90:91]
	s_cbranch_execnz .LBB2_5435
.LBB2_5478:                             ;   in Loop: Header=BB2_5363 Depth=2
	s_andn2_saveexec_b64 s[26:27], s[90:91]
	s_cbranch_execz .LBB2_5497
.LBB2_5479:                             ;   in Loop: Header=BB2_5363 Depth=2
	s_and_saveexec_b64 s[90:91], s[58:59]
	s_xor_b64 s[90:91], exec, s[90:91]
	s_cbranch_execz .LBB2_5494
; %bb.5480:                             ;   in Loop: Header=BB2_5363 Depth=2
	s_and_saveexec_b64 s[92:93], s[16:17]
	s_cbranch_execz .LBB2_5493
; %bb.5481:                             ;   in Loop: Header=BB2_5363 Depth=2
	s_mov_b64 s[30:31], exec
	v_mbcnt_lo_u32_b32 v1, s30, 0
	v_mbcnt_hi_u32_b32 v1, s31, v1
	v_cmp_eq_u32_e32 vcc, 0, v1
	;;#ASMSTART
	s_waitcnt lgkmcnt(0) vmcnt(0)
	;;#ASMEND
	s_and_saveexec_b64 s[94:95], vcc
	s_cbranch_execz .LBB2_5483
; %bb.5482:                             ;   in Loop: Header=BB2_5363 Depth=2
	s_bcnt1_i32_b64 s9, s[30:31]
	v_mov_b32_e32 v2, s9
	s_waitcnt lgkmcnt(0)
	ds_add_u64 v0, v[2:3]
	s_trap 2
.LBB2_5483:                             ;   in Loop: Header=BB2_5363 Depth=2
	s_or_b64 exec, exec, s[94:95]
	s_trap 2
	ds_read_b64 v[1:2], v0
	s_waitcnt lgkmcnt(0)
	v_add_co_u32_e32 v28, vcc, v28, v35
	v_addc_co_u32_e32 v29, vcc, 0, v29, vcc
	v_cmp_lt_u64_e32 vcc, v[1:2], v[28:29]
	s_and_saveexec_b64 s[94:95], vcc
	s_cbranch_execz .LBB2_5492
; %bb.5484:                             ;   in Loop: Header=BB2_5363 Depth=2
	s_mov_b32 s9, 0
	s_mov_b64 s[30:31], 0
                                        ; implicit-def: $sgpr34_sgpr35
                                        ; implicit-def: $sgpr36_sgpr37
	s_branch .LBB2_5486
.LBB2_5485:                             ;   in Loop: Header=BB2_5486 Depth=3
	s_or_b64 exec, exec, s[48:49]
	s_and_b64 vcc, exec, vcc
	s_or_b64 s[30:31], vcc, s[30:31]
	s_andn2_b64 vcc, s[34:35], exec
	s_and_b64 s[34:35], s[36:37], exec
	s_or_b64 s[34:35], vcc, s[34:35]
	s_andn2_b64 exec, exec, s[30:31]
	s_cbranch_execz .LBB2_5490
.LBB2_5486:                             ;   Parent Loop BB2_47 Depth=1
                                        ;     Parent Loop BB2_5363 Depth=2
                                        ; =>    This Inner Loop Header: Depth=3
	s_add_i32 s9, s9, 1
	s_cmpk_lg_i32 s9, 0x2710
	s_cselect_b64 s[38:39], -1, 0
	s_and_b64 vcc, exec, s[38:39]
	s_cbranch_vccz .LBB2_5488
; %bb.5487:                             ;   in Loop: Header=BB2_5486 Depth=3
	s_mov_b64 vcc, -1
	s_or_b64 s[36:37], s[36:37], exec
	s_and_saveexec_b64 s[48:49], s[38:39]
	s_cbranch_execz .LBB2_5485
	s_branch .LBB2_5489
.LBB2_5488:                             ;   in Loop: Header=BB2_5486 Depth=3
	s_trap 2
	ds_read_b64 v[1:2], v0
	s_andn2_b64 s[38:39], s[38:39], exec
	s_mov_b32 s9, 0
	s_waitcnt vmcnt(0) lgkmcnt(0)
	flat_load_dword v1, v[1:2] glc
	s_waitcnt vmcnt(0) lgkmcnt(0)
	buffer_wbinvl1_vol
	v_cmp_eq_u32_e32 vcc, 0, v1
	s_and_b64 vcc, vcc, exec
	s_or_b64 s[38:39], s[38:39], vcc
	s_mov_b64 vcc, -1
	s_or_b64 s[36:37], s[36:37], exec
	s_and_saveexec_b64 s[48:49], s[38:39]
	s_cbranch_execz .LBB2_5485
.LBB2_5489:                             ;   in Loop: Header=BB2_5486 Depth=3
	s_sleep 1
	s_trap 2
	ds_read_b64 v[1:2], v0
	s_waitcnt lgkmcnt(0)
	s_andn2_b64 s[36:37], s[36:37], exec
	v_cmp_ge_u64_e32 vcc, v[1:2], v[28:29]
	s_orn2_b64 vcc, vcc, exec
	s_branch .LBB2_5485
.LBB2_5490:                             ;   in Loop: Header=BB2_5363 Depth=2
	s_or_b64 exec, exec, s[30:31]
	s_and_saveexec_b64 vcc, s[34:35]
	s_xor_b64 vcc, exec, vcc
	s_cbranch_execz .LBB2_5492
; %bb.5491:                             ;   in Loop: Header=BB2_5363 Depth=2
	v_mov_b32_e32 v1, 1
	ds_write_b32 v0, v1
	s_trap 2
.LBB2_5492:                             ;   in Loop: Header=BB2_5363 Depth=2
	s_or_b64 exec, exec, s[94:95]
	;;#ASMSTART
	s_wakeup
	;;#ASMEND
.LBB2_5493:                             ;   in Loop: Header=BB2_5363 Depth=2
	s_or_b64 exec, exec, s[92:93]
.LBB2_5494:                             ;   in Loop: Header=BB2_5363 Depth=2
	s_andn2_saveexec_b64 s[90:91], s[90:91]
	s_cbranch_execz .LBB2_5496
; %bb.5495:                             ;   in Loop: Header=BB2_5363 Depth=2
	;;#ASMSTART
	s_waitcnt lgkmcnt(0) vmcnt(0)
	;;#ASMEND
	s_waitcnt vmcnt(0) lgkmcnt(0)
	s_barrier
.LBB2_5496:                             ;   in Loop: Header=BB2_5363 Depth=2
	s_or_b64 exec, exec, s[90:91]
.LBB2_5497:                             ;   in Loop: Header=BB2_5363 Depth=2
	s_or_b64 exec, exec, s[26:27]
	v_and_b32_e32 v1, 32, v38
	v_cmp_ne_u32_e32 vcc, 0, v1
	s_and_saveexec_b64 s[26:27], vcc
	s_cbranch_execz .LBB2_5362
; %bb.5498:                             ;   in Loop: Header=BB2_5363 Depth=2
	v_add_co_u32_e32 v50, vcc, 2, v50
	v_addc_co_u32_e32 v51, vcc, 0, v51, vcc
	flat_store_dwordx2 v[22:23], v[50:51]
	s_branch .LBB2_5362
.LBB2_5499:                             ;   in Loop: Header=BB2_47 Depth=1
	s_or_b64 exec, exec, s[40:41]
.LBB2_5500:                             ;   in Loop: Header=BB2_47 Depth=1
	s_or_b64 exec, exec, s[28:29]
	v_cmp_gt_i32_e32 vcc, 2, v1
	s_and_saveexec_b64 s[28:29], vcc
	s_cbranch_execnz .LBB2_5501
; %bb.5613:                             ;   in Loop: Header=BB2_47 Depth=1
	s_getpc_b64 s[98:99]
.Lpost_getpc3:
	s_add_u32 s98, s98, (.LBB2_46-.Lpost_getpc3)&4294967295
	s_addc_u32 s99, s99, (.LBB2_46-.Lpost_getpc3)>>32
	s_setpc_b64 s[98:99]
.LBB2_5501:                             ;   in Loop: Header=BB2_47 Depth=1
	v_cmp_eq_u32_e64 s[42:43], 0, v1
	s_mov_b64 s[40:41], 0
	s_branch .LBB2_5503
.LBB2_5502:                             ;   in Loop: Header=BB2_5503 Depth=2
	s_or_b64 exec, exec, s[26:27]
	v_add_u32_e32 v16, v15, v16
	s_mov_b64 s[42:43], 0
	s_andn2_b64 exec, exec, s[40:41]
	s_cbranch_execnz .LBB2_5503
; %bb.5615:                             ;   in Loop: Header=BB2_47 Depth=1
	s_getpc_b64 s[98:99]
.Lpost_getpc4:
	s_add_u32 s98, s98, (.LBB2_45-.Lpost_getpc4)&4294967295
	s_addc_u32 s99, s99, (.LBB2_45-.Lpost_getpc4)>>32
	s_setpc_b64 s[98:99]
.LBB2_5503:                             ;   Parent Loop BB2_47 Depth=1
                                        ; =>  This Loop Header: Depth=2
                                        ;       Child Loop BB2_5509 Depth 3
                                        ;       Child Loop BB2_5533 Depth 3
	;; [unrolled: 1-line block ×3, first 2 shown]
	v_and_b32_e32 v1, 4, v38
	v_cmp_ne_u32_e32 vcc, 0, v1
	s_and_saveexec_b64 s[90:91], vcc
	s_cbranch_execz .LBB2_5525
; %bb.5504:                             ;   in Loop: Header=BB2_5503 Depth=2
	v_add_co_u32_e32 v8, vcc, 2, v50
	v_addc_co_u32_e32 v9, vcc, 0, v51, vcc
	s_waitcnt lgkmcnt(0)
	v_cmp_lt_u64_e32 vcc, v[32:33], v[8:9]
	s_and_saveexec_b64 s[92:93], vcc
	s_cbranch_execz .LBB2_5516
; %bb.5505:                             ;   in Loop: Header=BB2_5503 Depth=2
	v_and_b32_e32 v1, 64, v38
	s_mov_b32 s8, 0
	v_cmp_eq_u32_e32 vcc, 0, v1
	s_mov_b64 s[94:95], 0
                                        ; implicit-def: $sgpr30_sgpr31
                                        ; implicit-def: $sgpr34_sgpr35
                                        ; implicit-def: $sgpr36_sgpr37
	s_branch .LBB2_5509
.LBB2_5506:                             ;   in Loop: Header=BB2_5509 Depth=3
	s_waitcnt vmcnt(0) lgkmcnt(0)
	v_cmp_ge_u64_e64 s[26:27], v[32:33], v[8:9]
	s_or_b64 s[50:51], s[50:51], exec
	s_orn2_b64 s[48:49], s[26:27], exec
.LBB2_5507:                             ;   in Loop: Header=BB2_5509 Depth=3
	s_or_b64 exec, exec, s[54:55]
	s_andn2_b64 s[26:27], s[36:37], exec
	s_and_b64 s[36:37], s[50:51], exec
	s_or_b64 s[36:37], s[26:27], s[36:37]
	s_andn2_b64 s[26:27], s[34:35], exec
	s_and_b64 s[34:35], s[48:49], exec
	s_or_b64 s[34:35], s[26:27], s[34:35]
.LBB2_5508:                             ;   in Loop: Header=BB2_5509 Depth=3
	s_or_b64 exec, exec, s[38:39]
	s_and_b64 s[26:27], exec, s[34:35]
	s_or_b64 s[94:95], s[26:27], s[94:95]
	s_andn2_b64 s[26:27], s[30:31], exec
	s_and_b64 s[30:31], s[36:37], exec
	s_or_b64 s[30:31], s[26:27], s[30:31]
	s_andn2_b64 exec, exec, s[94:95]
	s_cbranch_execz .LBB2_5513
.LBB2_5509:                             ;   Parent Loop BB2_47 Depth=1
                                        ;     Parent Loop BB2_5503 Depth=2
                                        ; =>    This Inner Loop Header: Depth=3
	s_sleep 1
	s_waitcnt vmcnt(0) lgkmcnt(0)
	flat_load_dwordx2 v[32:33], v[22:23] glc
	s_or_b64 s[36:37], s[36:37], exec
	s_or_b64 s[34:35], s[34:35], exec
                                        ; implicit-def: $vgpr1
	s_and_saveexec_b64 s[38:39], vcc
	s_cbranch_execz .LBB2_5508
; %bb.5510:                             ;   in Loop: Header=BB2_5509 Depth=3
	s_cmpk_lt_i32 s8, 0x270f
	s_cselect_b64 s[52:53], -1, 0
	s_cmpk_gt_i32 s8, 0x270e
	s_mov_b64 s[48:49], -1
	s_cbranch_scc0 .LBB2_5512
; %bb.5511:                             ;   in Loop: Header=BB2_5509 Depth=3
	s_trap 2
	ds_read_b64 v[1:2], v0
	s_andn2_b64 s[52:53], s[52:53], exec
	s_mov_b32 s8, 0
	s_mov_b64 s[50:51], 0
	s_waitcnt vmcnt(0) lgkmcnt(0)
	flat_load_dword v1, v[1:2] glc
	s_waitcnt vmcnt(0) lgkmcnt(0)
	buffer_wbinvl1_vol
	v_cmp_eq_u32_e64 s[26:27], 0, v1
	s_and_b64 s[26:27], s[26:27], exec
	s_or_b64 s[52:53], s[52:53], s[26:27]
	s_and_saveexec_b64 s[54:55], s[52:53]
	s_cbranch_execz .LBB2_5507
	s_branch .LBB2_5506
.LBB2_5512:                             ;   in Loop: Header=BB2_5509 Depth=3
	s_add_i32 s8, s8, 1
	s_mov_b64 s[50:51], -1
                                        ; implicit-def: $vgpr1
	s_and_saveexec_b64 s[54:55], s[52:53]
	s_cbranch_execz .LBB2_5507
	s_branch .LBB2_5506
.LBB2_5513:                             ;   in Loop: Header=BB2_5503 Depth=2
	s_or_b64 exec, exec, s[94:95]
	s_xor_b64 s[8:9], s[30:31], -1
	s_and_saveexec_b64 s[26:27], s[8:9]
	s_xor_b64 s[26:27], exec, s[26:27]
	s_cbranch_execz .LBB2_5515
; %bb.5514:                             ;   in Loop: Header=BB2_5503 Depth=2
	v_or_b32_e32 v38, 64, v38
	s_waitcnt lgkmcnt(0)
	ds_write_b32 v0, v1
	s_trap 2
.LBB2_5515:                             ;   in Loop: Header=BB2_5503 Depth=2
	s_or_b64 exec, exec, s[26:27]
.LBB2_5516:                             ;   in Loop: Header=BB2_5503 Depth=2
	s_or_b64 exec, exec, s[92:93]
	v_and_b32_e32 v1, 0x100, v38
	v_cmp_ne_u32_e32 vcc, 0, v1
	v_and_b32_e32 v1, 7, v50
	s_mov_b64 s[26:27], -1
	;;#ASMSTART
	s_wakeup
	;;#ASMEND
                                        ; implicit-def: $vgpr10_vgpr11
	s_and_saveexec_b64 s[92:93], vcc
	s_cbranch_execz .LBB2_5520
; %bb.5517:                             ;   in Loop: Header=BB2_5503 Depth=2
	buffer_load_dword v10, off, s[0:3], s33 offset:76 ; 4-byte Folded Reload
	buffer_load_dword v11, off, s[0:3], s33 offset:80 ; 4-byte Folded Reload
	buffer_load_dword v12, off, s[0:3], s33 offset:84 ; 4-byte Folded Reload
	buffer_load_dword v13, off, s[0:3], s33 offset:88 ; 4-byte Folded Reload
	s_waitcnt vmcnt(0)
	v_mad_u64_u32 v[4:5], s[8:9], v1, 24, v[10:11]
                                        ; implicit-def: $vgpr10_vgpr11
	flat_load_dword v2, v[4:5]
	s_waitcnt vmcnt(0) lgkmcnt(0)
	v_cmp_ne_u32_e32 vcc, 1, v2
	v_cmp_eq_u32_e64 s[26:27], 1, v2
	s_and_saveexec_b64 s[94:95], s[26:27]
	s_cbranch_execz .LBB2_5519
; %bb.5518:                             ;   in Loop: Header=BB2_5503 Depth=2
	flat_load_dword v10, v[4:5] offset:4 glc
	s_waitcnt vmcnt(0) lgkmcnt(0)
	v_ashrrev_i32_e32 v11, 31, v10
.LBB2_5519:                             ;   in Loop: Header=BB2_5503 Depth=2
	s_or_b64 exec, exec, s[94:95]
	s_orn2_b64 s[26:27], vcc, exec
.LBB2_5520:                             ;   in Loop: Header=BB2_5503 Depth=2
	s_or_b64 exec, exec, s[92:93]
	s_and_saveexec_b64 s[92:93], s[26:27]
; %bb.5521:                             ;   in Loop: Header=BB2_5503 Depth=2
	v_mad_i64_i32 v[10:11], s[8:9], v1, v56, 0
; %bb.5522:                             ;   in Loop: Header=BB2_5503 Depth=2
	s_or_b64 exec, exec, s[92:93]
	buffer_load_dword v1, off, s[0:3], s33 offset:68 ; 4-byte Folded Reload
	buffer_load_dword v2, off, s[0:3], s33 offset:72 ; 4-byte Folded Reload
	s_waitcnt vmcnt(0)
	v_add_co_u32_e32 v1, vcc, v1, v10
	v_addc_co_u32_e32 v2, vcc, v2, v11, vcc
	ds_write_b64 v0, v[1:2] offset:720
	v_and_b32_e32 v1, 0x2000, v38
	v_cmp_ne_u32_e32 vcc, 0, v1
	s_and_saveexec_b64 s[26:27], vcc
	s_cbranch_execz .LBB2_5524
; %bb.5523:                             ;   in Loop: Header=BB2_5503 Depth=2
	ds_read_b64 v[1:2], v0 offset:872
	s_waitcnt lgkmcnt(0)
	v_add_co_u32_e32 v1, vcc, 1, v1
	v_addc_co_u32_e32 v2, vcc, 0, v2, vcc
	ds_write_b64 v0, v[1:2] offset:872
.LBB2_5524:                             ;   in Loop: Header=BB2_5503 Depth=2
	s_or_b64 exec, exec, s[26:27]
	v_mov_b32_e32 v51, v9
	v_mov_b32_e32 v50, v8
.LBB2_5525:                             ;   in Loop: Header=BB2_5503 Depth=2
	s_or_b64 exec, exec, s[90:91]
	s_xor_b64 s[8:9], s[42:43], -1
	s_and_b64 s[8:9], exec, s[8:9]
	s_or_b64 s[40:41], s[8:9], s[40:41]
	s_and_saveexec_b64 s[26:27], s[10:11]
	s_cbranch_execz .LBB2_5544
; %bb.5526:                             ;   in Loop: Header=BB2_5503 Depth=2
	s_and_saveexec_b64 s[8:9], s[58:59]
	s_xor_b64 s[42:43], exec, s[8:9]
	s_cbranch_execz .LBB2_5541
; %bb.5527:                             ;   in Loop: Header=BB2_5503 Depth=2
	s_and_saveexec_b64 s[90:91], s[16:17]
	s_cbranch_execz .LBB2_5540
; %bb.5528:                             ;   in Loop: Header=BB2_5503 Depth=2
	s_mov_b64 s[94:95], exec
	v_mbcnt_lo_u32_b32 v1, s94, 0
	v_mbcnt_hi_u32_b32 v1, s95, v1
	v_cmp_eq_u32_e32 vcc, 0, v1
	s_waitcnt vmcnt(0) lgkmcnt(0)
	buffer_wbinvl1_vol
	s_and_saveexec_b64 s[92:93], vcc
	s_cbranch_execz .LBB2_5530
; %bb.5529:                             ;   in Loop: Header=BB2_5503 Depth=2
	s_bcnt1_i32_b64 s8, s[94:95]
	v_mov_b32_e32 v2, s8
	ds_add_u64 v0, v[2:3]
	s_trap 2
.LBB2_5530:                             ;   in Loop: Header=BB2_5503 Depth=2
	s_or_b64 exec, exec, s[92:93]
	s_trap 2
	ds_read_b64 v[1:2], v0
	s_waitcnt lgkmcnt(0)
	v_add_co_u32_e32 v28, vcc, v28, v35
	v_addc_co_u32_e32 v29, vcc, 0, v29, vcc
	v_cmp_lt_u64_e32 vcc, v[1:2], v[28:29]
	s_and_saveexec_b64 s[92:93], vcc
	s_cbranch_execz .LBB2_5539
; %bb.5531:                             ;   in Loop: Header=BB2_5503 Depth=2
	s_mov_b32 s8, 0
	s_mov_b64 s[94:95], 0
                                        ; implicit-def: $sgpr30_sgpr31
                                        ; implicit-def: $sgpr34_sgpr35
	s_branch .LBB2_5533
.LBB2_5532:                             ;   in Loop: Header=BB2_5533 Depth=3
	s_or_b64 exec, exec, s[38:39]
	s_and_b64 vcc, exec, vcc
	s_or_b64 s[94:95], vcc, s[94:95]
	s_andn2_b64 vcc, s[30:31], exec
	s_and_b64 s[30:31], s[34:35], exec
	s_or_b64 s[30:31], vcc, s[30:31]
	s_andn2_b64 exec, exec, s[94:95]
	s_cbranch_execz .LBB2_5537
.LBB2_5533:                             ;   Parent Loop BB2_47 Depth=1
                                        ;     Parent Loop BB2_5503 Depth=2
                                        ; =>    This Inner Loop Header: Depth=3
	s_add_i32 s8, s8, 1
	s_cmpk_lg_i32 s8, 0x2710
	s_cselect_b64 s[36:37], -1, 0
	s_and_b64 vcc, exec, s[36:37]
	s_cbranch_vccz .LBB2_5535
; %bb.5534:                             ;   in Loop: Header=BB2_5533 Depth=3
	s_mov_b64 vcc, -1
	s_or_b64 s[34:35], s[34:35], exec
	s_and_saveexec_b64 s[38:39], s[36:37]
	s_cbranch_execz .LBB2_5532
	s_branch .LBB2_5536
.LBB2_5535:                             ;   in Loop: Header=BB2_5533 Depth=3
	s_trap 2
	ds_read_b64 v[1:2], v0
	s_andn2_b64 s[36:37], s[36:37], exec
	s_mov_b32 s8, 0
	s_waitcnt lgkmcnt(0)
	flat_load_dword v1, v[1:2] glc
	s_waitcnt vmcnt(0) lgkmcnt(0)
	buffer_wbinvl1_vol
	v_cmp_eq_u32_e32 vcc, 0, v1
	s_and_b64 vcc, vcc, exec
	s_or_b64 s[36:37], s[36:37], vcc
	s_mov_b64 vcc, -1
	s_or_b64 s[34:35], s[34:35], exec
	s_and_saveexec_b64 s[38:39], s[36:37]
	s_cbranch_execz .LBB2_5532
.LBB2_5536:                             ;   in Loop: Header=BB2_5533 Depth=3
	s_sleep 1
	s_trap 2
	ds_read_b64 v[1:2], v0
	s_waitcnt lgkmcnt(0)
	s_andn2_b64 s[34:35], s[34:35], exec
	v_cmp_ge_u64_e32 vcc, v[1:2], v[28:29]
	s_orn2_b64 vcc, vcc, exec
	s_branch .LBB2_5532
.LBB2_5537:                             ;   in Loop: Header=BB2_5503 Depth=2
	s_or_b64 exec, exec, s[94:95]
	s_and_saveexec_b64 s[8:9], s[30:31]
	s_xor_b64 s[8:9], exec, s[8:9]
	s_cbranch_execz .LBB2_5539
; %bb.5538:                             ;   in Loop: Header=BB2_5503 Depth=2
	v_mov_b32_e32 v1, 1
	ds_write_b32 v0, v1
	s_trap 2
.LBB2_5539:                             ;   in Loop: Header=BB2_5503 Depth=2
	s_or_b64 exec, exec, s[92:93]
	;;#ASMSTART
	s_wakeup
	;;#ASMEND
.LBB2_5540:                             ;   in Loop: Header=BB2_5503 Depth=2
	s_or_b64 exec, exec, s[90:91]
.LBB2_5541:                             ;   in Loop: Header=BB2_5503 Depth=2
	s_andn2_saveexec_b64 s[42:43], s[42:43]
	s_cbranch_execz .LBB2_5543
; %bb.5542:                             ;   in Loop: Header=BB2_5503 Depth=2
	s_waitcnt vmcnt(0) lgkmcnt(0)
	buffer_wbinvl1_vol
	s_barrier
.LBB2_5543:                             ;   in Loop: Header=BB2_5503 Depth=2
	s_or_b64 exec, exec, s[42:43]
.LBB2_5544:                             ;   in Loop: Header=BB2_5503 Depth=2
	s_or_b64 exec, exec, s[26:27]
	v_sub_u32_e32 v1, v14, v16
	v_min_i32_e32 v15, v15, v1
	s_and_saveexec_b64 s[8:9], s[24:25]
	s_xor_b64 s[26:27], exec, s[8:9]
	s_cbranch_execz .LBB2_5548
; %bb.5545:                             ;   in Loop: Header=BB2_5503 Depth=2
	s_trap 2
	ds_read_b32 v1, v0
	v_cmp_lt_i32_e32 vcc, 0, v15
	s_waitcnt lgkmcnt(0)
	v_readfirstlane_b32 s8, v1
	s_cmp_eq_u32 s8, 0
	s_cselect_b64 s[8:9], -1, 0
	v_and_b32_e32 v1, 16, v38
	s_and_b64 s[8:9], vcc, s[8:9]
	v_cmp_ne_u32_e32 vcc, 0, v1
	s_and_b64 s[8:9], vcc, s[8:9]
	s_and_saveexec_b64 s[42:43], s[8:9]
	s_cbranch_execz .LBB2_5547
; %bb.5546:                             ;   in Loop: Header=BB2_5503 Depth=2
	s_waitcnt vmcnt(0)
	buffer_wbinvl1_vol
.LBB2_5547:                             ;   in Loop: Header=BB2_5503 Depth=2
	s_or_b64 exec, exec, s[42:43]
.LBB2_5548:                             ;   in Loop: Header=BB2_5503 Depth=2
	s_andn2_saveexec_b64 s[26:27], s[26:27]
	s_cbranch_execz .LBB2_5567
; %bb.5549:                             ;   in Loop: Header=BB2_5503 Depth=2
	s_and_saveexec_b64 s[8:9], s[58:59]
	s_xor_b64 s[42:43], exec, s[8:9]
	s_cbranch_execz .LBB2_5564
; %bb.5550:                             ;   in Loop: Header=BB2_5503 Depth=2
	s_and_saveexec_b64 s[90:91], s[16:17]
	s_cbranch_execz .LBB2_5563
; %bb.5551:                             ;   in Loop: Header=BB2_5503 Depth=2
	s_mov_b64 s[94:95], exec
	v_mbcnt_lo_u32_b32 v1, s94, 0
	v_mbcnt_hi_u32_b32 v1, s95, v1
	v_cmp_eq_u32_e32 vcc, 0, v1
	;;#ASMSTART
	s_waitcnt lgkmcnt(0) vmcnt(0)
	;;#ASMEND
	s_and_saveexec_b64 s[92:93], vcc
	s_cbranch_execz .LBB2_5553
; %bb.5552:                             ;   in Loop: Header=BB2_5503 Depth=2
	s_bcnt1_i32_b64 s8, s[94:95]
	v_mov_b32_e32 v2, s8
	s_waitcnt lgkmcnt(0)
	ds_add_u64 v0, v[2:3]
	s_trap 2
.LBB2_5553:                             ;   in Loop: Header=BB2_5503 Depth=2
	s_or_b64 exec, exec, s[92:93]
	s_trap 2
	ds_read_b64 v[1:2], v0
	s_waitcnt lgkmcnt(0)
	v_add_co_u32_e32 v28, vcc, v28, v35
	v_addc_co_u32_e32 v29, vcc, 0, v29, vcc
	v_cmp_lt_u64_e32 vcc, v[1:2], v[28:29]
	s_and_saveexec_b64 s[92:93], vcc
	s_cbranch_execz .LBB2_5562
; %bb.5554:                             ;   in Loop: Header=BB2_5503 Depth=2
	s_mov_b32 s8, 0
	s_mov_b64 s[94:95], 0
                                        ; implicit-def: $sgpr30_sgpr31
                                        ; implicit-def: $sgpr34_sgpr35
	s_branch .LBB2_5556
.LBB2_5555:                             ;   in Loop: Header=BB2_5556 Depth=3
	s_or_b64 exec, exec, s[38:39]
	s_and_b64 vcc, exec, vcc
	s_or_b64 s[94:95], vcc, s[94:95]
	s_andn2_b64 vcc, s[30:31], exec
	s_and_b64 s[30:31], s[34:35], exec
	s_or_b64 s[30:31], vcc, s[30:31]
	s_andn2_b64 exec, exec, s[94:95]
	s_cbranch_execz .LBB2_5560
.LBB2_5556:                             ;   Parent Loop BB2_47 Depth=1
                                        ;     Parent Loop BB2_5503 Depth=2
                                        ; =>    This Inner Loop Header: Depth=3
	s_add_i32 s8, s8, 1
	s_cmpk_lg_i32 s8, 0x2710
	s_cselect_b64 s[36:37], -1, 0
	s_and_b64 vcc, exec, s[36:37]
	s_cbranch_vccz .LBB2_5558
; %bb.5557:                             ;   in Loop: Header=BB2_5556 Depth=3
	s_mov_b64 vcc, -1
	s_or_b64 s[34:35], s[34:35], exec
	s_and_saveexec_b64 s[38:39], s[36:37]
	s_cbranch_execz .LBB2_5555
	s_branch .LBB2_5559
.LBB2_5558:                             ;   in Loop: Header=BB2_5556 Depth=3
	s_trap 2
	ds_read_b64 v[1:2], v0
	s_andn2_b64 s[36:37], s[36:37], exec
	s_mov_b32 s8, 0
	s_waitcnt vmcnt(0) lgkmcnt(0)
	flat_load_dword v1, v[1:2] glc
	s_waitcnt vmcnt(0) lgkmcnt(0)
	buffer_wbinvl1_vol
	v_cmp_eq_u32_e32 vcc, 0, v1
	s_and_b64 vcc, vcc, exec
	s_or_b64 s[36:37], s[36:37], vcc
	s_mov_b64 vcc, -1
	s_or_b64 s[34:35], s[34:35], exec
	s_and_saveexec_b64 s[38:39], s[36:37]
	s_cbranch_execz .LBB2_5555
.LBB2_5559:                             ;   in Loop: Header=BB2_5556 Depth=3
	s_sleep 1
	s_trap 2
	ds_read_b64 v[1:2], v0
	s_waitcnt lgkmcnt(0)
	s_andn2_b64 s[34:35], s[34:35], exec
	v_cmp_ge_u64_e32 vcc, v[1:2], v[28:29]
	s_orn2_b64 vcc, vcc, exec
	s_branch .LBB2_5555
.LBB2_5560:                             ;   in Loop: Header=BB2_5503 Depth=2
	s_or_b64 exec, exec, s[94:95]
	s_and_saveexec_b64 s[8:9], s[30:31]
	s_xor_b64 s[8:9], exec, s[8:9]
	s_cbranch_execz .LBB2_5562
; %bb.5561:                             ;   in Loop: Header=BB2_5503 Depth=2
	v_mov_b32_e32 v1, 1
	ds_write_b32 v0, v1
	s_trap 2
.LBB2_5562:                             ;   in Loop: Header=BB2_5503 Depth=2
	s_or_b64 exec, exec, s[92:93]
	;;#ASMSTART
	s_wakeup
	;;#ASMEND
.LBB2_5563:                             ;   in Loop: Header=BB2_5503 Depth=2
	s_or_b64 exec, exec, s[90:91]
.LBB2_5564:                             ;   in Loop: Header=BB2_5503 Depth=2
	s_andn2_saveexec_b64 s[42:43], s[42:43]
	s_cbranch_execz .LBB2_5566
; %bb.5565:                             ;   in Loop: Header=BB2_5503 Depth=2
	;;#ASMSTART
	s_waitcnt lgkmcnt(0) vmcnt(0)
	;;#ASMEND
	s_waitcnt vmcnt(0) lgkmcnt(0)
	s_barrier
.LBB2_5566:                             ;   in Loop: Header=BB2_5503 Depth=2
	s_or_b64 exec, exec, s[42:43]
.LBB2_5567:                             ;   in Loop: Header=BB2_5503 Depth=2
	s_or_b64 exec, exec, s[26:27]
	v_and_b32_e32 v1, 32, v38
	v_cmp_ne_u32_e32 vcc, 0, v1
	s_and_saveexec_b64 s[26:27], vcc
	s_cbranch_execz .LBB2_5502
; %bb.5568:                             ;   in Loop: Header=BB2_5503 Depth=2
	v_add_co_u32_e32 v50, vcc, 2, v50
	v_addc_co_u32_e32 v51, vcc, 0, v51, vcc
	flat_store_dwordx2 v[22:23], v[50:51]
	s_branch .LBB2_5502
.LBB2_5569:
	s_or_b64 exec, exec, s[60:61]
	buffer_load_dword v19, off, s[0:3], s33 offset:288 ; 4-byte Folded Reload
	buffer_load_dword v31, off, s[0:3], s33 offset:292 ; 4-byte Folded Reload
	;; [unrolled: 1-line block ×3, first 2 shown]
	v_readlane_b32 s28, v62, 4
	v_readlane_b32 s29, v62, 5
.LBB2_5570:
	v_readlane_b32 s4, v62, 2
	v_readlane_b32 s5, v62, 3
	s_or_b64 exec, exec, s[4:5]
	v_and_b32_e32 v0, 0x800, v38
	v_cmp_eq_u32_e32 vcc, 0, v0
	s_and_saveexec_b64 s[6:7], vcc
	s_cbranch_execz .LBB2_5603
; %bb.5571:
	v_and_b32_e32 v0, 48, v38
	v_cmp_ne_u32_e32 vcc, 0, v0
	s_and_saveexec_b64 s[4:5], vcc
	s_cbranch_execz .LBB2_5573
; %bb.5572:
	buffer_load_dword v0, off, s[0:3], s33 offset:280 ; 4-byte Folded Reload
	buffer_load_dword v1, off, s[0:3], s33 offset:284 ; 4-byte Folded Reload
	s_waitcnt vmcnt(0)
	flat_store_dwordx2 v[0:1], v[50:51] offset:104
.LBB2_5573:
	s_or_b64 exec, exec, s[4:5]
	s_movk_i32 s4, 0x88
	v_and_b32_e32 v0, 0x88, v38
	v_cmp_eq_u32_e32 vcc, s4, v0
	s_and_saveexec_b64 s[10:11], vcc
	s_cbranch_execz .LBB2_5583
; %bb.5574:
	buffer_load_dword v1, off, s[0:3], s33 offset:76 ; 4-byte Folded Reload
	buffer_load_dword v2, off, s[0:3], s33 offset:80 ; 4-byte Folded Reload
	;; [unrolled: 1-line block ×4, first 2 shown]
	v_add_u32_e32 v0, 6, v50
	v_and_b32_e32 v0, 7, v0
	s_waitcnt vmcnt(0)
	v_and_b32_e32 v4, 64, v38
	s_mov_b32 s8, 0
	v_mad_u64_u32 v[2:3], s[4:5], v0, 24, v[1:2]
	v_cmp_eq_u32_e64 s[4:5], 0, v4
	flat_load_dwordx2 v[0:1], v[2:3] offset:8 glc
	s_waitcnt vmcnt(0) lgkmcnt(0)
	v_cmp_ne_u64_e32 vcc, -1, v[0:1]
	s_and_b64 s[4:5], vcc, s[4:5]
	s_and_b64 exec, exec, s[4:5]
	s_cbranch_execz .LBB2_5583
; %bb.5575:
	s_mov_b64 s[4:5], 0
                                        ; implicit-def: $sgpr12_sgpr13
                                        ; implicit-def: $sgpr14_sgpr15
	s_branch .LBB2_5578
.LBB2_5576:                             ;   in Loop: Header=BB2_5578 Depth=1
	flat_load_dwordx2 v[4:5], v[2:3] offset:8 glc
	s_waitcnt vmcnt(0)
	s_andn2_b64 s[14:15], s[14:15], exec
	s_waitcnt lgkmcnt(0)
	v_cmp_eq_u64_e32 vcc, -1, v[4:5]
	s_orn2_b64 s[18:19], vcc, exec
.LBB2_5577:                             ;   in Loop: Header=BB2_5578 Depth=1
	s_or_b64 exec, exec, s[20:21]
	s_and_b64 s[16:17], exec, s[18:19]
	s_or_b64 s[4:5], s[16:17], s[4:5]
	s_andn2_b64 s[12:13], s[12:13], exec
	s_and_b64 s[16:17], s[14:15], exec
	s_or_b64 s[12:13], s[12:13], s[16:17]
	s_andn2_b64 exec, exec, s[4:5]
	s_cbranch_execz .LBB2_5581
.LBB2_5578:                             ; =>This Inner Loop Header: Depth=1
	s_cmpk_lt_i32 s8, 0x270f
	s_cselect_b64 s[16:17], -1, 0
	s_and_b64 vcc, exec, s[16:17]
	s_cbranch_vccnz .LBB2_5580
; %bb.5579:                             ;   in Loop: Header=BB2_5578 Depth=1
	s_trap 2
	ds_read_b64 v[0:1], v0
	s_andn2_b64 s[16:17], s[16:17], exec
	s_mov_b32 s8, 0
	s_waitcnt lgkmcnt(0)
	flat_load_dword v0, v[0:1] glc
	s_waitcnt vmcnt(0) lgkmcnt(0)
	buffer_wbinvl1_vol
	v_cmp_eq_u32_e32 vcc, 0, v0
	s_and_b64 s[18:19], vcc, exec
	s_or_b64 s[16:17], s[16:17], s[18:19]
	s_mov_b64 s[18:19], -1
	s_or_b64 s[14:15], s[14:15], exec
	s_and_saveexec_b64 s[20:21], s[16:17]
	s_cbranch_execz .LBB2_5577
	s_branch .LBB2_5576
.LBB2_5580:                             ;   in Loop: Header=BB2_5578 Depth=1
	s_add_i32 s8, s8, 1
                                        ; implicit-def: $vgpr0
	s_mov_b64 s[18:19], -1
	s_or_b64 s[14:15], s[14:15], exec
	s_and_saveexec_b64 s[20:21], s[16:17]
	s_cbranch_execz .LBB2_5577
	s_branch .LBB2_5576
.LBB2_5581:
	s_or_b64 exec, exec, s[4:5]
	s_and_saveexec_b64 s[4:5], s[12:13]
	s_xor_b64 s[4:5], exec, s[4:5]
	s_cbranch_execz .LBB2_5583
; %bb.5582:
	ds_write_b32 v0, v0
	s_trap 2
.LBB2_5583:
	s_or_b64 exec, exec, s[10:11]
	v_and_b32_e32 v0, 0x2000, v38
	v_cmp_ne_u32_e32 vcc, 0, v0
	s_and_saveexec_b64 s[4:5], vcc
	s_cbranch_execz .LBB2_5585
; %bb.5584:
	s_trap 2
	ds_read_b64 v[0:1], v0
	buffer_load_dword v2, off, s[0:3], s33 offset:300 ; 4-byte Folded Reload
	buffer_load_dword v3, off, s[0:3], s33 offset:304 ; 4-byte Folded Reload
	s_waitcnt vmcnt(0) lgkmcnt(0)
	flat_store_dwordx2 v[2:3], v[0:1] offset:16
.LBB2_5585:
	s_or_b64 exec, exec, s[4:5]
	s_waitcnt vmcnt(0)
	v_cmp_ne_u32_e32 vcc, 64, v19
	s_and_b64 exec, exec, vcc
	s_cbranch_execz .LBB2_5603
; %bb.5586:
	v_cmp_ne_u32_sdwa s[4:5], v19, v20 src0_sel:DWORD src1_sel:WORD_0
	s_and_saveexec_b64 s[8:9], s[4:5]
	s_xor_b64 s[4:5], exec, s[8:9]
	s_cbranch_execz .LBB2_5601
; %bb.5587:
	v_and_b32_e32 v0, 63, v31
	v_cmp_eq_u32_e32 vcc, 0, v0
	s_and_saveexec_b64 s[10:11], vcc
	s_cbranch_execz .LBB2_5600
; %bb.5588:
	s_mov_b64 s[14:15], exec
	v_mbcnt_lo_u32_b32 v0, s14, 0
	v_mbcnt_hi_u32_b32 v0, s15, v0
	v_cmp_eq_u32_e32 vcc, 0, v0
	s_waitcnt lgkmcnt(0)
	buffer_wbinvl1_vol
	s_and_saveexec_b64 s[12:13], vcc
	s_cbranch_execz .LBB2_5590
; %bb.5589:
	s_bcnt1_i32_b64 s8, s[14:15]
	v_mov_b32_e32 v0, s8
	v_mov_b32_e32 v1, 0
	ds_add_u64 v0, v[0:1]
	s_trap 2
.LBB2_5590:
	s_or_b64 exec, exec, s[12:13]
	v_lshrrev_b32_e32 v0, 6, v19
	s_trap 2
	ds_read_b64 v[2:3], v0
	s_waitcnt lgkmcnt(0)
	v_add_co_u32_e32 v0, vcc, v28, v0
	v_addc_co_u32_e32 v1, vcc, 0, v29, vcc
	v_cmp_lt_u64_e32 vcc, v[2:3], v[0:1]
	s_and_saveexec_b64 s[12:13], vcc
	s_cbranch_execz .LBB2_5599
; %bb.5591:
	s_mov_b32 s8, 0
	s_mov_b64 s[14:15], 0
                                        ; implicit-def: $sgpr16_sgpr17
                                        ; implicit-def: $sgpr18_sgpr19
	s_branch .LBB2_5593
.LBB2_5592:                             ;   in Loop: Header=BB2_5593 Depth=1
	s_or_b64 exec, exec, s[22:23]
	s_and_b64 s[20:21], exec, s[24:25]
	s_or_b64 s[14:15], s[20:21], s[14:15]
	s_andn2_b64 s[16:17], s[16:17], exec
	s_and_b64 s[20:21], s[18:19], exec
	s_or_b64 s[16:17], s[16:17], s[20:21]
	s_andn2_b64 exec, exec, s[14:15]
	s_cbranch_execz .LBB2_5597
.LBB2_5593:                             ; =>This Inner Loop Header: Depth=1
	s_add_i32 s8, s8, 1
	s_cmpk_lg_i32 s8, 0x2710
	s_cselect_b64 s[20:21], -1, 0
	s_and_b64 vcc, exec, s[20:21]
	s_cbranch_vccz .LBB2_5595
; %bb.5594:                             ;   in Loop: Header=BB2_5593 Depth=1
	s_mov_b64 s[24:25], -1
	s_or_b64 s[18:19], s[18:19], exec
	s_and_saveexec_b64 s[22:23], s[20:21]
	s_cbranch_execz .LBB2_5592
	s_branch .LBB2_5596
.LBB2_5595:                             ;   in Loop: Header=BB2_5593 Depth=1
	s_trap 2
	ds_read_b64 v[2:3], v0
	s_andn2_b64 s[20:21], s[20:21], exec
	s_mov_b32 s8, 0
	s_waitcnt lgkmcnt(0)
	flat_load_dword v2, v[2:3] glc
	s_waitcnt vmcnt(0) lgkmcnt(0)
	buffer_wbinvl1_vol
	v_cmp_eq_u32_e32 vcc, 0, v2
	s_and_b64 s[22:23], vcc, exec
	s_or_b64 s[20:21], s[20:21], s[22:23]
	s_mov_b64 s[24:25], -1
	s_or_b64 s[18:19], s[18:19], exec
	s_and_saveexec_b64 s[22:23], s[20:21]
	s_cbranch_execz .LBB2_5592
.LBB2_5596:                             ;   in Loop: Header=BB2_5593 Depth=1
	s_sleep 1
	s_trap 2
	ds_read_b64 v[2:3], v0
	s_waitcnt lgkmcnt(0)
	s_andn2_b64 s[18:19], s[18:19], exec
	v_cmp_ge_u64_e32 vcc, v[2:3], v[0:1]
	s_orn2_b64 s[24:25], vcc, exec
	s_branch .LBB2_5592
.LBB2_5597:
	s_or_b64 exec, exec, s[14:15]
	s_and_saveexec_b64 s[8:9], s[16:17]
	s_xor_b64 s[8:9], exec, s[8:9]
	s_cbranch_execz .LBB2_5599
; %bb.5598:
	v_mov_b32_e32 v0, 1
	ds_write_b32 v0, v0
	s_trap 2
.LBB2_5599:
	s_or_b64 exec, exec, s[12:13]
	;;#ASMSTART
	s_wakeup
	;;#ASMEND
.LBB2_5600:
	s_or_b64 exec, exec, s[10:11]
.LBB2_5601:
	s_andn2_saveexec_b64 s[4:5], s[4:5]
	s_cbranch_execz .LBB2_5603
; %bb.5602:
	s_waitcnt lgkmcnt(0)
	buffer_wbinvl1_vol
	s_barrier
.LBB2_5603:
	s_or_b64 exec, exec, s[6:7]
.LBB2_5604:
	v_readlane_b32 s4, v62, 0
	v_readlane_b32 s5, v62, 1
	s_andn2_saveexec_b64 s[26:27], s[4:5]
	s_cbranch_execz .LBB2_5606
; %bb.5605:
	s_getpc_b64 s[4:5]
	s_add_u32 s4, s4, __PRETTY_FUNCTION__._ZN10PrimitivesI14__hip_fp8_e5m28FuncProdIS0_E12FanSymmetricILi1EELi0E11ProtoSimpleILi2ELi2ELi0ELi1ELi0ELi0EELi0ELb0ELi0ELi0ELi0EEC2EiiPKiS9_PKvPvmhhhP15ncclDevWorkCollP14ncclDevWorkP2pii@rel32@lo+4
	s_addc_u32 s5, s5, __PRETTY_FUNCTION__._ZN10PrimitivesI14__hip_fp8_e5m28FuncProdIS0_E12FanSymmetricILi1EELi0E11ProtoSimpleILi2ELi2ELi0ELi1ELi0ELi0EELi0ELb0ELi0ELi0ELi0EEC2EiiPKiS9_PKvPvmhhhP15ncclDevWorkCollP14ncclDevWorkP2pii@rel32@hi+12
	s_getpc_b64 s[6:7]
	s_add_u32 s6, s6, __assert_fail@rel32@lo+4
	s_addc_u32 s7, s7, __assert_fail@rel32@hi+12
	s_mov_b64 s[8:9], s[28:29]
	v_mov_b32_e32 v0, s4
	v_mov_b32_e32 v1, s5
	s_swappc_b64 s[30:31], s[6:7]
	; divergent unreachable
.LBB2_5606:
	s_or_b64 exec, exec, s[26:27]
	buffer_load_dword v61, off, s[0:3], s33 ; 4-byte Folded Reload
	buffer_load_dword v60, off, s[0:3], s33 offset:4 ; 4-byte Folded Reload
	buffer_load_dword v59, off, s[0:3], s33 offset:8 ; 4-byte Folded Reload
	;; [unrolled: 1-line block ×13, first 2 shown]
	v_readlane_b32 s30, v63, 32
	v_readlane_b32 s31, v63, 33
	;; [unrolled: 1-line block ×34, first 2 shown]
	s_mov_b32 s32, s33
	v_readlane_b32 s4, v63, 34
	s_or_saveexec_b64 s[6:7], -1
	buffer_load_dword v63, off, s[0:3], s33 offset:308 ; 4-byte Folded Reload
	buffer_load_dword v62, off, s[0:3], s33 offset:312 ; 4-byte Folded Reload
	s_mov_b64 exec, s[6:7]
	s_mov_b32 s33, s4
	s_waitcnt vmcnt(0) lgkmcnt(0)
	s_setpc_b64 s[30:31]
.Lfunc_end2:
	.size	_ZN12_GLOBAL__N_17runRingI14__hip_fp8_e5m28FuncProdIS1_E11ProtoSimpleILi2ELi2ELi0ELi1ELi0ELi0EELi0ELi0ELi1ELi0EEEviiP15ncclDevWorkColl, .Lfunc_end2-_ZN12_GLOBAL__N_17runRingI14__hip_fp8_e5m28FuncProdIS1_E11ProtoSimpleILi2ELi2ELi0ELi1ELi0ELi0EELi0ELi0ELi1ELi0EEEviiP15ncclDevWorkColl
                                        ; -- End function
	.set .L_ZN12_GLOBAL__N_17runRingI14__hip_fp8_e5m28FuncProdIS1_E11ProtoSimpleILi2ELi2ELi0ELi1ELi0ELi0EELi0ELi0ELi1ELi0EEEviiP15ncclDevWorkColl.num_vgpr, max(64, .L__assert_fail.num_vgpr)
	.set .L_ZN12_GLOBAL__N_17runRingI14__hip_fp8_e5m28FuncProdIS1_E11ProtoSimpleILi2ELi2ELi0ELi1ELi0ELi0EELi0ELi0ELi1ELi0EEEviiP15ncclDevWorkColl.num_agpr, max(0, .L__assert_fail.num_agpr)
	.set .L_ZN12_GLOBAL__N_17runRingI14__hip_fp8_e5m28FuncProdIS1_E11ProtoSimpleILi2ELi2ELi0ELi1ELi0ELi0EELi0ELi0ELi1ELi0EEEviiP15ncclDevWorkColl.numbered_sgpr, max(100, .L__assert_fail.numbered_sgpr)
	.set .L_ZN12_GLOBAL__N_17runRingI14__hip_fp8_e5m28FuncProdIS1_E11ProtoSimpleILi2ELi2ELi0ELi1ELi0ELi0EELi0ELi0ELi1ELi0EEEviiP15ncclDevWorkColl.num_named_barrier, max(0, .L__assert_fail.num_named_barrier)
	.set .L_ZN12_GLOBAL__N_17runRingI14__hip_fp8_e5m28FuncProdIS1_E11ProtoSimpleILi2ELi2ELi0ELi1ELi0ELi0EELi0ELi0ELi1ELi0EEEviiP15ncclDevWorkColl.private_seg_size, 320+max(.L__assert_fail.private_seg_size)
	.set .L_ZN12_GLOBAL__N_17runRingI14__hip_fp8_e5m28FuncProdIS1_E11ProtoSimpleILi2ELi2ELi0ELi1ELi0ELi0EELi0ELi0ELi1ELi0EEEviiP15ncclDevWorkColl.uses_vcc, or(1, .L__assert_fail.uses_vcc)
	.set .L_ZN12_GLOBAL__N_17runRingI14__hip_fp8_e5m28FuncProdIS1_E11ProtoSimpleILi2ELi2ELi0ELi1ELi0ELi0EELi0ELi0ELi1ELi0EEEviiP15ncclDevWorkColl.uses_flat_scratch, or(0, .L__assert_fail.uses_flat_scratch)
	.set .L_ZN12_GLOBAL__N_17runRingI14__hip_fp8_e5m28FuncProdIS1_E11ProtoSimpleILi2ELi2ELi0ELi1ELi0ELi0EELi0ELi0ELi1ELi0EEEviiP15ncclDevWorkColl.has_dyn_sized_stack, or(0, .L__assert_fail.has_dyn_sized_stack)
	.set .L_ZN12_GLOBAL__N_17runRingI14__hip_fp8_e5m28FuncProdIS1_E11ProtoSimpleILi2ELi2ELi0ELi1ELi0ELi0EELi0ELi0ELi1ELi0EEEviiP15ncclDevWorkColl.has_recursion, or(1, .L__assert_fail.has_recursion)
	.set .L_ZN12_GLOBAL__N_17runRingI14__hip_fp8_e5m28FuncProdIS1_E11ProtoSimpleILi2ELi2ELi0ELi1ELi0ELi0EELi0ELi0ELi1ELi0EEEviiP15ncclDevWorkColl.has_indirect_call, or(0, .L__assert_fail.has_indirect_call)
	.section	.AMDGPU.csdata,"",@progbits
; Function info:
; codeLenInByte = 163444
; TotalNumSgprs: 104
; NumVgprs: 64
; ScratchSize: 384
; MemoryBound: 1
	.text
	.p2align	2                               ; -- Begin function _Z51ncclDevFunc_AllReduce_RING_SIMPLE_Prod_f8e5m2_0_0_1v
	.type	_Z51ncclDevFunc_AllReduce_RING_SIMPLE_Prod_f8e5m2_0_0_1v,@function
_Z51ncclDevFunc_AllReduce_RING_SIMPLE_Prod_f8e5m2_0_0_1v: ; @_Z51ncclDevFunc_AllReduce_RING_SIMPLE_Prod_f8e5m2_0_0_1v
; %bb.0:
	s_waitcnt vmcnt(0) expcnt(0) lgkmcnt(0)
	s_mov_b32 s4, s33
	s_mov_b32 s33, s32
	s_or_saveexec_b64 s[6:7], -1
	buffer_store_dword v43, off, s[0:3], s33 offset:20 ; 4-byte Folded Spill
	buffer_store_dword v44, off, s[0:3], s33 offset:24 ; 4-byte Folded Spill
	s_mov_b64 exec, s[6:7]
	v_writelane_b32 v44, s4, 38
	v_writelane_b32 v44, s100, 36
	;; [unrolled: 1-line block ×3, first 2 shown]
	s_addk_i32 s32, 0x800
	buffer_store_dword v40, off, s[0:3], s33 offset:12 ; 4-byte Folded Spill
	buffer_store_dword v41, off, s[0:3], s33 offset:8 ; 4-byte Folded Spill
	;; [unrolled: 1-line block ×3, first 2 shown]
	buffer_store_dword v62, off, s[0:3], s33 ; 4-byte Folded Spill
	v_writelane_b32 v44, s34, 0
	v_writelane_b32 v44, s35, 1
	;; [unrolled: 1-line block ×36, first 2 shown]
	s_trap 2
	ds_read_b32 v0, v0
                                        ; implicit-def: $vgpr43 : SGPR spill to VGPR lane
	v_mov_b32_e32 v40, v31
	v_writelane_b32 v43, s12, 0
	v_writelane_b32 v43, s8, 1
	;; [unrolled: 1-line block ×3, first 2 shown]
	s_waitcnt lgkmcnt(0)
	v_cmp_gt_i32_e32 vcc, 1, v0
	s_cbranch_vccnz .LBB3_8
; %bb.1:
	s_mov_b32 s6, 0
	v_and_b32_e32 v41, 0x3ff, v40
	v_mov_b32_e32 v42, 6
	s_branch .LBB3_3
.LBB3_2:                                ;   in Loop: Header=BB3_3 Depth=1
	s_or_b64 exec, exec, s[8:9]
	s_trap 2
	ds_read_b32 v0, v0
	s_add_i32 s6, s6, 1
	s_waitcnt lgkmcnt(0)
	v_cmp_lt_i32_e32 vcc, s6, v0
	s_cbranch_vccz .LBB3_8
.LBB3_3:                                ; =>This Inner Loop Header: Depth=1
	s_trap 2
	ds_read_b32 v0, v0
	s_cmp_eq_u32 s6, 0
	s_cbranch_scc1 .LBB3_6
; %bb.4:                                ;   in Loop: Header=BB3_3 Depth=1
	s_trap 2
	s_waitcnt lgkmcnt(0)
	ds_read_b32 v1, v0
	s_waitcnt lgkmcnt(0)
	v_xor_b32_e32 v1, v1, v0
	v_and_b32_e32 v1, 0xff0000, v1
	v_cmp_eq_u32_e32 vcc, 0, v1
	s_cbranch_vccnz .LBB3_6
; %bb.5:                                ;   in Loop: Header=BB3_3 Depth=1
	s_waitcnt vmcnt(0)
	s_barrier
	ds_read_b32 v0, v0
.LBB3_6:                                ;   in Loop: Header=BB3_3 Depth=1
	s_waitcnt lgkmcnt(0)
	v_lshlrev_b32_sdwa v1, v42, v0 dst_sel:DWORD dst_unused:UNUSED_PAD src0_sel:DWORD src1_sel:BYTE_2
	v_cmp_lt_u32_e32 vcc, v41, v1
	s_and_saveexec_b64 s[8:9], vcc
	s_cbranch_execz .LBB3_2
; %bb.7:                                ;   in Loop: Header=BB3_3 Depth=1
	v_writelane_b32 v43, s6, 3
	v_writelane_b32 v43, s8, 4
	s_mov_b64 s[4:5], src_shared_base
	s_getpc_b64 s[6:7]
	s_add_u32 s6, s6, _ZN12_GLOBAL__N_17runRingI14__hip_fp8_e5m28FuncProdIS1_E11ProtoSimpleILi2ELi2ELi0ELi1ELi0ELi0EELi0ELi0ELi1ELi0EEEviiP15ncclDevWorkColl@rel32@lo+4
	s_addc_u32 s7, s7, _ZN12_GLOBAL__N_17runRingI14__hip_fp8_e5m28FuncProdIS1_E11ProtoSimpleILi2ELi2ELi0ELi1ELi0ELi0EELi0ELi0ELi1ELi0EEEviiP15ncclDevWorkColl@rel32@hi+12
	v_writelane_b32 v43, s9, 5
	s_or_saveexec_b64 s[100:101], -1
	buffer_store_dword v43, off, s[0:3], s33 offset:16 ; 4-byte Folded Spill
	s_mov_b64 exec, s[100:101]
	v_readlane_b32 s8, v43, 1
	v_readlane_b32 s9, v43, 2
	;; [unrolled: 1-line block ×3, first 2 shown]
	v_mov_b32_e32 v31, v40
	v_mov_b32_e32 v0, v41
	;; [unrolled: 1-line block ×3, first 2 shown]
	s_swappc_b64 s[30:31], s[6:7]
	s_or_saveexec_b64 s[100:101], -1
	buffer_load_dword v43, off, s[0:3], s33 offset:16 ; 4-byte Folded Reload
	s_mov_b64 exec, s[100:101]
	s_waitcnt vmcnt(0)
	v_readlane_b32 s8, v43, 4
	v_readlane_b32 s9, v43, 5
	;; [unrolled: 1-line block ×3, first 2 shown]
	s_branch .LBB3_2
.LBB3_8:
	buffer_load_dword v62, off, s[0:3], s33 ; 4-byte Folded Reload
	buffer_load_dword v42, off, s[0:3], s33 offset:4 ; 4-byte Folded Reload
	buffer_load_dword v41, off, s[0:3], s33 offset:8 ; 4-byte Folded Reload
	;; [unrolled: 1-line block ×3, first 2 shown]
	v_readlane_b32 s30, v44, 34
	v_readlane_b32 s31, v44, 35
	;; [unrolled: 1-line block ×36, first 2 shown]
	s_mov_b32 s32, s33
	v_readlane_b32 s4, v44, 38
	v_readlane_b32 s100, v44, 36
	;; [unrolled: 1-line block ×3, first 2 shown]
	s_or_saveexec_b64 s[6:7], -1
	buffer_load_dword v43, off, s[0:3], s33 offset:20 ; 4-byte Folded Reload
	buffer_load_dword v44, off, s[0:3], s33 offset:24 ; 4-byte Folded Reload
	s_mov_b64 exec, s[6:7]
	s_mov_b32 s33, s4
	s_waitcnt vmcnt(0)
	s_setpc_b64 s[30:31]
.Lfunc_end3:
	.size	_Z51ncclDevFunc_AllReduce_RING_SIMPLE_Prod_f8e5m2_0_0_1v, .Lfunc_end3-_Z51ncclDevFunc_AllReduce_RING_SIMPLE_Prod_f8e5m2_0_0_1v
                                        ; -- End function
	.set .L_Z51ncclDevFunc_AllReduce_RING_SIMPLE_Prod_f8e5m2_0_0_1v.num_vgpr, max(63, .L_ZN12_GLOBAL__N_17runRingI14__hip_fp8_e5m28FuncProdIS1_E11ProtoSimpleILi2ELi2ELi0ELi1ELi0ELi0EELi0ELi0ELi1ELi0EEEviiP15ncclDevWorkColl.num_vgpr)
	.set .L_Z51ncclDevFunc_AllReduce_RING_SIMPLE_Prod_f8e5m2_0_0_1v.num_agpr, max(0, .L_ZN12_GLOBAL__N_17runRingI14__hip_fp8_e5m28FuncProdIS1_E11ProtoSimpleILi2ELi2ELi0ELi1ELi0ELi0EELi0ELi0ELi1ELi0EEEviiP15ncclDevWorkColl.num_agpr)
	.set .L_Z51ncclDevFunc_AllReduce_RING_SIMPLE_Prod_f8e5m2_0_0_1v.numbered_sgpr, max(102, .L_ZN12_GLOBAL__N_17runRingI14__hip_fp8_e5m28FuncProdIS1_E11ProtoSimpleILi2ELi2ELi0ELi1ELi0ELi0EELi0ELi0ELi1ELi0EEEviiP15ncclDevWorkColl.numbered_sgpr)
	.set .L_Z51ncclDevFunc_AllReduce_RING_SIMPLE_Prod_f8e5m2_0_0_1v.num_named_barrier, max(0, .L_ZN12_GLOBAL__N_17runRingI14__hip_fp8_e5m28FuncProdIS1_E11ProtoSimpleILi2ELi2ELi0ELi1ELi0ELi0EELi0ELi0ELi1ELi0EEEviiP15ncclDevWorkColl.num_named_barrier)
	.set .L_Z51ncclDevFunc_AllReduce_RING_SIMPLE_Prod_f8e5m2_0_0_1v.private_seg_size, 32+max(.L_ZN12_GLOBAL__N_17runRingI14__hip_fp8_e5m28FuncProdIS1_E11ProtoSimpleILi2ELi2ELi0ELi1ELi0ELi0EELi0ELi0ELi1ELi0EEEviiP15ncclDevWorkColl.private_seg_size)
	.set .L_Z51ncclDevFunc_AllReduce_RING_SIMPLE_Prod_f8e5m2_0_0_1v.uses_vcc, or(1, .L_ZN12_GLOBAL__N_17runRingI14__hip_fp8_e5m28FuncProdIS1_E11ProtoSimpleILi2ELi2ELi0ELi1ELi0ELi0EELi0ELi0ELi1ELi0EEEviiP15ncclDevWorkColl.uses_vcc)
	.set .L_Z51ncclDevFunc_AllReduce_RING_SIMPLE_Prod_f8e5m2_0_0_1v.uses_flat_scratch, or(0, .L_ZN12_GLOBAL__N_17runRingI14__hip_fp8_e5m28FuncProdIS1_E11ProtoSimpleILi2ELi2ELi0ELi1ELi0ELi0EELi0ELi0ELi1ELi0EEEviiP15ncclDevWorkColl.uses_flat_scratch)
	.set .L_Z51ncclDevFunc_AllReduce_RING_SIMPLE_Prod_f8e5m2_0_0_1v.has_dyn_sized_stack, or(0, .L_ZN12_GLOBAL__N_17runRingI14__hip_fp8_e5m28FuncProdIS1_E11ProtoSimpleILi2ELi2ELi0ELi1ELi0ELi0EELi0ELi0ELi1ELi0EEEviiP15ncclDevWorkColl.has_dyn_sized_stack)
	.set .L_Z51ncclDevFunc_AllReduce_RING_SIMPLE_Prod_f8e5m2_0_0_1v.has_recursion, or(1, .L_ZN12_GLOBAL__N_17runRingI14__hip_fp8_e5m28FuncProdIS1_E11ProtoSimpleILi2ELi2ELi0ELi1ELi0ELi0EELi0ELi0ELi1ELi0EEEviiP15ncclDevWorkColl.has_recursion)
	.set .L_Z51ncclDevFunc_AllReduce_RING_SIMPLE_Prod_f8e5m2_0_0_1v.has_indirect_call, or(0, .L_ZN12_GLOBAL__N_17runRingI14__hip_fp8_e5m28FuncProdIS1_E11ProtoSimpleILi2ELi2ELi0ELi1ELi0ELi0EELi0ELi0ELi1ELi0EEEviiP15ncclDevWorkColl.has_indirect_call)
	.section	.AMDGPU.csdata,"",@progbits
; Function info:
; codeLenInByte = 1124
; TotalNumSgprs: 106
; NumVgprs: 64
; ScratchSize: 416
; MemoryBound: 0
	.text
	.p2align	2                               ; -- Begin function _ZN12_GLOBAL__N_17runRingI14__hip_fp8_e5m28FuncProdIS1_E11ProtoSimpleILi2ELi2ELi0ELi2ELi0ELi0EELi0ELi0ELi2ELi0EEEviiP15ncclDevWorkColl
	.type	_ZN12_GLOBAL__N_17runRingI14__hip_fp8_e5m28FuncProdIS1_E11ProtoSimpleILi2ELi2ELi0ELi2ELi0ELi0EELi0ELi0ELi2ELi0EEEviiP15ncclDevWorkColl,@function
_ZN12_GLOBAL__N_17runRingI14__hip_fp8_e5m28FuncProdIS1_E11ProtoSimpleILi2ELi2ELi0ELi2ELi0ELi0EELi0ELi0ELi2ELi0EEEviiP15ncclDevWorkColl: ; @_ZN12_GLOBAL__N_17runRingI14__hip_fp8_e5m28FuncProdIS1_E11ProtoSimpleILi2ELi2ELi0ELi2ELi0ELi0EELi0ELi0ELi2ELi0EEEviiP15ncclDevWorkColl
; %bb.0:
	s_waitcnt vmcnt(0) expcnt(0) lgkmcnt(0)
	s_mov_b32 s4, s33
	s_mov_b32 s33, s32
	s_or_saveexec_b64 s[6:7], -1
	buffer_store_dword v63, off, s[0:3], s33 offset:356 ; 4-byte Folded Spill
	buffer_store_dword v62, off, s[0:3], s33 offset:360 ; 4-byte Folded Spill
	s_mov_b64 exec, s[6:7]
	v_writelane_b32 v63, s4, 34
	s_addk_i32 s32, 0x5c00
	buffer_store_dword v40, off, s[0:3], s33 offset:52 ; 4-byte Folded Spill
	buffer_store_dword v41, off, s[0:3], s33 offset:48 ; 4-byte Folded Spill
	;; [unrolled: 1-line block ×13, first 2 shown]
	buffer_store_dword v61, off, s[0:3], s33 ; 4-byte Folded Spill
	v_writelane_b32 v63, s34, 0
	v_writelane_b32 v63, s35, 1
	;; [unrolled: 1-line block ×34, first 2 shown]
	buffer_store_dword v0, off, s[0:3], s33 offset:148 ; 4-byte Folded Spill
	s_trap 2
	flat_load_dword v5, v[2:3]
	ds_read_b32 v6, v0
	s_mov_b64 s[28:29], s[8:9]
                                        ; implicit-def: $vgpr17_vgpr18
                                        ; implicit-def: $vgpr7_vgpr8
                                        ; kill: killed $vgpr7_vgpr8
                                        ; implicit-def: $vgpr10_vgpr11
	s_waitcnt lgkmcnt(0)
	v_readfirstlane_b32 s66, v6
	s_waitcnt vmcnt(0)
	v_cmp_ne_u32_sdwa s[4:5], v6, v5 src0_sel:DWORD src1_sel:BYTE_0
	s_and_saveexec_b64 s[6:7], s[4:5]
	s_xor_b64 s[4:5], exec, s[6:7]
	s_cbranch_execz .LBB4_6
; %bb.1:
	v_not_b32_sdwa v4, v5 dst_sel:DWORD dst_unused:UNUSED_PAD src0_sel:BYTE_0
	v_cmp_ne_u32_sdwa s[6:7], v6, v5 src0_sel:DWORD src1_sel:BYTE_1
                                        ; implicit-def: $vgpr17_vgpr18
                                        ; implicit-def: $vgpr7_vgpr8
                                        ; kill: killed $vgpr7_vgpr8
                                        ; implicit-def: $vgpr10_vgpr11
	s_and_saveexec_b64 s[8:9], s[6:7]
	s_xor_b64 s[6:7], exec, s[8:9]
	s_cbranch_execz .LBB4_3
; %bb.2:
	flat_load_dwordx4 v[7:10], v[2:3] offset:72
	flat_load_dwordx2 v[11:12], v[2:3] offset:96
	v_add_u32_e32 v4, v6, v4
	v_ashrrev_i32_e32 v5, 31, v4
	s_waitcnt vmcnt(0) lgkmcnt(0)
	v_mul_lo_u32 v5, v9, v5
	v_mad_u64_u32 v[6:7], s[8:9], v9, v4, v[7:8]
	v_mul_lo_u32 v4, v10, v4
	v_lshrrev_b64 v[17:18], 12, v[11:12]
	v_mov_b32_e32 v11, v10
	v_mov_b32_e32 v10, v9
	v_add3_u32 v7, v4, v7, v5
	buffer_store_dword v6, off, s[0:3], s33 offset:296 ; 4-byte Folded Spill
	s_nop 0
	buffer_store_dword v7, off, s[0:3], s33 offset:300 ; 4-byte Folded Spill
                                        ; implicit-def: $vgpr5
                                        ; implicit-def: $vgpr4
.LBB4_3:
	s_andn2_saveexec_b64 s[6:7], s[6:7]
	s_cbranch_execz .LBB4_5
; %bb.4:
	flat_load_dwordx4 v[6:9], v[2:3] offset:72
	flat_load_dwordx4 v[10:13], v[2:3] offset:88
	v_add_u32_sdwa v0, v5, v4 dst_sel:DWORD dst_unused:UNUSED_PAD src0_sel:BYTE_1 src1_sel:DWORD
	v_ashrrev_i32_e32 v4, 31, v0
	s_waitcnt vmcnt(0) lgkmcnt(0)
	v_mul_lo_u32 v4, v8, v4
	v_mad_u64_u32 v[5:6], s[8:9], v8, v0, v[6:7]
	v_mul_lo_u32 v0, v9, v0
	v_lshrrev_b32_e32 v17, 1, v13
	v_add3_u32 v6, v0, v6, v4
	buffer_store_dword v5, off, s[0:3], s33 offset:296 ; 4-byte Folded Spill
	s_nop 0
	buffer_store_dword v6, off, s[0:3], s33 offset:300 ; 4-byte Folded Spill
.LBB4_5:
	s_or_b64 exec, exec, s[6:7]
.LBB4_6:
	s_andn2_saveexec_b64 s[4:5], s[4:5]
	s_cbranch_execz .LBB4_8
; %bb.7:
	flat_load_dwordx2 v[4:5], v[2:3] offset:96
	flat_load_dwordx2 v[10:11], v[2:3] offset:72
	s_waitcnt vmcnt(0) lgkmcnt(0)
	v_lshlrev_b64 v[17:18], 9, v[4:5]
	v_mov_b32_e32 v4, 0
	v_mov_b32_e32 v5, 0
	buffer_store_dword v4, off, s[0:3], s33 offset:296 ; 4-byte Folded Spill
	s_nop 0
	buffer_store_dword v5, off, s[0:3], s33 offset:300 ; 4-byte Folded Spill
.LBB4_8:
	s_or_b64 exec, exec, s[4:5]
	s_trap 2
	ds_read_b64 v[4:5], v0
	s_waitcnt lgkmcnt(0)
	v_cmp_ne_u32_e32 vcc, -1, v4
	v_cndmask_b32_e64 v18, 0, 1, vcc
	v_cmp_ne_u32_e32 vcc, -1, v5
	v_addc_co_u32_e64 v6, s[4:5], 0, v18, vcc
	v_lshlrev_b32_e32 v4, 1, v6
	v_cmp_le_u32_e64 s[4:5], v4, v1
	s_and_saveexec_b64 s[6:7], s[4:5]
	s_xor_b64 s[6:7], exec, s[6:7]
                                        ; implicit-def: $vgpr62 : SGPR spill to VGPR lane
	v_writelane_b32 v62, s6, 0
	v_writelane_b32 v62, s7, 1
	s_cbranch_execnz .LBB4_9
; %bb.8387:
	s_getpc_b64 s[98:99]
.Lpost_getpc6:
	s_add_u32 s98, s98, (.LBB4_8382-.Lpost_getpc6)&4294967295
	s_addc_u32 s99, s99, (.LBB4_8382-.Lpost_getpc6)>>32
	s_setpc_b64 s[98:99]
.LBB4_9:
	buffer_store_dword v10, off, s[0:3], s33 offset:304 ; 4-byte Folded Spill
	s_nop 0
	buffer_store_dword v11, off, s[0:3], s33 offset:308 ; 4-byte Folded Spill
	buffer_store_dword v12, off, s[0:3], s33 offset:312 ; 4-byte Folded Spill
	;; [unrolled: 1-line block ×3, first 2 shown]
	flat_load_dwordx4 v[10:13], v[2:3] offset:16
	s_nop 0
	flat_load_dwordx2 v[4:5], v[2:3] offset:104
	flat_load_ushort v8, v[2:3] offset:8
	flat_load_dword v7, v[2:3] offset:4
	s_trap 2
	s_load_dword s4, s[28:29], 0x0
	v_mov_b32_e32 v9, 0
	v_mov_b32_e32 v46, 4
	s_waitcnt lgkmcnt(0)
	s_cmp_lt_u32 s12, s4
	s_cselect_b32 s4, 12, 18
	s_add_u32 s4, s28, s4
	s_addc_u32 s5, s29, 0
	global_load_ushort v19, v9, s[4:5]
	ds_read_b32 v9, v0
	buffer_load_dword v0, off, s[0:3], s33 offset:148 ; 4-byte Folded Reload
	s_waitcnt lgkmcnt(0)
	v_readfirstlane_b32 s8, v9
	s_waitcnt vmcnt(0)
	v_cmp_ge_i32_e64 s[4:5], v0, v18
	s_and_saveexec_b64 s[6:7], s[4:5]
	s_cbranch_execz .LBB4_19
; %bb.10:
	buffer_load_dword v0, off, s[0:3], s33 offset:148 ; 4-byte Folded Reload
                                        ; implicit-def: $vgpr46
	s_waitcnt vmcnt(0)
	v_cmp_ge_u32_e64 s[4:5], v0, v6
	s_and_saveexec_b64 s[10:11], s[4:5]
	s_xor_b64 s[4:5], exec, s[10:11]
	s_cbranch_execz .LBB4_16
; %bb.11:
	buffer_load_dword v0, off, s[0:3], s33 offset:148 ; 4-byte Folded Reload
	v_cndmask_b32_e64 v9, 0, 1, vcc
	v_sub_u32_e32 v9, v1, v9
	s_waitcnt vmcnt(0)
	v_cmp_ge_u32_e32 vcc, v0, v9
	s_and_saveexec_b64 s[10:11], vcc
	s_xor_b64 s[10:11], exec, s[10:11]
; %bb.12:
                                        ; implicit-def: $vgpr6
; %bb.13:
	s_or_saveexec_b64 s[10:11], s[10:11]
	v_mov_b32_e32 v46, 16
	s_xor_b64 exec, exec, s[10:11]
	s_cbranch_execz .LBB4_15
; %bb.14:
	buffer_load_dword v0, off, s[0:3], s33 offset:148 ; 4-byte Folded Reload
	v_sub_u32_e32 v6, v1, v6
	s_waitcnt vmcnt(0)
	v_cmp_lt_i32_e32 vcc, v0, v6
	v_cndmask_b32_e64 v46, 32, 0, vcc
.LBB4_15:
	s_or_b64 exec, exec, s[10:11]
.LBB4_16:
	s_andn2_saveexec_b64 s[4:5], s[4:5]
; %bb.17:
	v_mov_b32_e32 v46, 8
; %bb.18:
	s_or_b64 exec, exec, s[4:5]
.LBB4_19:
	s_or_b64 exec, exec, s[6:7]
	v_and_b32_e32 v6, 36, v46
	v_cmp_ne_u32_e32 vcc, 0, v6
	v_mov_b32_e32 v6, -1
	s_and_saveexec_b64 s[4:5], vcc
	s_cbranch_execz .LBB4_21
; %bb.20:
	s_trap 2
	ds_read_b32 v6, v0
.LBB4_21:
	s_or_b64 exec, exec, s[4:5]
	v_and_b32_e32 v9, 24, v46
	v_cmp_ne_u32_e64 s[4:5], 0, v9
	s_and_saveexec_b64 s[6:7], s[4:5]
	s_cbranch_execz .LBB4_23
; %bb.22:
	s_trap 2
	s_waitcnt lgkmcnt(0)
	ds_read_b32 v6, v0
.LBB4_23:
	s_or_b64 exec, exec, s[6:7]
	v_lshrrev_b64 v[7:8], 31, v[7:8]
	v_mov_b32_e32 v8, 0
	v_mov_b32_e32 v9, 0
	buffer_store_dword v8, off, s[0:3], s33 offset:328 ; 4-byte Folded Spill
	s_nop 0
	buffer_store_dword v9, off, s[0:3], s33 offset:332 ; 4-byte Folded Spill
	v_mov_b32_e32 v8, 0
	v_mov_b32_e32 v9, 0
	buffer_store_dword v8, off, s[0:3], s33 offset:88 ; 4-byte Folded Spill
	s_nop 0
	buffer_store_dword v9, off, s[0:3], s33 offset:92 ; 4-byte Folded Spill
	buffer_store_dword v10, off, s[0:3], s33 offset:96 ; 4-byte Folded Spill
	;; [unrolled: 1-line block ×3, first 2 shown]
	v_and_b32_e32 v9, 3, v7
                                        ; implicit-def: $vgpr7_vgpr8
                                        ; kill: killed $vgpr7_vgpr8
                                        ; implicit-def: $vgpr7_vgpr8
                                        ; implicit-def: $vgpr0
                                        ; kill: killed $vgpr0
                                        ; kill: killed $vgpr7_vgpr8
                                        ; implicit-def: $vgpr7_vgpr8
                                        ; kill: killed $vgpr7_vgpr8
                                        ; implicit-def: $vgpr48_vgpr49
                                        ; implicit-def: $vgpr32_vgpr33
	s_and_saveexec_b64 s[4:5], vcc
	s_cbranch_execz .LBB4_33
; %bb.24:
	s_trap 2
	ds_read_b64 v[14:15], v0
	s_waitcnt lgkmcnt(1)
	v_ashrrev_i32_e32 v7, 31, v6
	v_lshlrev_b64 v[7:8], 3, v[6:7]
	s_movk_i32 s6, 0xa8
	s_waitcnt lgkmcnt(0)
	v_add_co_u32_e32 v7, vcc, v14, v7
	v_addc_co_u32_e32 v8, vcc, v15, v8, vcc
	flat_load_dwordx2 v[7:8], v[7:8]
	v_and_b32_e32 v14, 0xffff, v9
	s_waitcnt vmcnt(0) lgkmcnt(0)
	v_mad_u64_u32 v[7:8], s[6:7], v14, s6, v[7:8]
	flat_load_dword v14, v[7:8] offset:640
	s_waitcnt vmcnt(0) lgkmcnt(0)
	v_cmp_eq_u32_e32 vcc, 1, v14
                                        ; implicit-def: $vgpr14_vgpr15
                                        ; kill: killed $vgpr14_vgpr15
	s_and_saveexec_b64 s[6:7], vcc
	s_cbranch_execz .LBB4_26
; %bb.25:
	flat_load_dwordx2 v[20:21], v[7:8] offset:648
	v_or_b32_e32 v46, 0x2000, v46
	s_waitcnt vmcnt(0) lgkmcnt(0)
	flat_load_dwordx2 v[14:15], v[20:21]
	s_trap 2
	s_waitcnt vmcnt(0) lgkmcnt(0)
	ds_write_b64 v0, v[14:15]
	flat_load_dwordx2 v[14:15], v[20:21] offset:8
	s_waitcnt vmcnt(0) lgkmcnt(0)
	ds_write_b64 v0, v[14:15]
	buffer_store_dword v20, off, s[0:3], s33 offset:348 ; 4-byte Folded Spill
	s_nop 0
	buffer_store_dword v21, off, s[0:3], s33 offset:352 ; 4-byte Folded Spill
	flat_load_dwordx2 v[14:15], v[20:21] offset:16
	s_waitcnt vmcnt(0) lgkmcnt(0)
	ds_write_b64 v0, v[14:15]
.LBB4_26:
	s_or_b64 exec, exec, s[6:7]
	flat_load_dwordx2 v[14:15], v[7:8] offset:608
	v_and_b32_e32 v16, 32, v46
                                        ; implicit-def: $vgpr32_vgpr33
	s_waitcnt vmcnt(0) lgkmcnt(0)
	v_add_co_u32_e32 v14, vcc, 3, v14
	v_addc_co_u32_e32 v15, vcc, 0, v15, vcc
	v_and_b32_e32 v14, -4, v14
	v_cmp_ne_u32_e32 vcc, 0, v16
	buffer_store_dword v14, off, s[0:3], s33 offset:56 ; 4-byte Folded Spill
	s_nop 0
	buffer_store_dword v15, off, s[0:3], s33 offset:60 ; 4-byte Folded Spill
	s_and_saveexec_b64 s[6:7], vcc
	s_cbranch_execz .LBB4_28
; %bb.27:
	flat_load_dwordx2 v[32:33], v[7:8] offset:560
	buffer_load_dword v14, off, s[0:3], s33 offset:56 ; 4-byte Folded Reload
	buffer_load_dword v15, off, s[0:3], s33 offset:60 ; 4-byte Folded Reload
	s_waitcnt vmcnt(0) lgkmcnt(0)
	flat_store_dwordx2 v[32:33], v[14:15]
.LBB4_28:
	s_or_b64 exec, exec, s[6:7]
	v_add_co_u32_e32 v14, vcc, 0x1f8, v7
	v_addc_co_u32_e32 v15, vcc, 0, v8, vcc
	buffer_store_dword v14, off, s[0:3], s33 offset:328 ; 4-byte Folded Spill
	s_nop 0
	buffer_store_dword v15, off, s[0:3], s33 offset:332 ; 4-byte Folded Spill
	v_mov_b32_e32 v15, 0
	v_and_b32_e32 v14, 4, v46
	v_mov_b32_e32 v16, 0
	buffer_store_dword v15, off, s[0:3], s33 offset:88 ; 4-byte Folded Spill
	s_nop 0
	buffer_store_dword v16, off, s[0:3], s33 offset:92 ; 4-byte Folded Spill
	buffer_store_dword v17, off, s[0:3], s33 offset:96 ; 4-byte Folded Spill
	;; [unrolled: 1-line block ×3, first 2 shown]
	v_cmp_ne_u32_e32 vcc, 0, v14
                                        ; implicit-def: $vgpr0
                                        ; kill: killed $vgpr0
                                        ; implicit-def: $vgpr14_vgpr15
                                        ; kill: killed $vgpr14_vgpr15
                                        ; implicit-def: $vgpr48_vgpr49
	s_and_saveexec_b64 s[6:7], vcc
	s_cbranch_execz .LBB4_32
; %bb.29:
	v_and_b32_e32 v14, 0x800, v46
	v_cmp_eq_u32_e32 vcc, 0, v14
	s_and_saveexec_b64 s[10:11], vcc
	s_cbranch_execz .LBB4_31
; %bb.30:
	s_trap 2
	buffer_load_dword v14, off, s[0:3], s33 offset:328 ; 4-byte Folded Reload
	buffer_load_dword v15, off, s[0:3], s33 offset:332 ; 4-byte Folded Reload
	s_waitcnt vmcnt(0)
	ds_write_b64 v0, v[14:15]
.LBB4_31:
	s_or_b64 exec, exec, s[10:11]
	flat_load_dwordx2 v[32:33], v[7:8] offset:552
	s_waitcnt vmcnt(0) lgkmcnt(0)
	flat_load_dwordx2 v[48:49], v[32:33] glc
	flat_load_dwordx2 v[20:21], v[7:8] offset:600
	flat_load_dword v0, v[7:8] offset:576
	s_nop 0
	flat_load_dwordx2 v[7:8], v[7:8] offset:520
	s_waitcnt vmcnt(0) lgkmcnt(0)
	v_cmp_eq_u64_e32 vcc, 0, v[20:21]
	buffer_store_dword v0, off, s[0:3], s33 offset:124 ; 4-byte Folded Spill
	buffer_store_dword v7, off, s[0:3], s33 offset:80 ; 4-byte Folded Spill
	s_nop 0
	buffer_store_dword v8, off, s[0:3], s33 offset:84 ; 4-byte Folded Spill
	v_or_b32_e32 v7, 0x100, v46
	v_mov_b32_e32 v14, v20
	v_mov_b32_e32 v15, v21
	v_cndmask_b32_e32 v46, v7, v46, vcc
	buffer_store_dword v14, off, s[0:3], s33 offset:88 ; 4-byte Folded Spill
	s_nop 0
	buffer_store_dword v15, off, s[0:3], s33 offset:92 ; 4-byte Folded Spill
	buffer_store_dword v16, off, s[0:3], s33 offset:96 ; 4-byte Folded Spill
	;; [unrolled: 1-line block ×3, first 2 shown]
.LBB4_32:
	s_or_b64 exec, exec, s[6:7]
.LBB4_33:
	s_or_b64 exec, exec, s[4:5]
	v_and_b32_e32 v7, 24, v46
	v_cmp_ne_u32_e32 vcc, 0, v7
                                        ; implicit-def: $vgpr7_vgpr8
                                        ; kill: killed $vgpr7_vgpr8
	s_and_saveexec_b64 s[4:5], vcc
	s_cbranch_execz .LBB4_41
; %bb.34:
	s_trap 2
	ds_read_b64 v[14:15], v0
	s_waitcnt lgkmcnt(0)
	v_ashrrev_i32_e32 v7, 31, v6
	v_lshlrev_b64 v[6:7], 3, v[6:7]
	v_and_b32_e32 v8, 0xffff, v9
	s_movk_i32 s6, 0xa8
	v_add_co_u32_e32 v6, vcc, v14, v6
	v_addc_co_u32_e32 v7, vcc, v15, v7, vcc
	flat_load_dwordx2 v[6:7], v[6:7]
	s_waitcnt vmcnt(0) lgkmcnt(0)
	v_mad_u64_u32 v[6:7], s[6:7], v8, s6, v[6:7]
	buffer_store_dword v6, off, s[0:3], s33 offset:328 ; 4-byte Folded Spill
	s_nop 0
	buffer_store_dword v7, off, s[0:3], s33 offset:332 ; 4-byte Folded Spill
	flat_load_dwordx4 v[20:23], v[6:7] offset:96
	v_or_b32_e32 v6, 0x100, v46
	s_waitcnt vmcnt(0) lgkmcnt(0)
	buffer_store_dword v20, off, s[0:3], s33 offset:88 ; 4-byte Folded Spill
	s_nop 0
	buffer_store_dword v21, off, s[0:3], s33 offset:92 ; 4-byte Folded Spill
	buffer_store_dword v22, off, s[0:3], s33 offset:96 ; 4-byte Folded Spill
	;; [unrolled: 1-line block ×3, first 2 shown]
	v_cmp_eq_u64_e32 vcc, 0, v[20:21]
	v_cndmask_b32_e32 v46, v6, v46, vcc
	v_and_b32_e32 v6, 16, v46
	v_cmp_ne_u32_e32 vcc, 0, v6
                                        ; implicit-def: $vgpr6_vgpr7
                                        ; kill: killed $vgpr6_vgpr7
	s_and_saveexec_b64 s[6:7], vcc
	s_cbranch_execz .LBB4_36
; %bb.35:
	buffer_load_dword v6, off, s[0:3], s33 offset:328 ; 4-byte Folded Reload
	buffer_load_dword v7, off, s[0:3], s33 offset:332 ; 4-byte Folded Reload
	s_waitcnt vmcnt(0)
	flat_load_dwordx2 v[32:33], v[6:7] offset:48
	flat_load_dwordx2 v[8:9], v[6:7] offset:120
	s_waitcnt vmcnt(0) lgkmcnt(0)
	buffer_store_dword v8, off, s[0:3], s33 offset:104 ; 4-byte Folded Spill
	s_nop 0
	buffer_store_dword v9, off, s[0:3], s33 offset:108 ; 4-byte Folded Spill
	flat_load_dwordx2 v[6:7], v[6:7] offset:16
	s_waitcnt vmcnt(0) lgkmcnt(0)
	buffer_store_dword v6, off, s[0:3], s33 offset:80 ; 4-byte Folded Spill
	s_nop 0
	buffer_store_dword v7, off, s[0:3], s33 offset:84 ; 4-byte Folded Spill
.LBB4_36:
	s_or_b64 exec, exec, s[6:7]
	buffer_load_dword v6, off, s[0:3], s33 offset:88 ; 4-byte Folded Reload
	buffer_load_dword v7, off, s[0:3], s33 offset:92 ; 4-byte Folded Reload
	;; [unrolled: 1-line block ×4, first 2 shown]
	s_waitcnt vmcnt(1)
	v_add_co_u32_e32 v6, vcc, 3, v8
	s_waitcnt vmcnt(0)
	v_addc_co_u32_e32 v7, vcc, 0, v9, vcc
	v_and_b32_e32 v6, -4, v6
	buffer_store_dword v6, off, s[0:3], s33 offset:56 ; 4-byte Folded Spill
	s_nop 0
	buffer_store_dword v7, off, s[0:3], s33 offset:60 ; 4-byte Folded Spill
	v_and_b32_e32 v6, 8, v46
	v_cmp_ne_u32_e32 vcc, 0, v6
	s_and_saveexec_b64 s[6:7], vcc
	s_cbranch_execz .LBB4_40
; %bb.37:
	v_and_b32_e32 v6, 0x800, v46
	v_cmp_eq_u32_e32 vcc, 0, v6
	s_and_saveexec_b64 s[10:11], vcc
	s_cbranch_execz .LBB4_39
; %bb.38:
	s_trap 2
	buffer_load_dword v6, off, s[0:3], s33 offset:328 ; 4-byte Folded Reload
	buffer_load_dword v7, off, s[0:3], s33 offset:332 ; 4-byte Folded Reload
	s_waitcnt vmcnt(0)
	ds_write_b64 v0, v[6:7]
.LBB4_39:
	s_or_b64 exec, exec, s[10:11]
	buffer_load_dword v6, off, s[0:3], s33 offset:328 ; 4-byte Folded Reload
	buffer_load_dword v7, off, s[0:3], s33 offset:332 ; 4-byte Folded Reload
	s_waitcnt vmcnt(0)
	flat_load_dwordx2 v[32:33], v[6:7] offset:56
	s_waitcnt vmcnt(0) lgkmcnt(0)
	flat_load_dwordx2 v[48:49], v[32:33] glc
	flat_load_dword v0, v[6:7] offset:72
	s_nop 0
	flat_load_dwordx2 v[6:7], v[6:7] offset:16
	s_waitcnt vmcnt(0) lgkmcnt(0)
	buffer_store_dword v0, off, s[0:3], s33 offset:124 ; 4-byte Folded Spill
	buffer_store_dword v6, off, s[0:3], s33 offset:80 ; 4-byte Folded Spill
	s_nop 0
	buffer_store_dword v7, off, s[0:3], s33 offset:84 ; 4-byte Folded Spill
.LBB4_40:
	s_or_b64 exec, exec, s[6:7]
.LBB4_41:
	s_or_b64 exec, exec, s[4:5]
	buffer_load_dword v0, off, s[0:3], s33 offset:148 ; 4-byte Folded Reload
	s_waitcnt vmcnt(0)
	v_cmp_eq_u32_e64 s[4:5], 0, v0
	s_and_saveexec_b64 s[6:7], s[4:5]
	s_cbranch_execz .LBB4_43
; %bb.42:
	s_waitcnt lgkmcnt(0)
	flat_load_dwordx2 v[6:7], v[2:3] offset:32
	v_mov_b32_e32 v8, v12
	v_mov_b32_e32 v9, v13
	ds_write2_b64 v0, v[8:9], v[10:11] offset1:1
	s_trap 2
	s_waitcnt vmcnt(0) lgkmcnt(0)
	ds_write_b64 v0, v[6:7]
	ds_write_b64 v0, v[4:5]
.LBB4_43:
	s_or_b64 exec, exec, s[6:7]
	buffer_load_dword v5, off, s[0:3], s33 offset:304 ; 4-byte Folded Reload
	s_waitcnt lgkmcnt(0)
	buffer_load_dword v6, off, s[0:3], s33 offset:308 ; 4-byte Folded Reload
	buffer_load_dword v7, off, s[0:3], s33 offset:312 ; 4-byte Folded Reload
	;; [unrolled: 1-line block ×3, first 2 shown]
	v_mov_b32_e32 v40, 0
	v_mov_b32_e32 v41, 0
	s_waitcnt vmcnt(2)
	v_cmp_lt_i64_e32 vcc, 0, v[5:6]
	s_mov_b64 s[6:7], exec
	v_writelane_b32 v62, s6, 2
	v_writelane_b32 v62, s7, 3
	s_and_b64 s[6:7], s[6:7], vcc
	s_mov_b64 exec, s[6:7]
	s_cbranch_execnz .LBB4_44
; %bb.8389:
	s_getpc_b64 s[98:99]
.Lpost_getpc7:
	s_add_u32 s98, s98, (.LBB4_8348-.Lpost_getpc7)&4294967295
	s_addc_u32 s99, s99, (.LBB4_8348-.Lpost_getpc7)>>32
	s_setpc_b64 s[98:99]
.LBB4_44:
	flat_load_dword v2, v[2:3] offset:4
	v_mov_b32_e32 v61, 0
	buffer_load_dword v4, off, s[0:3], s33 offset:148 ; 4-byte Folded Reload
	buffer_load_dword v3, off, s[0:3], s33 offset:124 ; 4-byte Folded Reload
	v_and_b32_e32 v11, 0x3ffffe00, v17
	buffer_store_dword v31, off, s[0:3], s33 offset:340 ; 4-byte Folded Spill
	v_mov_b32_e32 v12, v61
	v_writelane_b32 v62, s28, 4
	s_ashr_i32 s67, s66, 31
	v_writelane_b32 v62, s29, 5
	v_and_b32_e32 v0, 63, v31
	v_lshrrev_b32_e32 v21, 6, v1
	v_cmp_eq_u32_e64 s[6:7], 64, v1
	v_cmp_ne_u32_e64 s[10:11], 64, v1
	v_cmp_ne_u32_sdwa s[58:59], v1, v19 src0_sel:DWORD src1_sel:WORD_0
	s_movk_i32 s9, 0x400
	s_mov_b32 s56, -1
	v_mov_b32_e32 v9, 0
	v_mov_b32_e32 v40, 0
	s_mov_b32 s57, 0xffffff
	s_movk_i32 s68, 0xffc0
	s_mov_b64 s[60:61], 0
	v_mov_b32_e32 v10, 0
	v_mov_b32_e32 v41, 0
	s_movk_i32 s69, 0x108
	s_movk_i32 s70, 0xff80
	s_movk_i32 s71, 0x7c
	s_brev_b32 s80, 1
	s_mov_b64 s[62:63], 0x7f800000
	s_movk_i32 s81, 0x80
	s_mov_b64 s[78:79], 0x47600001
	s_movk_i32 s47, 0x72
	;; [unrolled: 2-line block ×3, first 2 shown]
	s_mov_b32 s45, 0x7c0000
	s_brev_b32 s82, 62
	v_mov_b32_e32 v47, 0x7f800000
	s_waitcnt vmcnt(0)
	v_cmp_ge_i32_e32 vcc, v4, v1
	v_ashrrev_i32_e32 v3, 31, v3
	buffer_store_dword v3, off, s[0:3], s33 offset:144 ; 4-byte Folded Spill
	s_trap 2
	buffer_store_dword v19, off, s[0:3], s33 offset:344 ; 4-byte Folded Spill
	buffer_store_dword v1, off, s[0:3], s33 offset:336 ; 4-byte Folded Spill
	buffer_load_dword v7, off, s[0:3], s33 offset:104 ; 4-byte Folded Reload
	buffer_load_dword v8, off, s[0:3], s33 offset:108 ; 4-byte Folded Reload
	s_nop 0
	buffer_store_dword v11, off, s[0:3], s33 offset:240 ; 4-byte Folded Spill
	s_nop 0
	buffer_store_dword v12, off, s[0:3], s33 offset:244 ; 4-byte Folded Spill
	v_ashrrev_i32_e32 v3, 31, v4
	v_and_b32_e32 v1, 0x3fc0, v1
	s_waitcnt vmcnt(0)
	v_cmp_eq_u64_e64 s[12:13], 0, v[7:8]
	v_cmp_ne_u64_e64 s[14:15], 0, v[7:8]
	v_mad_i64_i32 v[7:8], s[16:17], v11, s66, 0
	s_add_u32 s16, s66, -1
	v_writelane_b32 v62, s16, 6
	v_cmp_eq_u32_e64 s[16:17], 0, v0
	v_lshrrev_b32_e32 v0, 26, v3
	v_lshlrev_b32_e32 v3, 12, v21
	v_lshlrev_b32_e32 v11, 11, v21
	buffer_store_dword v3, off, s[0:3], s33 offset:256 ; 4-byte Folded Spill
	v_lshlrev_b32_e32 v3, 10, v21
	buffer_store_dword v11, off, s[0:3], s33 offset:76 ; 4-byte Folded Spill
	buffer_store_dword v1, off, s[0:3], s33 offset:72 ; 4-byte Folded Spill
	v_subrev_u32_e32 v1, 64, v1
	s_addc_u32 s18, s67, -1
	v_writelane_b32 v62, s18, 7
	v_add_u32_e32 v0, v4, v0
	buffer_store_dword v3, off, s[0:3], s33 offset:68 ; 4-byte Folded Spill
	v_add_u32_e32 v11, 0xfffffc00, v3
	v_ashrrev_i32_e32 v3, 31, v1
	buffer_store_dword v1, off, s[0:3], s33 offset:128 ; 4-byte Folded Spill
	v_add_co_u32_e64 v1, s[18:19], 64, v1
	s_add_i32 s84, s66, s66
	s_not_b32 s20, s66
	v_ashrrev_i32_e32 v12, 6, v0
	v_and_b32_e32 v0, 0xffffffc0, v0
	buffer_store_dword v1, off, s[0:3], s33 offset:136 ; 4-byte Folded Spill
	buffer_store_dword v3, off, s[0:3], s33 offset:132 ; 4-byte Folded Spill
	v_addc_co_u32_e64 v1, s[18:19], 0, v3, s[18:19]
	s_cmp_gt_i32 s66, 0
	v_ashrrev_i32_e32 v13, 31, v11
	buffer_store_dword v1, off, s[0:3], s33 offset:140 ; 4-byte Folded Spill
	v_sub_u32_e32 v1, v4, v0
	v_lshlrev_b32_e32 v0, 12, v12
	v_add_co_u32_e64 v4, s[18:19], s9, v11
	s_cselect_b32 s20, s20, -1
	s_ashr_i32 s21, s8, 31
	buffer_store_dword v12, off, s[0:3], s33 offset:112 ; 4-byte Folded Spill
	buffer_store_dword v11, off, s[0:3], s33 offset:160 ; 4-byte Folded Spill
	;; [unrolled: 1-line block ×4, first 2 shown]
	v_addc_co_u32_e64 v4, s[18:19], 0, v13, s[18:19]
	v_lshl_add_u32 v0, v1, 4, v0
	v_lshlrev_b32_e32 v3, 11, v12
	s_add_i32 s85, s20, s84
	s_lshr_b32 s9, s21, 25
	v_cmp_gt_i32_e64 s[18:19], 1, v1
	v_cmp_lt_i32_e64 s[20:21], v1, v18
	buffer_store_dword v1, off, s[0:3], s33 offset:228 ; 4-byte Folded Spill
	v_cmp_le_i32_e64 s[22:23], v1, v18
	v_ashrrev_i32_e32 v1, 31, v0
	buffer_store_dword v4, off, s[0:3], s33 offset:172 ; 4-byte Folded Spill
	buffer_store_dword v1, off, s[0:3], s33 offset:264 ; 4-byte Folded Spill
	;; [unrolled: 1-line block ×3, first 2 shown]
	v_sub_u32_e32 v0, v0, v3
	s_add_i32 s8, s8, s9
	buffer_store_dword v0, off, s[0:3], s33 offset:248 ; 4-byte Folded Spill
	v_ashrrev_i32_e32 v0, 31, v0
	s_ashr_i32 s86, s85, 31
	s_ashr_i32 s87, s8, 7
	buffer_store_dword v0, off, s[0:3], s33 offset:252 ; 4-byte Folded Spill
	s_waitcnt lgkmcnt(0)
	v_and_b32_e32 v0, 1, v2
	s_cmp_gt_i32 s66, 2
	v_cmp_eq_u32_e64 s[24:25], 1, v0
	s_cselect_b64 s[72:73], -1, 0
	s_add_i32 s8, s66, 1
	s_xor_b64 s[74:75], s[24:25], -1
	s_cmp_ge_i32 s8, s66
	s_cselect_b32 s9, s66, 0
	s_sub_i32 s97, s8, s9
	s_add_i32 s96, s66, -2
	s_xor_b64 s[76:77], vcc, -1
	s_ashr_i32 s46, s97, 31
	buffer_store_dword v21, off, s[0:3], s33 offset:64 ; 4-byte Folded Spill
	buffer_store_dword v7, off, s[0:3], s33 offset:320 ; 4-byte Folded Spill
	s_nop 0
	buffer_store_dword v8, off, s[0:3], s33 offset:324 ; 4-byte Folded Spill
	s_branch .LBB4_47
.LBB4_45:                               ;   in Loop: Header=BB4_47 Depth=1
	s_or_b64 exec, exec, s[40:41]
.LBB4_46:                               ;   in Loop: Header=BB4_47 Depth=1
	s_or_b64 exec, exec, s[28:29]
	buffer_load_dword v9, off, s[0:3], s33 offset:268 ; 4-byte Folded Reload
	buffer_load_dword v10, off, s[0:3], s33 offset:272 ; 4-byte Folded Reload
	;; [unrolled: 1-line block ×8, first 2 shown]
	s_waitcnt vmcnt(0)
	v_add_co_u32_e32 v9, vcc, v9, v0
	v_addc_co_u32_e32 v10, vcc, v10, v1, vcc
	v_cmp_ge_i64_e32 vcc, v[9:10], v[5:6]
	v_mov_b32_e32 v8, v1
	v_mov_b32_e32 v7, v0
	s_or_b64 s[60:61], vcc, s[60:61]
	s_andn2_b64 exec, exec, s[60:61]
	s_cbranch_execnz .LBB4_47
; %bb.8391:
	s_getpc_b64 s[98:99]
.Lpost_getpc8:
	s_add_u32 s98, s98, (.LBB4_8347-.Lpost_getpc8)&4294967295
	s_addc_u32 s99, s99, (.LBB4_8347-.Lpost_getpc8)>>32
	s_setpc_b64 s[98:99]
.LBB4_47:                               ; =>This Loop Header: Depth=1
                                        ;     Child Loop BB4_57 Depth 2
                                        ;       Child Loop BB4_65 Depth 3
                                        ;       Child Loop BB4_89 Depth 3
	;; [unrolled: 1-line block ×9, first 2 shown]
                                        ;     Child Loop BB4_199 Depth 2
                                        ;       Child Loop BB4_205 Depth 3
                                        ;       Child Loop BB4_229 Depth 3
	;; [unrolled: 1-line block ×3, first 2 shown]
                                        ;     Child Loop BB4_271 Depth 2
                                        ;       Child Loop BB4_274 Depth 3
                                        ;         Child Loop BB4_282 Depth 4
                                        ;         Child Loop BB4_310 Depth 4
	;; [unrolled: 1-line block ×9, first 2 shown]
                                        ;       Child Loop BB4_2796 Depth 3
                                        ;         Child Loop BB4_2802 Depth 4
                                        ;         Child Loop BB4_2830 Depth 4
	;; [unrolled: 1-line block ×3, first 2 shown]
                                        ;     Child Loop BB4_2871 Depth 2
                                        ;       Child Loop BB4_2879 Depth 3
                                        ;       Child Loop BB4_2907 Depth 3
	;; [unrolled: 1-line block ×9, first 2 shown]
                                        ;         Child Loop BB4_4636 Depth 4
                                        ;       Child Loop BB4_4667 Depth 3
                                        ;       Child Loop BB4_5310 Depth 3
                                        ;         Child Loop BB4_5351 Depth 4
                                        ;       Child Loop BB4_7766 Depth 3
                                        ;       Child Loop BB4_7785 Depth 3
                                        ;     Child Loop BB4_7803 Depth 2
                                        ;       Child Loop BB4_7809 Depth 3
                                        ;       Child Loop BB4_7837 Depth 3
	;; [unrolled: 1-line block ×3, first 2 shown]
                                        ;     Child Loop BB4_7879 Depth 2
                                        ;       Child Loop BB4_7882 Depth 3
                                        ;         Child Loop BB4_7890 Depth 4
                                        ;         Child Loop BB4_7918 Depth 4
	;; [unrolled: 1-line block ×9, first 2 shown]
                                        ;           Child Loop BB4_7972 Depth 5
                                        ;         Child Loop BB4_7981 Depth 4
                                        ;         Child Loop BB4_7986 Depth 4
                                        ;           Child Loop BB4_7987 Depth 5
                                        ;         Child Loop BB4_8025 Depth 4
                                        ;         Child Loop BB4_8044 Depth 4
                                        ;       Child Loop BB4_8062 Depth 3
                                        ;         Child Loop BB4_8068 Depth 4
                                        ;         Child Loop BB4_8096 Depth 4
	;; [unrolled: 1-line block ×3, first 2 shown]
                                        ;     Child Loop BB4_8141 Depth 2
                                        ;       Child Loop BB4_8149 Depth 3
                                        ;       Child Loop BB4_8173 Depth 3
	;; [unrolled: 1-line block ×9, first 2 shown]
                                        ;     Child Loop BB4_8281 Depth 2
                                        ;       Child Loop BB4_8287 Depth 3
                                        ;       Child Loop BB4_8311 Depth 3
	;; [unrolled: 1-line block ×3, first 2 shown]
	buffer_store_dword v9, off, s[0:3], s33 offset:268 ; 4-byte Folded Spill
	s_nop 0
	buffer_store_dword v10, off, s[0:3], s33 offset:272 ; 4-byte Folded Spill
	v_sub_co_u32_e32 v0, vcc, v5, v9
	v_subb_co_u32_e32 v1, vcc, v6, v10, vcc
	buffer_store_dword v0, off, s[0:3], s33 offset:232 ; 4-byte Folded Spill
	s_nop 0
	buffer_store_dword v1, off, s[0:3], s33 offset:236 ; 4-byte Folded Spill
	v_cmp_lt_i64_e32 vcc, v[0:1], v[7:8]
	s_and_saveexec_b64 s[28:29], vcc
	s_cbranch_execz .LBB4_53
; %bb.48:                               ;   in Loop: Header=BB4_47 Depth=1
	buffer_load_dword v2, off, s[0:3], s33 offset:232 ; 4-byte Folded Reload
	buffer_load_dword v3, off, s[0:3], s33 offset:236 ; 4-byte Folded Reload
	v_readlane_b32 s8, v62, 7
	v_mov_b32_e32 v0, s8
	v_readlane_b32 s8, v62, 6
	s_waitcnt vmcnt(0)
	v_add_co_u32_e32 v2, vcc, s8, v2
	s_waitcnt vmcnt(0)
	v_addc_co_u32_e32 v3, vcc, v0, v3, vcc
	v_or_b32_e32 v1, s67, v3
	v_mov_b32_e32 v0, v61
	v_cmp_ne_u64_e32 vcc, 0, v[0:1]
                                        ; implicit-def: $vgpr0_vgpr1
	s_and_saveexec_b64 s[8:9], vcc
	s_xor_b64 s[40:41], exec, s[8:9]
	s_cbranch_execz .LBB4_50
; %bb.49:                               ;   in Loop: Header=BB4_47 Depth=1
	s_ashr_i32 s42, s67, 31
	s_add_u32 s8, s66, s42
	s_mov_b32 s43, s42
	s_addc_u32 s9, s67, s42
	s_xor_b64 s[90:91], s[8:9], s[42:43]
	v_cvt_f32_u32_e32 v0, s90
	v_cvt_f32_u32_e32 v1, s91
	s_sub_u32 s26, 0, s90
	s_subb_u32 s27, 0, s91
	v_ashrrev_i32_e32 v4, 31, v3
	v_mac_f32_e32 v0, 0x4f800000, v1
	v_rcp_f32_e32 v0, v0
	v_mul_f32_e32 v0, 0x5f7ffffc, v0
	v_mul_f32_e32 v1, 0x2f800000, v0
	v_trunc_f32_e32 v1, v1
	v_mac_f32_e32 v0, 0xcf800000, v1
	v_cvt_u32_f32_e32 v1, v1
	v_cvt_u32_f32_e32 v0, v0
	v_readfirstlane_b32 s43, v1
	v_readfirstlane_b32 s8, v0
	s_mul_i32 s9, s26, s43
	s_mul_hi_u32 s93, s26, s8
	s_mul_i32 s92, s27, s8
	s_add_i32 s9, s93, s9
	s_add_i32 s9, s9, s92
	s_mul_i32 s94, s26, s8
	s_mul_i32 s93, s8, s9
	s_mul_hi_u32 s95, s8, s94
	s_mul_hi_u32 s92, s8, s9
	s_add_u32 s93, s95, s93
	s_addc_u32 s92, 0, s92
	s_mul_hi_u32 vcc_lo, s43, s94
	s_mul_i32 s94, s43, s94
	s_add_u32 s93, s93, s94
	s_mul_hi_u32 s95, s43, s9
	s_addc_u32 s92, s92, vcc_lo
	s_addc_u32 s93, s95, 0
	s_mul_i32 s9, s43, s9
	s_add_u32 s9, s92, s9
	s_addc_u32 s92, 0, s93
	s_add_u32 s93, s8, s9
	s_cselect_b64 s[8:9], -1, 0
	s_cmp_lg_u64 s[8:9], 0
	s_addc_u32 s43, s43, s92
	s_mul_i32 s8, s26, s43
	s_mul_hi_u32 s9, s26, s93
	s_add_i32 s8, s9, s8
	s_mul_i32 s27, s27, s93
	s_add_i32 s8, s8, s27
	s_mul_i32 s26, s26, s93
	s_mul_hi_u32 s27, s43, s26
	s_mul_i32 s92, s43, s26
	s_mul_i32 s95, s93, s8
	s_mul_hi_u32 s26, s93, s26
	s_mul_hi_u32 s94, s93, s8
	s_add_u32 s26, s26, s95
	s_addc_u32 s94, 0, s94
	s_add_u32 s26, s26, s92
	s_mul_hi_u32 s9, s43, s8
	s_addc_u32 s26, s94, s27
	s_addc_u32 s9, s9, 0
	s_mul_i32 s8, s43, s8
	s_add_u32 s8, s26, s8
	s_addc_u32 s26, 0, s9
	s_add_u32 s27, s93, s8
	s_cselect_b64 s[8:9], -1, 0
	s_cmp_lg_u64 s[8:9], 0
	v_add_co_u32_e32 v0, vcc, v2, v4
	s_addc_u32 s26, s43, s26
	v_xor_b32_e32 v5, v0, v4
	v_addc_co_u32_e32 v2, vcc, v3, v4, vcc
	v_mad_u64_u32 v[0:1], s[8:9], v5, s26, 0
	v_mul_hi_u32 v3, v5, s27
	v_xor_b32_e32 v6, v2, v4
	v_add_co_u32_e32 v7, vcc, v3, v0
	v_addc_co_u32_e32 v8, vcc, 0, v1, vcc
	v_mad_u64_u32 v[0:1], s[8:9], v6, s27, 0
	v_mad_u64_u32 v[2:3], s[8:9], v6, s26, 0
	v_add_co_u32_e32 v0, vcc, v7, v0
	v_addc_co_u32_e32 v0, vcc, v8, v1, vcc
	v_addc_co_u32_e32 v1, vcc, 0, v3, vcc
	v_add_co_u32_e32 v2, vcc, v0, v2
	v_addc_co_u32_e32 v3, vcc, 0, v1, vcc
	v_mul_lo_u32 v7, s91, v2
	v_mul_lo_u32 v8, s90, v3
	v_mad_u64_u32 v[0:1], s[8:9], s90, v2, 0
	v_add3_u32 v1, v1, v8, v7
	v_sub_u32_e32 v7, v6, v1
	v_mov_b32_e32 v8, s91
	v_sub_co_u32_e32 v0, vcc, v5, v0
	v_subb_co_u32_e64 v5, s[26:27], v7, v8, vcc
	v_subrev_co_u32_e64 v7, s[26:27], s90, v0
	v_subbrev_co_u32_e64 v5, s[26:27], 0, v5, s[26:27]
	v_cmp_le_u32_e64 s[26:27], s91, v5
	v_cndmask_b32_e64 v8, 0, -1, s[26:27]
	v_cmp_le_u32_e64 s[26:27], s90, v7
	v_cndmask_b32_e64 v7, 0, -1, s[26:27]
	v_cmp_eq_u32_e64 s[26:27], s91, v5
	v_cndmask_b32_e64 v5, v8, v7, s[26:27]
	v_add_co_u32_e64 v7, s[26:27], 2, v2
	v_subb_co_u32_e32 v1, vcc, v6, v1, vcc
	v_addc_co_u32_e64 v8, s[26:27], 0, v3, s[26:27]
	v_cmp_le_u32_e32 vcc, s91, v1
	v_add_co_u32_e64 v9, s[26:27], 1, v2
	v_cndmask_b32_e64 v6, 0, -1, vcc
	v_cmp_le_u32_e32 vcc, s90, v0
	v_addc_co_u32_e64 v10, s[26:27], 0, v3, s[26:27]
	v_cndmask_b32_e64 v0, 0, -1, vcc
	v_cmp_eq_u32_e32 vcc, s91, v1
	v_cmp_ne_u32_e64 s[26:27], 0, v5
	v_cndmask_b32_e32 v0, v6, v0, vcc
	v_cndmask_b32_e64 v5, v10, v8, s[26:27]
	v_cmp_ne_u32_e32 vcc, 0, v0
	v_cndmask_b32_e64 v1, v9, v7, s[26:27]
	v_cndmask_b32_e32 v0, v3, v5, vcc
	v_cndmask_b32_e32 v1, v2, v1, vcc
	v_xor_b32_e32 v2, s42, v4
	v_xor_b32_e32 v3, v0, v2
	;; [unrolled: 1-line block ×3, first 2 shown]
	v_sub_co_u32_e32 v0, vcc, v0, v2
	v_subb_co_u32_e32 v1, vcc, v3, v2, vcc
                                        ; implicit-def: $vgpr2
.LBB4_50:                               ;   in Loop: Header=BB4_47 Depth=1
	s_andn2_saveexec_b64 s[40:41], s[40:41]
	s_cbranch_execz .LBB4_52
; %bb.51:                               ;   in Loop: Header=BB4_47 Depth=1
	v_cvt_f32_u32_e32 v0, s66
	s_sub_i32 s8, 0, s66
	v_rcp_iflag_f32_e32 v0, v0
	v_mul_f32_e32 v0, 0x4f7ffffe, v0
	v_cvt_u32_f32_e32 v0, v0
	v_mul_lo_u32 v1, s8, v0
	v_mul_hi_u32 v1, v0, v1
	v_add_u32_e32 v0, v0, v1
	v_mul_hi_u32 v0, v2, v0
	v_mul_lo_u32 v1, v0, s66
	v_sub_u32_e32 v1, v2, v1
	v_cmp_le_u32_e32 vcc, s66, v1
	v_subrev_u32_e32 v2, s66, v1
	v_cndmask_b32_e32 v1, v1, v2, vcc
	v_cmp_le_u32_e64 s[26:27], s66, v1
	v_add_u32_e32 v1, 1, v0
	v_cndmask_b32_e32 v0, v0, v1, vcc
	v_add_u32_e32 v1, 1, v0
	v_cndmask_b32_e64 v0, v0, v1, s[26:27]
	v_mov_b32_e32 v1, v61
.LBB4_52:                               ;   in Loop: Header=BB4_47 Depth=1
	s_or_b64 exec, exec, s[40:41]
	v_add_co_u32_e32 v0, vcc, 15, v0
	v_addc_co_u32_e32 v1, vcc, 0, v1, vcc
	v_and_b32_e32 v0, -16, v0
	buffer_store_dword v0, off, s[0:3], s33 offset:240 ; 4-byte Folded Spill
	s_nop 0
	buffer_store_dword v1, off, s[0:3], s33 offset:244 ; 4-byte Folded Spill
.LBB4_53:                               ;   in Loop: Header=BB4_47 Depth=1
	s_or_b64 exec, exec, s[28:29]
	buffer_load_dword v4, off, s[0:3], s33 offset:240 ; 4-byte Folded Reload
	buffer_load_dword v5, off, s[0:3], s33 offset:244 ; 4-byte Folded Reload
	v_mov_b32_e32 v13, 0
	s_waitcnt vmcnt(0)
	v_mul_lo_u32 v1, v4, s86
	s_waitcnt vmcnt(0)
	v_mul_lo_u32 v0, v5, s85
	v_mad_u64_u32 v[8:9], s[8:9], v4, s85, 0
	v_add3_u32 v9, v9, v1, v0
	buffer_load_dword v0, off, s[0:3], s33 offset:296 ; 4-byte Folded Reload
	buffer_load_dword v1, off, s[0:3], s33 offset:300 ; 4-byte Folded Reload
	;; [unrolled: 1-line block ×4, first 2 shown]
	s_waitcnt vmcnt(0)
	v_add_co_u32_e32 v0, vcc, v2, v0
	buffer_store_dword v0, off, s[0:3], s33 offset:176 ; 4-byte Folded Spill
	s_waitcnt vmcnt(1)
	v_addc_co_u32_e32 v0, vcc, v3, v1, vcc
	buffer_store_dword v0, off, s[0:3], s33 offset:180 ; 4-byte Folded Spill
	buffer_load_dword v0, off, s[0:3], s33 offset:232 ; 4-byte Folded Reload
	s_nop 0
	buffer_load_dword v1, off, s[0:3], s33 offset:236 ; 4-byte Folded Reload
	s_waitcnt vmcnt(0)
	v_sub_co_u32_e32 v0, vcc, v0, v8
	s_waitcnt vmcnt(0)
	v_subb_co_u32_e32 v1, vcc, v1, v9, vcc
	v_cmp_lt_i64_e32 vcc, v[4:5], v[0:1]
	v_cndmask_b32_e32 v1, v0, v4, vcc
	v_max_i32_e32 v12, 0, v1
	v_add_u32_e32 v2, 31, v12
	v_lshrrev_b32_e32 v2, 1, v2
	v_and_b32_e32 v2, 0x3ffffff0, v2
	v_cmp_lt_i32_e32 vcc, 0, v1
	v_mov_b32_e32 v0, 0
	v_max_i32_e32 v4, s87, v2
	s_and_b64 s[8:9], s[76:77], vcc
	s_and_saveexec_b64 s[28:29], s[8:9]
	s_cbranch_execz .LBB4_195
; %bb.54:                               ;   in Loop: Header=BB4_47 Depth=1
	s_mov_b32 s8, 1
	s_mov_b64 s[42:43], -1
	v_mov_b32_e32 v13, 0
	s_mov_b64 s[40:41], 0
	s_branch .LBB4_57
.LBB4_55:                               ;   in Loop: Header=BB4_57 Depth=2
	s_or_b64 exec, exec, s[90:91]
	buffer_load_dword v0, off, s[0:3], s33 offset:56 ; 4-byte Folded Reload
	buffer_load_dword v1, off, s[0:3], s33 offset:60 ; 4-byte Folded Reload
	s_waitcnt vmcnt(0)
	v_add_co_u32_e32 v0, vcc, 2, v0
	v_addc_co_u32_e32 v1, vcc, 0, v1, vcc
	buffer_store_dword v0, off, s[0:3], s33 offset:56 ; 4-byte Folded Spill
	s_nop 0
	buffer_store_dword v1, off, s[0:3], s33 offset:60 ; 4-byte Folded Spill
	flat_store_dwordx2 v[32:33], v[0:1]
.LBB4_56:                               ;   in Loop: Header=BB4_57 Depth=2
	s_or_b64 exec, exec, s[26:27]
	v_add_u32_e32 v13, v4, v13
	v_cmp_ge_i32_e32 vcc, v13, v12
	s_xor_b64 s[26:27], s[42:43], -1
	s_or_b64 s[26:27], s[26:27], vcc
	s_and_b64 s[26:27], exec, s[26:27]
	s_or_b64 s[40:41], s[26:27], s[40:41]
	s_mov_b64 s[42:43], 0
	v_mov_b32_e32 v0, s8
	s_mov_b32 s8, 2
	s_andn2_b64 exec, exec, s[40:41]
	s_cbranch_execz .LBB4_194
.LBB4_57:                               ;   Parent Loop BB4_47 Depth=1
                                        ; =>  This Loop Header: Depth=2
                                        ;       Child Loop BB4_65 Depth 3
                                        ;       Child Loop BB4_89 Depth 3
	;; [unrolled: 1-line block ×9, first 2 shown]
	s_and_saveexec_b64 s[26:27], s[4:5]
	s_cbranch_execz .LBB4_59
; %bb.58:                               ;   in Loop: Header=BB4_57 Depth=2
	s_trap 2
	buffer_load_dword v2, off, s[0:3], s33 offset:176 ; 4-byte Folded Reload
	ds_read_b64 v[0:1], v0
	s_waitcnt vmcnt(0) lgkmcnt(0)
	v_add_co_u32_e32 v0, vcc, v0, v2
	buffer_load_dword v2, off, s[0:3], s33 offset:180 ; 4-byte Folded Reload
	s_waitcnt vmcnt(0)
	v_addc_co_u32_e32 v1, vcc, v1, v2, vcc
	v_add_co_u32_e32 v0, vcc, v0, v8
	v_addc_co_u32_e32 v1, vcc, v1, v9, vcc
	v_ashrrev_i32_e32 v2, 31, v13
	v_add_co_u32_e32 v0, vcc, v0, v13
	v_addc_co_u32_e32 v1, vcc, v1, v2, vcc
	ds_write_b64 v0, v[0:1]
	v_mov_b32_e32 v0, v61
	v_mov_b32_e32 v1, v61
	ds_write_b64 v0, v[0:1]
.LBB4_59:                               ;   in Loop: Header=BB4_57 Depth=2
	s_or_b64 exec, exec, s[26:27]
	v_sub_u32_e32 v0, v12, v13
	v_min_i32_e32 v4, v4, v0
	v_and_b32_e32 v0, 8, v46
	v_cmp_ne_u32_e32 vcc, 0, v0
	s_and_saveexec_b64 s[90:91], vcc
	s_cbranch_execz .LBB4_81
; %bb.60:                               ;   in Loop: Header=BB4_57 Depth=2
	buffer_load_dword v0, off, s[0:3], s33 offset:56 ; 4-byte Folded Reload
	buffer_load_dword v1, off, s[0:3], s33 offset:60 ; 4-byte Folded Reload
	s_waitcnt lgkmcnt(0)
	v_add_co_u32_e32 v2, vcc, 8, v48
	v_addc_co_u32_e32 v3, vcc, 0, v49, vcc
	s_waitcnt vmcnt(0)
	v_add_co_u32_e32 v0, vcc, 2, v0
	s_waitcnt vmcnt(0)
	v_addc_co_u32_e32 v1, vcc, 0, v1, vcc
	v_cmp_lt_u64_e32 vcc, v[2:3], v[0:1]
	s_and_saveexec_b64 s[92:93], vcc
	s_cbranch_execz .LBB4_72
; %bb.61:                               ;   in Loop: Header=BB4_57 Depth=2
	v_and_b32_e32 v2, 64, v46
	s_mov_b32 s9, 0
	v_cmp_eq_u32_e32 vcc, 0, v2
	s_mov_b64 s[94:95], 0
                                        ; implicit-def: $sgpr30_sgpr31
                                        ; implicit-def: $sgpr34_sgpr35
                                        ; implicit-def: $sgpr36_sgpr37
	s_branch .LBB4_65
.LBB4_62:                               ;   in Loop: Header=BB4_65 Depth=3
	s_waitcnt vmcnt(0) lgkmcnt(0)
	v_add_co_u32_e64 v5, s[26:27], 8, v48
	v_addc_co_u32_e64 v6, s[26:27], 0, v49, s[26:27]
	v_cmp_ge_u64_e64 s[26:27], v[5:6], v[0:1]
	s_or_b64 s[50:51], s[50:51], exec
	s_orn2_b64 s[48:49], s[26:27], exec
.LBB4_63:                               ;   in Loop: Header=BB4_65 Depth=3
	s_or_b64 exec, exec, s[54:55]
	s_andn2_b64 s[26:27], s[36:37], exec
	s_and_b64 s[36:37], s[50:51], exec
	s_or_b64 s[36:37], s[26:27], s[36:37]
	s_andn2_b64 s[26:27], s[34:35], exec
	s_and_b64 s[34:35], s[48:49], exec
	s_or_b64 s[34:35], s[26:27], s[34:35]
.LBB4_64:                               ;   in Loop: Header=BB4_65 Depth=3
	s_or_b64 exec, exec, s[38:39]
	s_and_b64 s[26:27], exec, s[34:35]
	s_or_b64 s[94:95], s[26:27], s[94:95]
	s_andn2_b64 s[26:27], s[30:31], exec
	s_and_b64 s[30:31], s[36:37], exec
	s_or_b64 s[30:31], s[26:27], s[30:31]
	s_andn2_b64 exec, exec, s[94:95]
	s_cbranch_execz .LBB4_69
.LBB4_65:                               ;   Parent Loop BB4_47 Depth=1
                                        ;     Parent Loop BB4_57 Depth=2
                                        ; =>    This Inner Loop Header: Depth=3
	s_sleep 1
	s_waitcnt vmcnt(0) lgkmcnt(0)
	flat_load_dwordx2 v[48:49], v[32:33] glc
	s_or_b64 s[36:37], s[36:37], exec
	s_or_b64 s[34:35], s[34:35], exec
                                        ; implicit-def: $vgpr2
	s_and_saveexec_b64 s[38:39], vcc
	s_cbranch_execz .LBB4_64
; %bb.66:                               ;   in Loop: Header=BB4_65 Depth=3
	s_cmpk_lt_i32 s9, 0x270f
	s_cselect_b64 s[52:53], -1, 0
	s_cmpk_gt_i32 s9, 0x270e
	s_mov_b64 s[48:49], -1
	s_cbranch_scc0 .LBB4_68
; %bb.67:                               ;   in Loop: Header=BB4_65 Depth=3
	s_trap 2
	ds_read_b64 v[2:3], v0
	s_andn2_b64 s[52:53], s[52:53], exec
	s_mov_b32 s9, 0
	s_mov_b64 s[50:51], 0
	s_waitcnt vmcnt(0) lgkmcnt(0)
	flat_load_dword v2, v[2:3] glc
	s_waitcnt vmcnt(0) lgkmcnt(0)
	buffer_wbinvl1_vol
	v_cmp_eq_u32_e64 s[26:27], 0, v2
	s_and_b64 s[26:27], s[26:27], exec
	s_or_b64 s[52:53], s[52:53], s[26:27]
	s_and_saveexec_b64 s[54:55], s[52:53]
	s_cbranch_execz .LBB4_63
	s_branch .LBB4_62
.LBB4_68:                               ;   in Loop: Header=BB4_65 Depth=3
	s_add_i32 s9, s9, 1
	s_mov_b64 s[50:51], -1
                                        ; implicit-def: $vgpr2
	s_and_saveexec_b64 s[54:55], s[52:53]
	s_cbranch_execz .LBB4_63
	s_branch .LBB4_62
.LBB4_69:                               ;   in Loop: Header=BB4_57 Depth=2
	s_or_b64 exec, exec, s[94:95]
	s_xor_b64 s[26:27], s[30:31], -1
	s_and_saveexec_b64 s[94:95], s[26:27]
	s_xor_b64 s[26:27], exec, s[94:95]
	s_cbranch_execz .LBB4_71
; %bb.70:                               ;   in Loop: Header=BB4_57 Depth=2
	v_or_b32_e32 v46, 64, v46
	s_waitcnt lgkmcnt(0)
	ds_write_b32 v0, v2
	s_trap 2
.LBB4_71:                               ;   in Loop: Header=BB4_57 Depth=2
	s_or_b64 exec, exec, s[26:27]
.LBB4_72:                               ;   in Loop: Header=BB4_57 Depth=2
	s_or_b64 exec, exec, s[92:93]
	v_and_b32_e32 v2, 0x100, v46
	;;#ASMSTART
	s_wakeup
	;;#ASMEND
	v_cmp_ne_u32_e32 vcc, 0, v2
	buffer_load_dword v2, off, s[0:3], s33 offset:56 ; 4-byte Folded Reload
	buffer_load_dword v3, off, s[0:3], s33 offset:60 ; 4-byte Folded Reload
	s_mov_b64 s[26:27], -1
	s_waitcnt vmcnt(0)
	v_and_b32_e32 v10, 7, v2
                                        ; implicit-def: $vgpr2_vgpr3
	s_and_saveexec_b64 s[92:93], vcc
	s_cbranch_execz .LBB4_76
; %bb.73:                               ;   in Loop: Header=BB4_57 Depth=2
	buffer_load_dword v14, off, s[0:3], s33 offset:88 ; 4-byte Folded Reload
	buffer_load_dword v15, off, s[0:3], s33 offset:92 ; 4-byte Folded Reload
	buffer_load_dword v16, off, s[0:3], s33 offset:96 ; 4-byte Folded Reload
	buffer_load_dword v17, off, s[0:3], s33 offset:100 ; 4-byte Folded Reload
	v_ashrrev_i32_e32 v5, 31, v4
	s_waitcnt vmcnt(0)
	v_mad_u64_u32 v[6:7], s[26:27], v10, 24, v[14:15]
	flat_load_dword v2, v[6:7]
	s_nop 0
	flat_store_dwordx2 v[6:7], v[4:5] offset:8
	s_waitcnt vmcnt(0) lgkmcnt(0)
	v_cmp_ne_u32_e32 vcc, 1, v2
	v_cmp_eq_u32_e64 s[26:27], 1, v2
                                        ; implicit-def: $vgpr2_vgpr3
	s_and_saveexec_b64 s[94:95], s[26:27]
	s_cbranch_execz .LBB4_75
; %bb.74:                               ;   in Loop: Header=BB4_57 Depth=2
	flat_load_dword v2, v[6:7] offset:4 glc
	s_waitcnt vmcnt(0) lgkmcnt(0)
	v_ashrrev_i32_e32 v3, 31, v2
.LBB4_75:                               ;   in Loop: Header=BB4_57 Depth=2
	s_or_b64 exec, exec, s[94:95]
	s_orn2_b64 s[26:27], vcc, exec
.LBB4_76:                               ;   in Loop: Header=BB4_57 Depth=2
	s_or_b64 exec, exec, s[92:93]
	s_and_saveexec_b64 s[92:93], s[26:27]
	s_cbranch_execz .LBB4_78
; %bb.77:                               ;   in Loop: Header=BB4_57 Depth=2
	buffer_load_dword v2, off, s[0:3], s33 offset:124 ; 4-byte Folded Reload
	s_waitcnt vmcnt(0)
	v_mad_i64_i32 v[2:3], s[26:27], v10, v2, 0
.LBB4_78:                               ;   in Loop: Header=BB4_57 Depth=2
	s_or_b64 exec, exec, s[92:93]
	buffer_load_dword v5, off, s[0:3], s33 offset:80 ; 4-byte Folded Reload
	buffer_load_dword v6, off, s[0:3], s33 offset:84 ; 4-byte Folded Reload
	s_waitcnt vmcnt(0)
	v_add_co_u32_e32 v2, vcc, v5, v2
	v_addc_co_u32_e32 v3, vcc, v6, v3, vcc
	ds_write_b64 v0, v[2:3] offset:784
	v_and_b32_e32 v2, 0x2000, v46
	v_cmp_ne_u32_e32 vcc, 0, v2
	s_and_saveexec_b64 s[26:27], vcc
	s_cbranch_execz .LBB4_80
; %bb.79:                               ;   in Loop: Header=BB4_57 Depth=2
	ds_read_b64 v[2:3], v0 offset:872
	s_waitcnt lgkmcnt(0)
	v_add_co_u32_e32 v2, vcc, 1, v2
	v_addc_co_u32_e32 v3, vcc, 0, v3, vcc
	ds_write_b64 v0, v[2:3] offset:872
.LBB4_80:                               ;   in Loop: Header=BB4_57 Depth=2
	s_or_b64 exec, exec, s[26:27]
	buffer_store_dword v0, off, s[0:3], s33 offset:56 ; 4-byte Folded Spill
	s_nop 0
	buffer_store_dword v1, off, s[0:3], s33 offset:60 ; 4-byte Folded Spill
.LBB4_81:                               ;   in Loop: Header=BB4_57 Depth=2
	s_or_b64 exec, exec, s[90:91]
	s_and_saveexec_b64 s[26:27], s[10:11]
	s_cbranch_execz .LBB4_100
; %bb.82:                               ;   in Loop: Header=BB4_57 Depth=2
	s_and_saveexec_b64 s[90:91], s[58:59]
	s_xor_b64 s[90:91], exec, s[90:91]
	s_cbranch_execz .LBB4_97
; %bb.83:                               ;   in Loop: Header=BB4_57 Depth=2
	s_and_saveexec_b64 s[92:93], s[16:17]
	s_cbranch_execz .LBB4_96
; %bb.84:                               ;   in Loop: Header=BB4_57 Depth=2
	s_mov_b64 s[30:31], exec
	v_mbcnt_lo_u32_b32 v0, s30, 0
	v_mbcnt_hi_u32_b32 v0, s31, v0
	v_cmp_eq_u32_e32 vcc, 0, v0
	s_waitcnt vmcnt(0) lgkmcnt(0)
	buffer_wbinvl1_vol
	s_and_saveexec_b64 s[94:95], vcc
	s_cbranch_execz .LBB4_86
; %bb.85:                               ;   in Loop: Header=BB4_57 Depth=2
	s_bcnt1_i32_b64 s9, s[30:31]
	v_mov_b32_e32 v0, s9
	v_mov_b32_e32 v1, v61
	ds_add_u64 v0, v[0:1]
	s_trap 2
.LBB4_86:                               ;   in Loop: Header=BB4_57 Depth=2
	s_or_b64 exec, exec, s[94:95]
	s_trap 2
	ds_read_b64 v[0:1], v0
	s_waitcnt lgkmcnt(0)
	v_add_co_u32_e32 v40, vcc, v40, v21
	v_addc_co_u32_e32 v41, vcc, 0, v41, vcc
	v_cmp_lt_u64_e32 vcc, v[0:1], v[40:41]
	s_and_saveexec_b64 s[94:95], vcc
	s_cbranch_execz .LBB4_95
; %bb.87:                               ;   in Loop: Header=BB4_57 Depth=2
	s_mov_b32 s9, 0
	s_mov_b64 s[30:31], 0
                                        ; implicit-def: $sgpr34_sgpr35
                                        ; implicit-def: $sgpr36_sgpr37
	s_branch .LBB4_89
.LBB4_88:                               ;   in Loop: Header=BB4_89 Depth=3
	s_or_b64 exec, exec, s[48:49]
	s_and_b64 vcc, exec, vcc
	s_or_b64 s[30:31], vcc, s[30:31]
	s_andn2_b64 vcc, s[34:35], exec
	s_and_b64 s[34:35], s[36:37], exec
	s_or_b64 s[34:35], vcc, s[34:35]
	s_andn2_b64 exec, exec, s[30:31]
	s_cbranch_execz .LBB4_93
.LBB4_89:                               ;   Parent Loop BB4_47 Depth=1
                                        ;     Parent Loop BB4_57 Depth=2
                                        ; =>    This Inner Loop Header: Depth=3
	s_add_i32 s9, s9, 1
	s_cmpk_lg_i32 s9, 0x2710
	s_cselect_b64 s[38:39], -1, 0
	s_and_b64 vcc, exec, s[38:39]
	s_cbranch_vccz .LBB4_91
; %bb.90:                               ;   in Loop: Header=BB4_89 Depth=3
	s_mov_b64 vcc, -1
	s_or_b64 s[36:37], s[36:37], exec
	s_and_saveexec_b64 s[48:49], s[38:39]
	s_cbranch_execz .LBB4_88
	s_branch .LBB4_92
.LBB4_91:                               ;   in Loop: Header=BB4_89 Depth=3
	s_trap 2
	ds_read_b64 v[0:1], v0
	s_andn2_b64 s[38:39], s[38:39], exec
	s_mov_b32 s9, 0
	s_waitcnt lgkmcnt(0)
	flat_load_dword v0, v[0:1] glc
	s_waitcnt vmcnt(0) lgkmcnt(0)
	buffer_wbinvl1_vol
	v_cmp_eq_u32_e32 vcc, 0, v0
	s_and_b64 vcc, vcc, exec
	s_or_b64 s[38:39], s[38:39], vcc
	s_mov_b64 vcc, -1
	s_or_b64 s[36:37], s[36:37], exec
	s_and_saveexec_b64 s[48:49], s[38:39]
	s_cbranch_execz .LBB4_88
.LBB4_92:                               ;   in Loop: Header=BB4_89 Depth=3
	s_sleep 1
	s_trap 2
	ds_read_b64 v[0:1], v0
	s_waitcnt lgkmcnt(0)
	s_andn2_b64 s[36:37], s[36:37], exec
	v_cmp_ge_u64_e32 vcc, v[0:1], v[40:41]
	s_orn2_b64 vcc, vcc, exec
	s_branch .LBB4_88
.LBB4_93:                               ;   in Loop: Header=BB4_57 Depth=2
	s_or_b64 exec, exec, s[30:31]
	s_and_saveexec_b64 vcc, s[34:35]
	s_xor_b64 vcc, exec, vcc
	s_cbranch_execz .LBB4_95
; %bb.94:                               ;   in Loop: Header=BB4_57 Depth=2
	v_mov_b32_e32 v0, 1
	ds_write_b32 v0, v0
	s_trap 2
.LBB4_95:                               ;   in Loop: Header=BB4_57 Depth=2
	s_or_b64 exec, exec, s[94:95]
	;;#ASMSTART
	s_wakeup
	;;#ASMEND
.LBB4_96:                               ;   in Loop: Header=BB4_57 Depth=2
	s_or_b64 exec, exec, s[92:93]
.LBB4_97:                               ;   in Loop: Header=BB4_57 Depth=2
	s_andn2_saveexec_b64 s[90:91], s[90:91]
	s_cbranch_execz .LBB4_99
; %bb.98:                               ;   in Loop: Header=BB4_57 Depth=2
	s_waitcnt vmcnt(0) lgkmcnt(0)
	buffer_wbinvl1_vol
	s_barrier
.LBB4_99:                               ;   in Loop: Header=BB4_57 Depth=2
	s_or_b64 exec, exec, s[90:91]
.LBB4_100:                              ;   in Loop: Header=BB4_57 Depth=2
	s_or_b64 exec, exec, s[26:27]
	s_trap 2
	ds_read_b32 v5, v0
	v_and_b32_e32 v0, 0x4000, v46
	v_cmp_ne_u32_e32 vcc, 0, v0
	s_xor_b64 s[26:27], s[6:7], -1
	s_and_b64 s[90:91], s[26:27], vcc
	s_and_saveexec_b64 s[26:27], s[90:91]
	s_cbranch_execz .LBB4_119
; %bb.101:                              ;   in Loop: Header=BB4_57 Depth=2
	s_and_saveexec_b64 s[90:91], s[58:59]
	s_xor_b64 s[90:91], exec, s[90:91]
	s_cbranch_execz .LBB4_116
; %bb.102:                              ;   in Loop: Header=BB4_57 Depth=2
	s_and_saveexec_b64 s[92:93], s[16:17]
	s_cbranch_execz .LBB4_115
; %bb.103:                              ;   in Loop: Header=BB4_57 Depth=2
	s_mov_b64 s[30:31], exec
	v_mbcnt_lo_u32_b32 v0, s30, 0
	v_mbcnt_hi_u32_b32 v0, s31, v0
	v_cmp_eq_u32_e32 vcc, 0, v0
	s_waitcnt vmcnt(0) lgkmcnt(0)
	buffer_wbinvl1_vol
	s_and_saveexec_b64 s[94:95], vcc
	s_cbranch_execz .LBB4_105
; %bb.104:                              ;   in Loop: Header=BB4_57 Depth=2
	s_bcnt1_i32_b64 s9, s[30:31]
	v_mov_b32_e32 v0, s9
	v_mov_b32_e32 v1, v61
	ds_add_u64 v0, v[0:1]
	s_trap 2
.LBB4_105:                              ;   in Loop: Header=BB4_57 Depth=2
	s_or_b64 exec, exec, s[94:95]
	s_trap 2
	ds_read_b64 v[0:1], v0
	s_waitcnt lgkmcnt(0)
	v_add_co_u32_e32 v40, vcc, v40, v21
	v_addc_co_u32_e32 v41, vcc, 0, v41, vcc
	v_cmp_lt_u64_e32 vcc, v[0:1], v[40:41]
	s_and_saveexec_b64 s[94:95], vcc
	s_cbranch_execz .LBB4_114
; %bb.106:                              ;   in Loop: Header=BB4_57 Depth=2
	s_mov_b32 s9, 0
	s_mov_b64 s[30:31], 0
                                        ; implicit-def: $sgpr34_sgpr35
                                        ; implicit-def: $sgpr36_sgpr37
	s_branch .LBB4_108
.LBB4_107:                              ;   in Loop: Header=BB4_108 Depth=3
	s_or_b64 exec, exec, s[48:49]
	s_and_b64 vcc, exec, vcc
	s_or_b64 s[30:31], vcc, s[30:31]
	s_andn2_b64 vcc, s[34:35], exec
	s_and_b64 s[34:35], s[36:37], exec
	s_or_b64 s[34:35], vcc, s[34:35]
	s_andn2_b64 exec, exec, s[30:31]
	s_cbranch_execz .LBB4_112
.LBB4_108:                              ;   Parent Loop BB4_47 Depth=1
                                        ;     Parent Loop BB4_57 Depth=2
                                        ; =>    This Inner Loop Header: Depth=3
	s_add_i32 s9, s9, 1
	s_cmpk_lg_i32 s9, 0x2710
	s_cselect_b64 s[38:39], -1, 0
	s_and_b64 vcc, exec, s[38:39]
	s_cbranch_vccz .LBB4_110
; %bb.109:                              ;   in Loop: Header=BB4_108 Depth=3
	s_mov_b64 vcc, -1
	s_or_b64 s[36:37], s[36:37], exec
	s_and_saveexec_b64 s[48:49], s[38:39]
	s_cbranch_execz .LBB4_107
	s_branch .LBB4_111
.LBB4_110:                              ;   in Loop: Header=BB4_108 Depth=3
	s_trap 2
	ds_read_b64 v[0:1], v0
	s_andn2_b64 s[38:39], s[38:39], exec
	s_mov_b32 s9, 0
	s_waitcnt lgkmcnt(0)
	flat_load_dword v0, v[0:1] glc
	s_waitcnt vmcnt(0) lgkmcnt(0)
	buffer_wbinvl1_vol
	v_cmp_eq_u32_e32 vcc, 0, v0
	s_and_b64 vcc, vcc, exec
	s_or_b64 s[38:39], s[38:39], vcc
	s_mov_b64 vcc, -1
	s_or_b64 s[36:37], s[36:37], exec
	s_and_saveexec_b64 s[48:49], s[38:39]
	s_cbranch_execz .LBB4_107
.LBB4_111:                              ;   in Loop: Header=BB4_108 Depth=3
	s_sleep 1
	s_trap 2
	ds_read_b64 v[0:1], v0
	s_waitcnt lgkmcnt(0)
	s_andn2_b64 s[36:37], s[36:37], exec
	v_cmp_ge_u64_e32 vcc, v[0:1], v[40:41]
	s_orn2_b64 vcc, vcc, exec
	s_branch .LBB4_107
.LBB4_112:                              ;   in Loop: Header=BB4_57 Depth=2
	s_or_b64 exec, exec, s[30:31]
	s_and_saveexec_b64 vcc, s[34:35]
	s_xor_b64 vcc, exec, vcc
	s_cbranch_execz .LBB4_114
; %bb.113:                              ;   in Loop: Header=BB4_57 Depth=2
	v_mov_b32_e32 v0, 1
	ds_write_b32 v0, v0
	s_trap 2
.LBB4_114:                              ;   in Loop: Header=BB4_57 Depth=2
	s_or_b64 exec, exec, s[94:95]
	;;#ASMSTART
	s_wakeup
	;;#ASMEND
.LBB4_115:                              ;   in Loop: Header=BB4_57 Depth=2
	s_or_b64 exec, exec, s[92:93]
.LBB4_116:                              ;   in Loop: Header=BB4_57 Depth=2
	s_andn2_saveexec_b64 s[90:91], s[90:91]
	s_cbranch_execz .LBB4_118
; %bb.117:                              ;   in Loop: Header=BB4_57 Depth=2
	s_waitcnt vmcnt(0) lgkmcnt(0)
	buffer_wbinvl1_vol
	s_barrier
.LBB4_118:                              ;   in Loop: Header=BB4_57 Depth=2
	s_or_b64 exec, exec, s[90:91]
.LBB4_119:                              ;   in Loop: Header=BB4_57 Depth=2
	s_or_b64 exec, exec, s[26:27]
	s_trap 2
	ds_read_b64 v[0:1], v0
	s_waitcnt lgkmcnt(0)
	v_cmp_eq_u64_e32 vcc, 0, v[0:1]
	s_cbranch_vccnz .LBB4_127
; %bb.120:                              ;   in Loop: Header=BB4_57 Depth=2
	s_trap 2
	ds_read_b64 v[2:3], v0
	s_waitcnt lgkmcnt(0)
	v_cmp_eq_u64_e32 vcc, 0, v[2:3]
	s_cbranch_vccnz .LBB4_127
; %bb.121:                              ;   in Loop: Header=BB4_57 Depth=2
	s_mov_b64 s[26:27], -1
	s_and_saveexec_b64 s[90:91], s[18:19]
	s_cbranch_execz .LBB4_123
; %bb.122:                              ;   in Loop: Header=BB4_57 Depth=2
	ds_read_b32 v6, v0 offset:720
	s_waitcnt lgkmcnt(0)
	v_and_b32_e32 v6, 15, v6
	v_cmp_eq_u32_e32 vcc, 0, v6
	s_orn2_b64 s[26:27], vcc, exec
.LBB4_123:                              ;   in Loop: Header=BB4_57 Depth=2
	s_or_b64 exec, exec, s[90:91]
	s_and_saveexec_b64 s[90:91], s[20:21]
	s_cbranch_execz .LBB4_125
; %bb.124:                              ;   in Loop: Header=BB4_57 Depth=2
	ds_read_b32 v6, v0 offset:784
	s_waitcnt lgkmcnt(0)
	v_and_b32_e32 v6, 15, v6
	v_cmp_eq_u32_e32 vcc, 0, v6
	s_and_b64 s[92:93], s[26:27], vcc
	s_andn2_b64 s[26:27], s[26:27], exec
	s_and_b64 s[92:93], s[92:93], exec
	s_or_b64 s[26:27], s[26:27], s[92:93]
.LBB4_125:                              ;   in Loop: Header=BB4_57 Depth=2
	s_or_b64 exec, exec, s[90:91]
	buffer_load_dword v10, off, s[0:3], s33 offset:148 ; 4-byte Folded Reload
	buffer_load_dword v16, off, s[0:3], s33 offset:112 ; 4-byte Folded Reload
	v_cmp_eq_u32_e32 vcc, 0, v5
	s_xor_b64 s[26:27], s[26:27], -1
	v_cndmask_b32_e32 v7, 0, v4, vcc
	v_cndmask_b32_e64 v5, 0, 1, s[26:27]
	s_mov_b64 s[92:93], -1
	v_cmp_ne_u32_e32 vcc, 0, v5
	v_mov_b32_e32 v5, 0
	v_mov_b32_e32 v6, v7
	s_cbranch_vccz .LBB4_133
; %bb.126:                              ;   in Loop: Header=BB4_57 Depth=2
	s_and_saveexec_b64 s[26:27], s[92:93]
	s_cbranch_execnz .LBB4_146
	s_branch .LBB4_154
.LBB4_127:                              ;   in Loop: Header=BB4_57 Depth=2
	s_mov_b64 s[26:27], 0
	s_and_saveexec_b64 s[90:91], s[10:11]
	s_cbranch_execnz .LBB4_155
.LBB4_128:                              ;   in Loop: Header=BB4_57 Depth=2
	s_or_b64 exec, exec, s[90:91]
                                        ; implicit-def: $vgpr0
	s_and_saveexec_b64 s[90:91], s[24:25]
	s_xor_b64 s[90:91], exec, s[90:91]
	s_cbranch_execz .LBB4_173
.LBB4_129:                              ;   in Loop: Header=BB4_57 Depth=2
	v_and_b32_e32 v1, 16, v46
	v_cmp_ne_u32_e32 vcc, 0, v1
	v_and_b32_e32 v0, 16, v46
	s_and_b64 s[92:93], vcc, s[26:27]
	s_and_saveexec_b64 s[26:27], s[92:93]
	s_cbranch_execz .LBB4_131
; %bb.130:                              ;   in Loop: Header=BB4_57 Depth=2
	v_mov_b32_e32 v0, 1
	s_waitcnt vmcnt(0) lgkmcnt(0)
	buffer_wbinvl1_vol
.LBB4_131:                              ;   in Loop: Header=BB4_57 Depth=2
	s_or_b64 exec, exec, s[26:27]
	s_andn2_saveexec_b64 s[26:27], s[90:91]
	s_cbranch_execnz .LBB4_174
.LBB4_132:                              ;   in Loop: Header=BB4_57 Depth=2
	s_or_b64 exec, exec, s[26:27]
	v_cmp_ne_u32_e32 vcc, 0, v0
	s_and_saveexec_b64 s[26:27], vcc
	s_cbranch_execz .LBB4_56
	s_branch .LBB4_192
.LBB4_133:                              ;   in Loop: Header=BB4_57 Depth=2
	v_ashrrev_i32_e32 v5, 31, v7
	v_lshrrev_b32_e32 v5, 20, v5
	v_add_u32_e32 v5, v7, v5
	s_waitcnt vmcnt(0)
	v_ashrrev_i32_e32 v15, 12, v5
	buffer_load_dword v5, off, s[0:3], s33 offset:112 ; 4-byte Folded Reload
	s_waitcnt vmcnt(0)
	v_sub_u32_e32 v14, v15, v5
	v_cmp_lt_i32_e32 vcc, 0, v14
	s_and_saveexec_b64 s[26:27], vcc
	s_cbranch_execz .LBB4_137
; %bb.134:                              ;   in Loop: Header=BB4_57 Depth=2
	buffer_load_dword v37, off, s[0:3], s33 offset:256 ; 4-byte Folded Reload
	buffer_load_dword v38, off, s[0:3], s33 offset:260 ; 4-byte Folded Reload
	;; [unrolled: 1-line block ×3, first 2 shown]
	v_mov_b32_e32 v6, v3
	v_mov_b32_e32 v11, v1
	s_mov_b64 s[90:91], 0
	v_mov_b32_e32 v5, v2
	v_mov_b32_e32 v10, v0
	;; [unrolled: 1-line block ×3, first 2 shown]
.LBB4_135:                              ;   Parent Loop BB4_47 Depth=1
                                        ;     Parent Loop BB4_57 Depth=2
                                        ; =>    This Inner Loop Header: Depth=3
	s_waitcnt vmcnt(1)
	v_add_co_u32_e32 v28, vcc, v38, v10
	s_waitcnt vmcnt(0)
	v_addc_co_u32_e32 v29, vcc, v39, v11, vcc
	global_load_dwordx4 v[16:19], v[28:29], off glc slc
	global_load_dwordx4 v[20:23], v[28:29], off offset:1024 glc slc
	global_load_dwordx4 v[24:27], v[28:29], off offset:2048 glc slc
	s_nop 0
	global_load_dwordx4 v[28:31], v[28:29], off offset:3072 glc slc
	v_add_co_u32_e32 v34, vcc, v38, v5
	v_addc_co_u32_e32 v35, vcc, v39, v6, vcc
	v_add_co_u32_e32 v10, vcc, v10, v37
	v_addc_co_u32_e32 v11, vcc, 0, v11, vcc
	v_add_co_u32_e32 v5, vcc, v5, v37
	v_sub_u32_e32 v14, v14, v36
	v_addc_co_u32_e32 v6, vcc, 0, v6, vcc
	v_cmp_gt_i32_e32 vcc, 1, v14
	s_or_b64 s[90:91], vcc, s[90:91]
	s_waitcnt vmcnt(3)
	global_store_dwordx4 v[34:35], v[16:19], off glc slc
	s_waitcnt vmcnt(3)
	global_store_dwordx4 v[34:35], v[20:23], off offset:1024 glc slc
	s_waitcnt vmcnt(3)
	global_store_dwordx4 v[34:35], v[24:27], off offset:2048 glc slc
	;; [unrolled: 2-line block ×3, first 2 shown]
	s_andn2_b64 exec, exec, s[90:91]
	s_cbranch_execnz .LBB4_135
; %bb.136:                              ;   in Loop: Header=BB4_57 Depth=2
	s_or_b64 exec, exec, s[90:91]
	v_mov_b32_e32 v21, v36
.LBB4_137:                              ;   in Loop: Header=BB4_57 Depth=2
	s_or_b64 exec, exec, s[26:27]
	v_lshlrev_b32_e32 v11, 12, v15
	v_cmp_ne_u32_e32 vcc, v7, v11
	s_mov_b64 s[92:93], 0
	v_mov_b32_e32 v5, 0
                                        ; implicit-def: $vgpr6
                                        ; implicit-def: $vgpr10
                                        ; implicit-def: $vgpr16
	s_and_saveexec_b64 s[90:91], vcc
	s_cbranch_execz .LBB4_145
; %bb.138:                              ;   in Loop: Header=BB4_57 Depth=2
	buffer_load_dword v6, off, s[0:3], s33 offset:228 ; 4-byte Folded Reload
	v_lshlrev_b32_e32 v5, 6, v14
	v_sub_u32_e32 v10, v7, v11
	v_ashrrev_i32_e32 v15, 31, v10
	v_lshrrev_b32_e32 v15, 22, v15
	v_add_u32_e32 v15, v10, v15
	v_ashrrev_i32_e32 v17, 10, v15
	v_and_b32_e32 v15, 0xfffffc00, v15
	v_sub_u32_e32 v18, v10, v15
	v_cmp_lt_i32_e32 vcc, 15, v18
	s_waitcnt vmcnt(0)
	v_sub_u32_e32 v5, v6, v5
	v_ashrrev_i32_e32 v6, 31, v5
	v_lshrrev_b32_e32 v6, 26, v6
	v_add_u32_e32 v6, v5, v6
	v_ashrrev_i32_e32 v16, 6, v6
	v_and_b32_e32 v6, 0xffffffc0, v6
	v_sub_u32_e32 v14, v5, v6
	v_lshlrev_b32_e32 v5, 4, v14
	v_lshl_add_u32 v6, v16, 10, v5
	v_sub_u32_e32 v5, v10, v6
	v_addc_co_u32_e64 v10, s[26:27], 0, v17, vcc
	v_sub_u32_e32 v17, v10, v16
	v_cmp_lt_i32_e64 s[26:27], 15, v5
	s_and_saveexec_b64 s[92:93], s[26:27]
	s_cbranch_execz .LBB4_142
; %bb.139:                              ;   in Loop: Header=BB4_57 Depth=2
	buffer_load_dword v25, off, s[0:3], s33 offset:68 ; 4-byte Folded Reload
	v_add_u32_e32 v6, v6, v11
	v_ashrrev_i32_e32 v10, 31, v6
	s_mov_b64 s[94:95], 0
	v_mov_b32_e32 v16, v21
.LBB4_140:                              ;   Parent Loop BB4_47 Depth=1
                                        ;     Parent Loop BB4_57 Depth=2
                                        ; =>    This Inner Loop Header: Depth=3
	v_add_co_u32_e64 v19, s[26:27], v0, v6
	v_addc_co_u32_e64 v20, s[26:27], v1, v10, s[26:27]
	global_load_dwordx4 v[19:22], v[19:20], off glc slc
	v_add_co_u32_e64 v23, s[26:27], v2, v6
	v_addc_co_u32_e64 v24, s[26:27], v3, v10, s[26:27]
	s_waitcnt vmcnt(1)
	v_add_co_u32_e64 v6, s[26:27], v6, v25
	v_sub_u32_e32 v5, v5, v25
	v_addc_co_u32_e64 v10, s[26:27], 0, v10, s[26:27]
	v_cmp_gt_i32_e64 s[26:27], 16, v5
	v_sub_u32_e32 v17, v17, v16
	s_or_b64 s[94:95], s[26:27], s[94:95]
	s_waitcnt vmcnt(0)
	global_store_dwordx4 v[23:24], v[19:22], off glc slc
	s_andn2_b64 exec, exec, s[94:95]
	s_cbranch_execnz .LBB4_140
; %bb.141:                              ;   in Loop: Header=BB4_57 Depth=2
	s_or_b64 exec, exec, s[94:95]
	v_mov_b32_e32 v21, v16
.LBB4_142:                              ;   in Loop: Header=BB4_57 Depth=2
	s_or_b64 exec, exec, s[92:93]
	v_and_b32_e32 v19, 15, v7
	v_cndmask_b32_e32 v6, v18, v19, vcc
	v_mov_b32_e32 v5, 0
	v_cmp_ne_u32_e64 s[26:27], 0, v6
	s_mov_b64 s[94:95], 0
                                        ; implicit-def: $vgpr10
                                        ; implicit-def: $vgpr16
	s_and_saveexec_b64 s[92:93], s[26:27]
	s_cbranch_execz .LBB4_144
; %bb.143:                              ;   in Loop: Header=BB4_57 Depth=2
	v_sub_u32_e32 v5, v18, v19
	v_cndmask_b32_e32 v5, 0, v5, vcc
	v_cmp_lt_i32_e32 vcc, 0, v17
	v_cndmask_b32_e32 v10, 0, v21, vcc
	v_sub_u32_e32 v10, v10, v17
	v_lshl_add_u32 v10, v10, 6, v14
	v_add3_u32 v5, v15, v11, v5
	v_ashrrev_i32_e32 v11, 31, v10
	v_lshrrev_b32_e32 v11, 26, v11
	v_add_u32_e32 v11, v10, v11
	v_ashrrev_i32_e32 v16, 6, v11
	s_mov_b64 s[94:95], exec
.LBB4_144:                              ;   in Loop: Header=BB4_57 Depth=2
	s_or_b64 exec, exec, s[92:93]
	s_and_b64 s[92:93], s[94:95], exec
.LBB4_145:                              ;   in Loop: Header=BB4_57 Depth=2
	s_or_b64 exec, exec, s[90:91]
	s_and_saveexec_b64 s[26:27], s[92:93]
	s_cbranch_execz .LBB4_154
.LBB4_146:                              ;   in Loop: Header=BB4_57 Depth=2
	v_ashrrev_i32_e32 v11, 31, v6
	v_lshrrev_b32_e32 v11, 22, v11
	v_add_u32_e32 v11, v6, v11
	s_waitcnt vmcnt(0)
	v_ashrrev_i32_e32 v15, 10, v11
	s_waitcnt vmcnt(0)
	v_sub_u32_e32 v11, v15, v16
	v_ashrrev_i32_e32 v14, 31, v10
	v_cmp_lt_i32_e32 vcc, 0, v11
	v_lshrrev_b32_e32 v14, 26, v14
	s_and_saveexec_b64 s[90:91], vcc
	s_cbranch_execz .LBB4_150
; %bb.147:                              ;   in Loop: Header=BB4_57 Depth=2
	buffer_load_dword v39, off, s[0:3], s33 offset:68 ; 4-byte Folded Reload
	v_add_u32_e32 v17, v10, v14
	v_and_b32_e32 v17, 0xffffffc0, v17
	v_sub_u32_e32 v17, v10, v17
	v_lshlrev_b32_e32 v16, 10, v16
	v_add3_u32 v16, v5, v17, v16
	v_ashrrev_i32_e32 v17, 31, v16
	s_mov_b64 s[92:93], 0
	v_mov_b32_e32 v38, v21
.LBB4_148:                              ;   Parent Loop BB4_47 Depth=1
                                        ;     Parent Loop BB4_57 Depth=2
                                        ; =>    This Inner Loop Header: Depth=3
	v_add_co_u32_e32 v18, vcc, v16, v0
	v_addc_co_u32_e32 v19, vcc, v17, v1, vcc
	flat_load_ubyte v20, v[18:19] glc slc
	flat_load_ubyte v21, v[18:19] offset:64 glc slc
	flat_load_ubyte v22, v[18:19] offset:128 glc slc
	;; [unrolled: 1-line block ×15, first 2 shown]
	v_add_co_u32_e32 v18, vcc, v16, v2
	v_addc_co_u32_e32 v19, vcc, v17, v3, vcc
	s_waitcnt vmcnt(0)
	v_add_co_u32_e32 v0, vcc, v0, v39
	v_addc_co_u32_e32 v1, vcc, 0, v1, vcc
	v_add_co_u32_e32 v2, vcc, v2, v39
	v_sub_u32_e32 v11, v11, v38
	v_addc_co_u32_e32 v3, vcc, 0, v3, vcc
	v_cmp_gt_i32_e32 vcc, 1, v11
	s_or_b64 s[92:93], vcc, s[92:93]
	s_waitcnt lgkmcnt(0)
	flat_store_byte v[18:19], v20 glc slc
	flat_store_byte v[18:19], v21 offset:64 glc slc
	flat_store_byte v[18:19], v22 offset:128 glc slc
	;; [unrolled: 1-line block ×15, first 2 shown]
	s_andn2_b64 exec, exec, s[92:93]
	s_cbranch_execnz .LBB4_148
; %bb.149:                              ;   in Loop: Header=BB4_57 Depth=2
	s_or_b64 exec, exec, s[92:93]
	v_mov_b32_e32 v21, v38
.LBB4_150:                              ;   in Loop: Header=BB4_57 Depth=2
	s_or_b64 exec, exec, s[90:91]
	v_lshlrev_b32_e32 v0, 10, v15
	buffer_load_dword v15, off, s[0:3], s33 offset:72 ; 4-byte Folded Reload
	v_cmp_ne_u32_e32 vcc, v6, v0
	s_and_b64 s[90:91], exec, vcc
	s_mov_b64 exec, s[90:91]
	s_cbranch_execz .LBB4_154
; %bb.151:                              ;   in Loop: Header=BB4_57 Depth=2
	v_add_u32_e32 v1, v10, v14
	v_and_b32_e32 v1, 0xffffffc0, v1
	v_sub_u32_e32 v1, v10, v1
	v_lshlrev_b32_e32 v2, 6, v11
	v_sub_u32_e32 v1, v1, v2
	v_add_u32_e32 v0, v0, v1
	v_sub_u32_e32 v2, v6, v0
	v_cmp_lt_i32_e32 vcc, 0, v2
	s_and_b64 exec, exec, vcc
	s_cbranch_execz .LBB4_154
; %bb.152:                              ;   in Loop: Header=BB4_57 Depth=2
	v_add_u32_e32 v3, v0, v5
	s_trap 2
	ds_read_b64 v[0:1], v0
	v_ashrrev_i32_e32 v5, 31, v3
	s_mov_b64 s[90:91], 0
.LBB4_153:                              ;   Parent Loop BB4_47 Depth=1
                                        ;     Parent Loop BB4_57 Depth=2
                                        ; =>    This Inner Loop Header: Depth=3
	s_waitcnt lgkmcnt(0)
	v_add_co_u32_e32 v10, vcc, v0, v3
	v_addc_co_u32_e32 v11, vcc, v1, v5, vcc
	flat_load_ubyte v6, v[10:11] glc slc
	s_waitcnt vmcnt(0)
	v_add_co_u32_e32 v3, vcc, v3, v15
	v_sub_u32_e32 v2, v2, v15
	v_addc_co_u32_e32 v5, vcc, 0, v5, vcc
	v_cmp_gt_i32_e32 vcc, 1, v2
	s_or_b64 s[90:91], vcc, s[90:91]
	s_waitcnt lgkmcnt(0)
	flat_store_byte v[10:11], v6 glc slc
	s_andn2_b64 exec, exec, s[90:91]
	s_cbranch_execnz .LBB4_153
.LBB4_154:                              ;   in Loop: Header=BB4_57 Depth=2
	s_or_b64 exec, exec, s[26:27]
	v_cmp_lt_i32_e64 s[26:27], 0, v7
	s_and_saveexec_b64 s[90:91], s[10:11]
	s_cbranch_execz .LBB4_128
.LBB4_155:                              ;   in Loop: Header=BB4_57 Depth=2
	s_and_saveexec_b64 s[92:93], s[58:59]
	s_xor_b64 s[92:93], exec, s[92:93]
	s_cbranch_execz .LBB4_170
; %bb.156:                              ;   in Loop: Header=BB4_57 Depth=2
	s_and_saveexec_b64 s[94:95], s[16:17]
	s_cbranch_execz .LBB4_169
; %bb.157:                              ;   in Loop: Header=BB4_57 Depth=2
	s_mov_b64 s[34:35], exec
	v_mbcnt_lo_u32_b32 v0, s34, 0
	v_mbcnt_hi_u32_b32 v0, s35, v0
	v_cmp_eq_u32_e32 vcc, 0, v0
	s_waitcnt vmcnt(0) lgkmcnt(0)
	buffer_wbinvl1_vol
	s_and_saveexec_b64 s[30:31], vcc
	s_cbranch_execz .LBB4_159
; %bb.158:                              ;   in Loop: Header=BB4_57 Depth=2
	s_bcnt1_i32_b64 s9, s[34:35]
	v_mov_b32_e32 v0, s9
	v_mov_b32_e32 v1, v61
	ds_add_u64 v0, v[0:1]
	s_trap 2
.LBB4_159:                              ;   in Loop: Header=BB4_57 Depth=2
	s_or_b64 exec, exec, s[30:31]
	s_trap 2
	ds_read_b64 v[0:1], v0
	s_waitcnt lgkmcnt(0)
	v_add_co_u32_e32 v40, vcc, v40, v21
	v_addc_co_u32_e32 v41, vcc, 0, v41, vcc
	v_cmp_lt_u64_e32 vcc, v[0:1], v[40:41]
	s_and_saveexec_b64 s[30:31], vcc
	s_cbranch_execz .LBB4_168
; %bb.160:                              ;   in Loop: Header=BB4_57 Depth=2
	s_mov_b32 s9, 0
	s_mov_b64 s[34:35], 0
                                        ; implicit-def: $sgpr36_sgpr37
                                        ; implicit-def: $sgpr38_sgpr39
	s_branch .LBB4_162
.LBB4_161:                              ;   in Loop: Header=BB4_162 Depth=3
	s_or_b64 exec, exec, s[50:51]
	s_and_b64 vcc, exec, vcc
	s_or_b64 s[34:35], vcc, s[34:35]
	s_andn2_b64 vcc, s[36:37], exec
	s_and_b64 s[36:37], s[38:39], exec
	s_or_b64 s[36:37], vcc, s[36:37]
	s_andn2_b64 exec, exec, s[34:35]
	s_cbranch_execz .LBB4_166
.LBB4_162:                              ;   Parent Loop BB4_47 Depth=1
                                        ;     Parent Loop BB4_57 Depth=2
                                        ; =>    This Inner Loop Header: Depth=3
	s_add_i32 s9, s9, 1
	s_cmpk_lg_i32 s9, 0x2710
	s_cselect_b64 s[48:49], -1, 0
	s_and_b64 vcc, exec, s[48:49]
	s_cbranch_vccz .LBB4_164
; %bb.163:                              ;   in Loop: Header=BB4_162 Depth=3
	s_mov_b64 vcc, -1
	s_or_b64 s[38:39], s[38:39], exec
	s_and_saveexec_b64 s[50:51], s[48:49]
	s_cbranch_execz .LBB4_161
	s_branch .LBB4_165
.LBB4_164:                              ;   in Loop: Header=BB4_162 Depth=3
	s_trap 2
	ds_read_b64 v[0:1], v0
	s_andn2_b64 s[48:49], s[48:49], exec
	s_mov_b32 s9, 0
	s_waitcnt lgkmcnt(0)
	flat_load_dword v0, v[0:1] glc
	s_waitcnt vmcnt(0) lgkmcnt(0)
	buffer_wbinvl1_vol
	v_cmp_eq_u32_e32 vcc, 0, v0
	s_and_b64 vcc, vcc, exec
	s_or_b64 s[48:49], s[48:49], vcc
	s_mov_b64 vcc, -1
	s_or_b64 s[38:39], s[38:39], exec
	s_and_saveexec_b64 s[50:51], s[48:49]
	s_cbranch_execz .LBB4_161
.LBB4_165:                              ;   in Loop: Header=BB4_162 Depth=3
	s_sleep 1
	s_trap 2
	ds_read_b64 v[0:1], v0
	s_waitcnt lgkmcnt(0)
	s_andn2_b64 s[38:39], s[38:39], exec
	v_cmp_ge_u64_e32 vcc, v[0:1], v[40:41]
	s_orn2_b64 vcc, vcc, exec
	s_branch .LBB4_161
.LBB4_166:                              ;   in Loop: Header=BB4_57 Depth=2
	s_or_b64 exec, exec, s[34:35]
	s_and_saveexec_b64 vcc, s[36:37]
	s_xor_b64 vcc, exec, vcc
	s_cbranch_execz .LBB4_168
; %bb.167:                              ;   in Loop: Header=BB4_57 Depth=2
	v_mov_b32_e32 v0, 1
	ds_write_b32 v0, v0
	s_trap 2
.LBB4_168:                              ;   in Loop: Header=BB4_57 Depth=2
	s_or_b64 exec, exec, s[30:31]
	;;#ASMSTART
	s_wakeup
	;;#ASMEND
.LBB4_169:                              ;   in Loop: Header=BB4_57 Depth=2
	s_or_b64 exec, exec, s[94:95]
.LBB4_170:                              ;   in Loop: Header=BB4_57 Depth=2
	s_andn2_saveexec_b64 s[92:93], s[92:93]
	s_cbranch_execz .LBB4_172
; %bb.171:                              ;   in Loop: Header=BB4_57 Depth=2
	s_waitcnt vmcnt(0) lgkmcnt(0)
	buffer_wbinvl1_vol
	s_barrier
.LBB4_172:                              ;   in Loop: Header=BB4_57 Depth=2
	s_or_b64 exec, exec, s[92:93]
	s_or_b64 exec, exec, s[90:91]
                                        ; implicit-def: $vgpr0
	s_and_saveexec_b64 s[90:91], s[24:25]
	s_xor_b64 s[90:91], exec, s[90:91]
	s_cbranch_execnz .LBB4_129
.LBB4_173:                              ;   in Loop: Header=BB4_57 Depth=2
	s_andn2_saveexec_b64 s[26:27], s[90:91]
	s_cbranch_execz .LBB4_132
.LBB4_174:                              ;   in Loop: Header=BB4_57 Depth=2
	s_and_saveexec_b64 s[90:91], s[58:59]
	s_xor_b64 s[90:91], exec, s[90:91]
	s_cbranch_execz .LBB4_189
; %bb.175:                              ;   in Loop: Header=BB4_57 Depth=2
	s_and_saveexec_b64 s[92:93], s[16:17]
	s_cbranch_execz .LBB4_188
; %bb.176:                              ;   in Loop: Header=BB4_57 Depth=2
	s_mov_b64 s[30:31], exec
	v_mbcnt_lo_u32_b32 v0, s30, 0
	v_mbcnt_hi_u32_b32 v0, s31, v0
	v_cmp_eq_u32_e32 vcc, 0, v0
	;;#ASMSTART
	s_waitcnt lgkmcnt(0) vmcnt(0)
	;;#ASMEND
	s_and_saveexec_b64 s[94:95], vcc
	s_cbranch_execz .LBB4_178
; %bb.177:                              ;   in Loop: Header=BB4_57 Depth=2
	s_bcnt1_i32_b64 s9, s[30:31]
	v_mov_b32_e32 v0, s9
	v_mov_b32_e32 v1, v61
	s_waitcnt lgkmcnt(0)
	ds_add_u64 v0, v[0:1]
	s_trap 2
.LBB4_178:                              ;   in Loop: Header=BB4_57 Depth=2
	s_or_b64 exec, exec, s[94:95]
	s_trap 2
	ds_read_b64 v[0:1], v0
	s_waitcnt lgkmcnt(0)
	v_add_co_u32_e32 v40, vcc, v40, v21
	v_addc_co_u32_e32 v41, vcc, 0, v41, vcc
	v_cmp_lt_u64_e32 vcc, v[0:1], v[40:41]
	s_and_saveexec_b64 s[94:95], vcc
	s_cbranch_execz .LBB4_187
; %bb.179:                              ;   in Loop: Header=BB4_57 Depth=2
	s_mov_b32 s9, 0
	s_mov_b64 s[30:31], 0
                                        ; implicit-def: $sgpr34_sgpr35
                                        ; implicit-def: $sgpr36_sgpr37
	s_branch .LBB4_181
.LBB4_180:                              ;   in Loop: Header=BB4_181 Depth=3
	s_or_b64 exec, exec, s[48:49]
	s_and_b64 vcc, exec, vcc
	s_or_b64 s[30:31], vcc, s[30:31]
	s_andn2_b64 vcc, s[34:35], exec
	s_and_b64 s[34:35], s[36:37], exec
	s_or_b64 s[34:35], vcc, s[34:35]
	s_andn2_b64 exec, exec, s[30:31]
	s_cbranch_execz .LBB4_185
.LBB4_181:                              ;   Parent Loop BB4_47 Depth=1
                                        ;     Parent Loop BB4_57 Depth=2
                                        ; =>    This Inner Loop Header: Depth=3
	s_add_i32 s9, s9, 1
	s_cmpk_lg_i32 s9, 0x2710
	s_cselect_b64 s[38:39], -1, 0
	s_and_b64 vcc, exec, s[38:39]
	s_cbranch_vccz .LBB4_183
; %bb.182:                              ;   in Loop: Header=BB4_181 Depth=3
	s_mov_b64 vcc, -1
	s_or_b64 s[36:37], s[36:37], exec
	s_and_saveexec_b64 s[48:49], s[38:39]
	s_cbranch_execz .LBB4_180
	s_branch .LBB4_184
.LBB4_183:                              ;   in Loop: Header=BB4_181 Depth=3
	s_trap 2
	ds_read_b64 v[0:1], v0
	s_andn2_b64 s[38:39], s[38:39], exec
	s_mov_b32 s9, 0
	s_waitcnt vmcnt(0) lgkmcnt(0)
	flat_load_dword v0, v[0:1] glc
	s_waitcnt vmcnt(0) lgkmcnt(0)
	buffer_wbinvl1_vol
	v_cmp_eq_u32_e32 vcc, 0, v0
	s_and_b64 vcc, vcc, exec
	s_or_b64 s[38:39], s[38:39], vcc
	s_mov_b64 vcc, -1
	s_or_b64 s[36:37], s[36:37], exec
	s_and_saveexec_b64 s[48:49], s[38:39]
	s_cbranch_execz .LBB4_180
.LBB4_184:                              ;   in Loop: Header=BB4_181 Depth=3
	s_sleep 1
	s_trap 2
	ds_read_b64 v[0:1], v0
	s_waitcnt lgkmcnt(0)
	s_andn2_b64 s[36:37], s[36:37], exec
	v_cmp_ge_u64_e32 vcc, v[0:1], v[40:41]
	s_orn2_b64 vcc, vcc, exec
	s_branch .LBB4_180
.LBB4_185:                              ;   in Loop: Header=BB4_57 Depth=2
	s_or_b64 exec, exec, s[30:31]
	s_and_saveexec_b64 vcc, s[34:35]
	s_xor_b64 vcc, exec, vcc
	s_cbranch_execz .LBB4_187
; %bb.186:                              ;   in Loop: Header=BB4_57 Depth=2
	v_mov_b32_e32 v0, 1
	ds_write_b32 v0, v0
	s_trap 2
.LBB4_187:                              ;   in Loop: Header=BB4_57 Depth=2
	s_or_b64 exec, exec, s[94:95]
	;;#ASMSTART
	s_wakeup
	;;#ASMEND
.LBB4_188:                              ;   in Loop: Header=BB4_57 Depth=2
	s_or_b64 exec, exec, s[92:93]
.LBB4_189:                              ;   in Loop: Header=BB4_57 Depth=2
	s_andn2_saveexec_b64 s[90:91], s[90:91]
	s_cbranch_execz .LBB4_191
; %bb.190:                              ;   in Loop: Header=BB4_57 Depth=2
	;;#ASMSTART
	s_waitcnt lgkmcnt(0) vmcnt(0)
	;;#ASMEND
	s_waitcnt vmcnt(0) lgkmcnt(0)
	s_barrier
.LBB4_191:                              ;   in Loop: Header=BB4_57 Depth=2
	s_or_b64 exec, exec, s[90:91]
	v_and_b32_e32 v0, 16, v46
	s_or_b64 exec, exec, s[26:27]
	v_cmp_ne_u32_e32 vcc, 0, v0
	s_and_saveexec_b64 s[26:27], vcc
	s_cbranch_execz .LBB4_56
.LBB4_192:                              ;   in Loop: Header=BB4_57 Depth=2
	s_and_saveexec_b64 s[90:91], s[14:15]
	s_cbranch_execz .LBB4_55
; %bb.193:                              ;   in Loop: Header=BB4_57 Depth=2
	buffer_load_dword v0, off, s[0:3], s33 offset:104 ; 4-byte Folded Reload
	buffer_load_dword v1, off, s[0:3], s33 offset:108 ; 4-byte Folded Reload
	v_mov_b32_e32 v2, 1
	s_waitcnt vmcnt(0)
	flat_store_dword v[0:1], v2
	s_branch .LBB4_55
.LBB4_194:                              ;   in Loop: Header=BB4_47 Depth=1
	s_or_b64 exec, exec, s[40:41]
.LBB4_195:                              ;   in Loop: Header=BB4_47 Depth=1
	s_or_b64 exec, exec, s[28:29]
	v_cmp_gt_i32_e32 vcc, 2, v0
	s_and_saveexec_b64 s[28:29], vcc
	s_cbranch_execz .LBB4_267
; %bb.196:                              ;   in Loop: Header=BB4_47 Depth=1
	v_cmp_eq_u32_e64 s[42:43], 0, v0
	s_mov_b64 s[40:41], 0
	s_branch .LBB4_199
.LBB4_197:                              ;   in Loop: Header=BB4_199 Depth=2
	s_or_b64 exec, exec, s[42:43]
	buffer_load_dword v0, off, s[0:3], s33 offset:56 ; 4-byte Folded Reload
	buffer_load_dword v1, off, s[0:3], s33 offset:60 ; 4-byte Folded Reload
	s_waitcnt vmcnt(0)
	v_add_co_u32_e32 v0, vcc, 2, v0
	v_addc_co_u32_e32 v1, vcc, 0, v1, vcc
	buffer_store_dword v0, off, s[0:3], s33 offset:56 ; 4-byte Folded Spill
	s_nop 0
	buffer_store_dword v1, off, s[0:3], s33 offset:60 ; 4-byte Folded Spill
	flat_store_dwordx2 v[32:33], v[0:1]
.LBB4_198:                              ;   in Loop: Header=BB4_199 Depth=2
	s_or_b64 exec, exec, s[26:27]
	v_add_u32_e32 v13, v4, v13
	s_mov_b64 s[42:43], 0
	s_andn2_b64 exec, exec, s[40:41]
	s_cbranch_execz .LBB4_266
.LBB4_199:                              ;   Parent Loop BB4_47 Depth=1
                                        ; =>  This Loop Header: Depth=2
                                        ;       Child Loop BB4_205 Depth 3
                                        ;       Child Loop BB4_229 Depth 3
	;; [unrolled: 1-line block ×3, first 2 shown]
	v_sub_u32_e32 v0, v12, v13
	v_min_i32_e32 v4, v4, v0
	v_and_b32_e32 v0, 8, v46
	v_cmp_ne_u32_e32 vcc, 0, v0
	s_and_saveexec_b64 s[90:91], vcc
	s_cbranch_execz .LBB4_221
; %bb.200:                              ;   in Loop: Header=BB4_199 Depth=2
	buffer_load_dword v0, off, s[0:3], s33 offset:56 ; 4-byte Folded Reload
	buffer_load_dword v1, off, s[0:3], s33 offset:60 ; 4-byte Folded Reload
	s_waitcnt lgkmcnt(0)
	v_add_co_u32_e32 v2, vcc, 8, v48
	v_addc_co_u32_e32 v3, vcc, 0, v49, vcc
	s_waitcnt vmcnt(0)
	v_add_co_u32_e32 v0, vcc, 2, v0
	v_addc_co_u32_e32 v1, vcc, 0, v1, vcc
	v_cmp_lt_u64_e32 vcc, v[2:3], v[0:1]
	s_and_saveexec_b64 s[92:93], vcc
	s_cbranch_execz .LBB4_212
; %bb.201:                              ;   in Loop: Header=BB4_199 Depth=2
	v_and_b32_e32 v2, 64, v46
	s_mov_b32 s8, 0
	v_cmp_eq_u32_e32 vcc, 0, v2
	s_mov_b64 s[94:95], 0
                                        ; implicit-def: $sgpr30_sgpr31
                                        ; implicit-def: $sgpr34_sgpr35
                                        ; implicit-def: $sgpr36_sgpr37
	s_branch .LBB4_205
.LBB4_202:                              ;   in Loop: Header=BB4_205 Depth=3
	s_waitcnt vmcnt(0) lgkmcnt(0)
	v_add_co_u32_e64 v5, s[26:27], 8, v48
	v_addc_co_u32_e64 v6, s[26:27], 0, v49, s[26:27]
	v_cmp_ge_u64_e64 s[26:27], v[5:6], v[0:1]
	s_or_b64 s[50:51], s[50:51], exec
	s_orn2_b64 s[48:49], s[26:27], exec
.LBB4_203:                              ;   in Loop: Header=BB4_205 Depth=3
	s_or_b64 exec, exec, s[54:55]
	s_andn2_b64 s[26:27], s[36:37], exec
	s_and_b64 s[36:37], s[50:51], exec
	s_or_b64 s[36:37], s[26:27], s[36:37]
	s_andn2_b64 s[26:27], s[34:35], exec
	s_and_b64 s[34:35], s[48:49], exec
	s_or_b64 s[34:35], s[26:27], s[34:35]
.LBB4_204:                              ;   in Loop: Header=BB4_205 Depth=3
	s_or_b64 exec, exec, s[38:39]
	s_and_b64 s[26:27], exec, s[34:35]
	s_or_b64 s[94:95], s[26:27], s[94:95]
	s_andn2_b64 s[26:27], s[30:31], exec
	s_and_b64 s[30:31], s[36:37], exec
	s_or_b64 s[30:31], s[26:27], s[30:31]
	s_andn2_b64 exec, exec, s[94:95]
	s_cbranch_execz .LBB4_209
.LBB4_205:                              ;   Parent Loop BB4_47 Depth=1
                                        ;     Parent Loop BB4_199 Depth=2
                                        ; =>    This Inner Loop Header: Depth=3
	s_sleep 1
	s_waitcnt vmcnt(0) lgkmcnt(0)
	flat_load_dwordx2 v[48:49], v[32:33] glc
	s_or_b64 s[36:37], s[36:37], exec
	s_or_b64 s[34:35], s[34:35], exec
                                        ; implicit-def: $vgpr2
	s_and_saveexec_b64 s[38:39], vcc
	s_cbranch_execz .LBB4_204
; %bb.206:                              ;   in Loop: Header=BB4_205 Depth=3
	s_cmpk_lt_i32 s8, 0x270f
	s_cselect_b64 s[52:53], -1, 0
	s_cmpk_gt_i32 s8, 0x270e
	s_mov_b64 s[48:49], -1
	s_cbranch_scc0 .LBB4_208
; %bb.207:                              ;   in Loop: Header=BB4_205 Depth=3
	s_trap 2
	ds_read_b64 v[2:3], v0
	s_andn2_b64 s[52:53], s[52:53], exec
	s_mov_b32 s8, 0
	s_mov_b64 s[50:51], 0
	s_waitcnt vmcnt(0) lgkmcnt(0)
	flat_load_dword v2, v[2:3] glc
	s_waitcnt vmcnt(0) lgkmcnt(0)
	buffer_wbinvl1_vol
	v_cmp_eq_u32_e64 s[26:27], 0, v2
	s_and_b64 s[26:27], s[26:27], exec
	s_or_b64 s[52:53], s[52:53], s[26:27]
	s_and_saveexec_b64 s[54:55], s[52:53]
	s_cbranch_execz .LBB4_203
	s_branch .LBB4_202
.LBB4_208:                              ;   in Loop: Header=BB4_205 Depth=3
	s_add_i32 s8, s8, 1
	s_mov_b64 s[50:51], -1
                                        ; implicit-def: $vgpr2
	s_and_saveexec_b64 s[54:55], s[52:53]
	s_cbranch_execz .LBB4_203
	s_branch .LBB4_202
.LBB4_209:                              ;   in Loop: Header=BB4_199 Depth=2
	s_or_b64 exec, exec, s[94:95]
	s_xor_b64 s[8:9], s[30:31], -1
	s_and_saveexec_b64 s[26:27], s[8:9]
	s_xor_b64 s[26:27], exec, s[26:27]
	s_cbranch_execz .LBB4_211
; %bb.210:                              ;   in Loop: Header=BB4_199 Depth=2
	v_or_b32_e32 v46, 64, v46
	s_waitcnt lgkmcnt(0)
	ds_write_b32 v0, v2
	s_trap 2
.LBB4_211:                              ;   in Loop: Header=BB4_199 Depth=2
	s_or_b64 exec, exec, s[26:27]
.LBB4_212:                              ;   in Loop: Header=BB4_199 Depth=2
	s_or_b64 exec, exec, s[92:93]
	v_and_b32_e32 v2, 0x100, v46
	;;#ASMSTART
	s_wakeup
	;;#ASMEND
	v_cmp_ne_u32_e32 vcc, 0, v2
	buffer_load_dword v2, off, s[0:3], s33 offset:56 ; 4-byte Folded Reload
	buffer_load_dword v3, off, s[0:3], s33 offset:60 ; 4-byte Folded Reload
	s_mov_b64 s[26:27], -1
	s_waitcnt vmcnt(0)
	v_and_b32_e32 v8, 7, v2
                                        ; implicit-def: $vgpr2_vgpr3
	s_and_saveexec_b64 s[92:93], vcc
	s_cbranch_execz .LBB4_216
; %bb.213:                              ;   in Loop: Header=BB4_199 Depth=2
	buffer_load_dword v14, off, s[0:3], s33 offset:88 ; 4-byte Folded Reload
	buffer_load_dword v15, off, s[0:3], s33 offset:92 ; 4-byte Folded Reload
	;; [unrolled: 1-line block ×4, first 2 shown]
	v_ashrrev_i32_e32 v5, 31, v4
	s_waitcnt vmcnt(0)
	v_mad_u64_u32 v[6:7], s[8:9], v8, 24, v[14:15]
	flat_load_dword v2, v[6:7]
	s_nop 0
	flat_store_dwordx2 v[6:7], v[4:5] offset:8
	s_waitcnt vmcnt(0) lgkmcnt(0)
	v_cmp_ne_u32_e32 vcc, 1, v2
	v_cmp_eq_u32_e64 s[26:27], 1, v2
                                        ; implicit-def: $vgpr2_vgpr3
	s_and_saveexec_b64 s[94:95], s[26:27]
	s_cbranch_execz .LBB4_215
; %bb.214:                              ;   in Loop: Header=BB4_199 Depth=2
	flat_load_dword v2, v[6:7] offset:4 glc
	s_waitcnt vmcnt(0) lgkmcnt(0)
	v_ashrrev_i32_e32 v3, 31, v2
.LBB4_215:                              ;   in Loop: Header=BB4_199 Depth=2
	s_or_b64 exec, exec, s[94:95]
	s_orn2_b64 s[26:27], vcc, exec
.LBB4_216:                              ;   in Loop: Header=BB4_199 Depth=2
	s_or_b64 exec, exec, s[92:93]
	s_and_saveexec_b64 s[92:93], s[26:27]
	s_cbranch_execz .LBB4_218
; %bb.217:                              ;   in Loop: Header=BB4_199 Depth=2
	buffer_load_dword v2, off, s[0:3], s33 offset:124 ; 4-byte Folded Reload
	s_waitcnt vmcnt(0)
	v_mad_i64_i32 v[2:3], s[8:9], v8, v2, 0
.LBB4_218:                              ;   in Loop: Header=BB4_199 Depth=2
	s_or_b64 exec, exec, s[92:93]
	buffer_load_dword v5, off, s[0:3], s33 offset:80 ; 4-byte Folded Reload
	buffer_load_dword v6, off, s[0:3], s33 offset:84 ; 4-byte Folded Reload
	s_waitcnt vmcnt(0)
	v_add_co_u32_e32 v2, vcc, v5, v2
	v_addc_co_u32_e32 v3, vcc, v6, v3, vcc
	ds_write_b64 v0, v[2:3] offset:784
	v_and_b32_e32 v2, 0x2000, v46
	v_cmp_ne_u32_e32 vcc, 0, v2
	s_and_saveexec_b64 s[26:27], vcc
	s_cbranch_execz .LBB4_220
; %bb.219:                              ;   in Loop: Header=BB4_199 Depth=2
	ds_read_b64 v[2:3], v0 offset:872
	s_waitcnt lgkmcnt(0)
	v_add_co_u32_e32 v2, vcc, 1, v2
	v_addc_co_u32_e32 v3, vcc, 0, v3, vcc
	ds_write_b64 v0, v[2:3] offset:872
.LBB4_220:                              ;   in Loop: Header=BB4_199 Depth=2
	s_or_b64 exec, exec, s[26:27]
	buffer_store_dword v0, off, s[0:3], s33 offset:56 ; 4-byte Folded Spill
	s_nop 0
	buffer_store_dword v1, off, s[0:3], s33 offset:60 ; 4-byte Folded Spill
.LBB4_221:                              ;   in Loop: Header=BB4_199 Depth=2
	s_or_b64 exec, exec, s[90:91]
	s_xor_b64 s[8:9], s[42:43], -1
	s_and_b64 s[8:9], exec, s[8:9]
	s_or_b64 s[40:41], s[8:9], s[40:41]
	s_and_saveexec_b64 s[26:27], s[10:11]
	s_cbranch_execz .LBB4_240
; %bb.222:                              ;   in Loop: Header=BB4_199 Depth=2
	s_and_saveexec_b64 s[8:9], s[58:59]
	s_xor_b64 s[42:43], exec, s[8:9]
	s_cbranch_execz .LBB4_237
; %bb.223:                              ;   in Loop: Header=BB4_199 Depth=2
	s_and_saveexec_b64 s[90:91], s[16:17]
	s_cbranch_execz .LBB4_236
; %bb.224:                              ;   in Loop: Header=BB4_199 Depth=2
	s_mov_b64 s[94:95], exec
	v_mbcnt_lo_u32_b32 v0, s94, 0
	v_mbcnt_hi_u32_b32 v0, s95, v0
	v_cmp_eq_u32_e32 vcc, 0, v0
	s_waitcnt vmcnt(0) lgkmcnt(0)
	buffer_wbinvl1_vol
	s_and_saveexec_b64 s[92:93], vcc
	s_cbranch_execz .LBB4_226
; %bb.225:                              ;   in Loop: Header=BB4_199 Depth=2
	s_bcnt1_i32_b64 s8, s[94:95]
	v_mov_b32_e32 v0, s8
	v_mov_b32_e32 v1, v61
	ds_add_u64 v0, v[0:1]
	s_trap 2
.LBB4_226:                              ;   in Loop: Header=BB4_199 Depth=2
	s_or_b64 exec, exec, s[92:93]
	s_trap 2
	ds_read_b64 v[0:1], v0
	s_waitcnt lgkmcnt(0)
	v_add_co_u32_e32 v40, vcc, v40, v21
	v_addc_co_u32_e32 v41, vcc, 0, v41, vcc
	v_cmp_lt_u64_e32 vcc, v[0:1], v[40:41]
	s_and_saveexec_b64 s[92:93], vcc
	s_cbranch_execz .LBB4_235
; %bb.227:                              ;   in Loop: Header=BB4_199 Depth=2
	s_mov_b32 s8, 0
	s_mov_b64 s[94:95], 0
                                        ; implicit-def: $sgpr30_sgpr31
                                        ; implicit-def: $sgpr34_sgpr35
	s_branch .LBB4_229
.LBB4_228:                              ;   in Loop: Header=BB4_229 Depth=3
	s_or_b64 exec, exec, s[38:39]
	s_and_b64 vcc, exec, vcc
	s_or_b64 s[94:95], vcc, s[94:95]
	s_andn2_b64 vcc, s[30:31], exec
	s_and_b64 s[30:31], s[34:35], exec
	s_or_b64 s[30:31], vcc, s[30:31]
	s_andn2_b64 exec, exec, s[94:95]
	s_cbranch_execz .LBB4_233
.LBB4_229:                              ;   Parent Loop BB4_47 Depth=1
                                        ;     Parent Loop BB4_199 Depth=2
                                        ; =>    This Inner Loop Header: Depth=3
	s_add_i32 s8, s8, 1
	s_cmpk_lg_i32 s8, 0x2710
	s_cselect_b64 s[36:37], -1, 0
	s_and_b64 vcc, exec, s[36:37]
	s_cbranch_vccz .LBB4_231
; %bb.230:                              ;   in Loop: Header=BB4_229 Depth=3
	s_mov_b64 vcc, -1
	s_or_b64 s[34:35], s[34:35], exec
	s_and_saveexec_b64 s[38:39], s[36:37]
	s_cbranch_execz .LBB4_228
	s_branch .LBB4_232
.LBB4_231:                              ;   in Loop: Header=BB4_229 Depth=3
	s_trap 2
	ds_read_b64 v[0:1], v0
	s_andn2_b64 s[36:37], s[36:37], exec
	s_mov_b32 s8, 0
	s_waitcnt lgkmcnt(0)
	flat_load_dword v0, v[0:1] glc
	s_waitcnt vmcnt(0) lgkmcnt(0)
	buffer_wbinvl1_vol
	v_cmp_eq_u32_e32 vcc, 0, v0
	s_and_b64 vcc, vcc, exec
	s_or_b64 s[36:37], s[36:37], vcc
	s_mov_b64 vcc, -1
	s_or_b64 s[34:35], s[34:35], exec
	s_and_saveexec_b64 s[38:39], s[36:37]
	s_cbranch_execz .LBB4_228
.LBB4_232:                              ;   in Loop: Header=BB4_229 Depth=3
	s_sleep 1
	s_trap 2
	ds_read_b64 v[0:1], v0
	s_waitcnt lgkmcnt(0)
	s_andn2_b64 s[34:35], s[34:35], exec
	v_cmp_ge_u64_e32 vcc, v[0:1], v[40:41]
	s_orn2_b64 vcc, vcc, exec
	s_branch .LBB4_228
.LBB4_233:                              ;   in Loop: Header=BB4_199 Depth=2
	s_or_b64 exec, exec, s[94:95]
	s_and_saveexec_b64 s[8:9], s[30:31]
	s_xor_b64 s[8:9], exec, s[8:9]
	s_cbranch_execz .LBB4_235
; %bb.234:                              ;   in Loop: Header=BB4_199 Depth=2
	v_mov_b32_e32 v0, 1
	ds_write_b32 v0, v0
	s_trap 2
.LBB4_235:                              ;   in Loop: Header=BB4_199 Depth=2
	s_or_b64 exec, exec, s[92:93]
	;;#ASMSTART
	s_wakeup
	;;#ASMEND
.LBB4_236:                              ;   in Loop: Header=BB4_199 Depth=2
	s_or_b64 exec, exec, s[90:91]
.LBB4_237:                              ;   in Loop: Header=BB4_199 Depth=2
	s_andn2_saveexec_b64 s[42:43], s[42:43]
	s_cbranch_execz .LBB4_239
; %bb.238:                              ;   in Loop: Header=BB4_199 Depth=2
	s_waitcnt vmcnt(0) lgkmcnt(0)
	buffer_wbinvl1_vol
	s_barrier
.LBB4_239:                              ;   in Loop: Header=BB4_199 Depth=2
	s_or_b64 exec, exec, s[42:43]
.LBB4_240:                              ;   in Loop: Header=BB4_199 Depth=2
	s_or_b64 exec, exec, s[26:27]
                                        ; implicit-def: $vgpr0
	s_and_saveexec_b64 s[8:9], s[24:25]
	s_xor_b64 s[26:27], exec, s[8:9]
	s_cbranch_execz .LBB4_245
; %bb.241:                              ;   in Loop: Header=BB4_199 Depth=2
	s_trap 2
	ds_read_b32 v0, v0
	v_cmp_lt_i32_e32 vcc, 0, v4
	v_and_b32_e32 v1, 16, v46
	s_waitcnt lgkmcnt(0)
	v_readfirstlane_b32 s8, v0
	s_cmp_eq_u32 s8, 0
	s_cselect_b64 s[8:9], -1, 0
	s_and_b64 s[8:9], vcc, s[8:9]
	v_cmp_ne_u32_e32 vcc, 0, v1
	v_and_b32_e32 v0, 16, v46
	s_and_b64 s[8:9], vcc, s[8:9]
	s_and_saveexec_b64 s[42:43], s[8:9]
	s_cbranch_execz .LBB4_243
; %bb.242:                              ;   in Loop: Header=BB4_199 Depth=2
	v_mov_b32_e32 v0, 1
	s_waitcnt vmcnt(0)
	buffer_wbinvl1_vol
.LBB4_243:                              ;   in Loop: Header=BB4_199 Depth=2
	s_or_b64 exec, exec, s[42:43]
	s_andn2_saveexec_b64 s[26:27], s[26:27]
	s_cbranch_execnz .LBB4_246
.LBB4_244:                              ;   in Loop: Header=BB4_199 Depth=2
	s_or_b64 exec, exec, s[26:27]
	v_cmp_ne_u32_e32 vcc, 0, v0
	s_and_saveexec_b64 s[26:27], vcc
	s_cbranch_execz .LBB4_198
	s_branch .LBB4_264
.LBB4_245:                              ;   in Loop: Header=BB4_199 Depth=2
	s_andn2_saveexec_b64 s[26:27], s[26:27]
	s_cbranch_execz .LBB4_244
.LBB4_246:                              ;   in Loop: Header=BB4_199 Depth=2
	s_and_saveexec_b64 s[8:9], s[58:59]
	s_xor_b64 s[42:43], exec, s[8:9]
	s_cbranch_execz .LBB4_261
; %bb.247:                              ;   in Loop: Header=BB4_199 Depth=2
	s_and_saveexec_b64 s[90:91], s[16:17]
	s_cbranch_execz .LBB4_260
; %bb.248:                              ;   in Loop: Header=BB4_199 Depth=2
	s_mov_b64 s[94:95], exec
	v_mbcnt_lo_u32_b32 v0, s94, 0
	v_mbcnt_hi_u32_b32 v0, s95, v0
	v_cmp_eq_u32_e32 vcc, 0, v0
	;;#ASMSTART
	s_waitcnt lgkmcnt(0) vmcnt(0)
	;;#ASMEND
	s_and_saveexec_b64 s[92:93], vcc
	s_cbranch_execz .LBB4_250
; %bb.249:                              ;   in Loop: Header=BB4_199 Depth=2
	s_bcnt1_i32_b64 s8, s[94:95]
	v_mov_b32_e32 v0, s8
	v_mov_b32_e32 v1, v61
	s_waitcnt lgkmcnt(0)
	ds_add_u64 v0, v[0:1]
	s_trap 2
.LBB4_250:                              ;   in Loop: Header=BB4_199 Depth=2
	s_or_b64 exec, exec, s[92:93]
	s_trap 2
	ds_read_b64 v[0:1], v0
	s_waitcnt lgkmcnt(0)
	v_add_co_u32_e32 v40, vcc, v40, v21
	v_addc_co_u32_e32 v41, vcc, 0, v41, vcc
	v_cmp_lt_u64_e32 vcc, v[0:1], v[40:41]
	s_and_saveexec_b64 s[92:93], vcc
	s_cbranch_execz .LBB4_259
; %bb.251:                              ;   in Loop: Header=BB4_199 Depth=2
	s_mov_b32 s8, 0
	s_mov_b64 s[94:95], 0
                                        ; implicit-def: $sgpr30_sgpr31
                                        ; implicit-def: $sgpr34_sgpr35
	s_branch .LBB4_253
.LBB4_252:                              ;   in Loop: Header=BB4_253 Depth=3
	s_or_b64 exec, exec, s[38:39]
	s_and_b64 vcc, exec, vcc
	s_or_b64 s[94:95], vcc, s[94:95]
	s_andn2_b64 vcc, s[30:31], exec
	s_and_b64 s[30:31], s[34:35], exec
	s_or_b64 s[30:31], vcc, s[30:31]
	s_andn2_b64 exec, exec, s[94:95]
	s_cbranch_execz .LBB4_257
.LBB4_253:                              ;   Parent Loop BB4_47 Depth=1
                                        ;     Parent Loop BB4_199 Depth=2
                                        ; =>    This Inner Loop Header: Depth=3
	s_add_i32 s8, s8, 1
	s_cmpk_lg_i32 s8, 0x2710
	s_cselect_b64 s[36:37], -1, 0
	s_and_b64 vcc, exec, s[36:37]
	s_cbranch_vccz .LBB4_255
; %bb.254:                              ;   in Loop: Header=BB4_253 Depth=3
	s_mov_b64 vcc, -1
	s_or_b64 s[34:35], s[34:35], exec
	s_and_saveexec_b64 s[38:39], s[36:37]
	s_cbranch_execz .LBB4_252
	s_branch .LBB4_256
.LBB4_255:                              ;   in Loop: Header=BB4_253 Depth=3
	s_trap 2
	ds_read_b64 v[0:1], v0
	s_andn2_b64 s[36:37], s[36:37], exec
	s_mov_b32 s8, 0
	s_waitcnt vmcnt(0) lgkmcnt(0)
	flat_load_dword v0, v[0:1] glc
	s_waitcnt vmcnt(0) lgkmcnt(0)
	buffer_wbinvl1_vol
	v_cmp_eq_u32_e32 vcc, 0, v0
	s_and_b64 vcc, vcc, exec
	s_or_b64 s[36:37], s[36:37], vcc
	s_mov_b64 vcc, -1
	s_or_b64 s[34:35], s[34:35], exec
	s_and_saveexec_b64 s[38:39], s[36:37]
	s_cbranch_execz .LBB4_252
.LBB4_256:                              ;   in Loop: Header=BB4_253 Depth=3
	s_sleep 1
	s_trap 2
	ds_read_b64 v[0:1], v0
	s_waitcnt lgkmcnt(0)
	s_andn2_b64 s[34:35], s[34:35], exec
	v_cmp_ge_u64_e32 vcc, v[0:1], v[40:41]
	s_orn2_b64 vcc, vcc, exec
	s_branch .LBB4_252
.LBB4_257:                              ;   in Loop: Header=BB4_199 Depth=2
	s_or_b64 exec, exec, s[94:95]
	s_and_saveexec_b64 s[8:9], s[30:31]
	s_xor_b64 s[8:9], exec, s[8:9]
	s_cbranch_execz .LBB4_259
; %bb.258:                              ;   in Loop: Header=BB4_199 Depth=2
	v_mov_b32_e32 v0, 1
	ds_write_b32 v0, v0
	s_trap 2
.LBB4_259:                              ;   in Loop: Header=BB4_199 Depth=2
	s_or_b64 exec, exec, s[92:93]
	;;#ASMSTART
	s_wakeup
	;;#ASMEND
.LBB4_260:                              ;   in Loop: Header=BB4_199 Depth=2
	s_or_b64 exec, exec, s[90:91]
.LBB4_261:                              ;   in Loop: Header=BB4_199 Depth=2
	s_andn2_saveexec_b64 s[42:43], s[42:43]
	s_cbranch_execz .LBB4_263
; %bb.262:                              ;   in Loop: Header=BB4_199 Depth=2
	;;#ASMSTART
	s_waitcnt lgkmcnt(0) vmcnt(0)
	;;#ASMEND
	s_waitcnt vmcnt(0) lgkmcnt(0)
	s_barrier
.LBB4_263:                              ;   in Loop: Header=BB4_199 Depth=2
	s_or_b64 exec, exec, s[42:43]
	v_and_b32_e32 v0, 16, v46
	s_or_b64 exec, exec, s[26:27]
	v_cmp_ne_u32_e32 vcc, 0, v0
	s_and_saveexec_b64 s[26:27], vcc
	s_cbranch_execz .LBB4_198
.LBB4_264:                              ;   in Loop: Header=BB4_199 Depth=2
	s_and_saveexec_b64 s[42:43], s[14:15]
	s_cbranch_execz .LBB4_197
; %bb.265:                              ;   in Loop: Header=BB4_199 Depth=2
	buffer_load_dword v0, off, s[0:3], s33 offset:104 ; 4-byte Folded Reload
	buffer_load_dword v1, off, s[0:3], s33 offset:108 ; 4-byte Folded Reload
	v_mov_b32_e32 v2, 1
	s_waitcnt vmcnt(0)
	flat_store_dword v[0:1], v2
	s_branch .LBB4_197
.LBB4_266:                              ;   in Loop: Header=BB4_47 Depth=1
	s_or_b64 exec, exec, s[40:41]
.LBB4_267:                              ;   in Loop: Header=BB4_47 Depth=1
	s_or_b64 exec, exec, s[28:29]
	v_cndmask_b32_e64 v0, 0, 1, s[72:73]
	v_cmp_ne_u32_e64 s[26:27], 1, v0
	s_andn2_b64 vcc, exec, s[72:73]
	s_cbranch_vccnz .LBB4_2868
; %bb.268:                              ;   in Loop: Header=BB4_47 Depth=1
	s_mov_b32 s9, 2
	s_branch .LBB4_271
.LBB4_269:                              ;   in Loop: Header=BB4_271 Depth=2
	s_or_b64 exec, exec, s[42:43]
.LBB4_270:                              ;   in Loop: Header=BB4_271 Depth=2
	s_or_b64 exec, exec, s[40:41]
	s_add_i32 s9, s9, 1
	s_cmp_eq_u32 s9, s66
	s_cbranch_scc1 .LBB4_2868
.LBB4_271:                              ;   Parent Loop BB4_47 Depth=1
                                        ; =>  This Loop Header: Depth=2
                                        ;       Child Loop BB4_274 Depth 3
                                        ;         Child Loop BB4_282 Depth 4
                                        ;         Child Loop BB4_310 Depth 4
	;; [unrolled: 1-line block ×9, first 2 shown]
                                        ;       Child Loop BB4_2796 Depth 3
                                        ;         Child Loop BB4_2802 Depth 4
                                        ;         Child Loop BB4_2830 Depth 4
	;; [unrolled: 1-line block ×3, first 2 shown]
	buffer_load_dword v2, off, s[0:3], s33 offset:240 ; 4-byte Folded Reload
	buffer_load_dword v3, off, s[0:3], s33 offset:244 ; 4-byte Folded Reload
	s_sub_i32 s8, s84, s9
	s_cmp_ge_i32 s8, s66
	s_cselect_b32 s28, s66, 0
	s_sub_i32 s8, s8, s28
	s_ashr_i32 s40, s8, 31
	v_mov_b32_e32 v38, 0
	s_waitcnt vmcnt(0)
	v_mad_u64_u32 v[4:5], s[28:29], v2, s8, 0
	v_mul_lo_u32 v0, v3, s8
	v_mul_lo_u32 v1, v2, s40
	v_add3_u32 v5, v5, v1, v0
	buffer_load_dword v0, off, s[0:3], s33 offset:232 ; 4-byte Folded Reload
	buffer_load_dword v1, off, s[0:3], s33 offset:236 ; 4-byte Folded Reload
	s_waitcnt vmcnt(0)
	v_sub_co_u32_e32 v0, vcc, v0, v4
	buffer_store_dword v4, off, s[0:3], s33 offset:184 ; 4-byte Folded Spill
	s_nop 0
	buffer_store_dword v5, off, s[0:3], s33 offset:188 ; 4-byte Folded Spill
	v_subb_co_u32_e32 v1, vcc, v1, v5, vcc
	v_cmp_lt_i64_e32 vcc, v[2:3], v[0:1]
	v_cndmask_b32_e32 v0, v0, v2, vcc
	v_max_i32_e32 v59, 0, v0
	v_add_u32_e32 v1, 31, v59
	v_lshrrev_b32_e32 v1, 1, v1
	v_and_b32_e32 v1, 0x3ffffff0, v1
	v_cmp_lt_i32_e32 vcc, 0, v0
	v_max_i32_e32 v44, s87, v1
	s_and_b64 s[28:29], s[76:77], vcc
	v_mov_b32_e32 v0, 0
	s_and_saveexec_b64 s[90:91], s[28:29]
	s_cbranch_execz .LBB4_2793
; %bb.272:                              ;   in Loop: Header=BB4_271 Depth=2
	s_mov_b32 s8, 1
	s_mov_b64 s[94:95], -1
	v_mov_b32_e32 v38, 0
	s_mov_b64 s[92:93], 0
	buffer_store_dword v59, off, s[0:3], s33 offset:192 ; 4-byte Folded Spill
	s_branch .LBB4_274
.LBB4_273:                              ;   in Loop: Header=BB4_274 Depth=3
	s_or_b64 exec, exec, s[28:29]
	v_add_u32_e32 v38, v44, v38
	v_cmp_ge_i32_e32 vcc, v38, v59
	s_xor_b64 s[28:29], s[94:95], -1
	s_or_b64 s[28:29], s[28:29], vcc
	s_and_b64 s[28:29], exec, s[28:29]
	s_or_b64 s[92:93], s[28:29], s[92:93]
	s_mov_b64 s[94:95], 0
	v_mov_b32_e32 v0, s8
	s_mov_b32 s8, 2
	s_andn2_b64 exec, exec, s[92:93]
	s_cbranch_execz .LBB4_2792
.LBB4_274:                              ;   Parent Loop BB4_47 Depth=1
                                        ;     Parent Loop BB4_271 Depth=2
                                        ; =>    This Loop Header: Depth=3
                                        ;         Child Loop BB4_282 Depth 4
                                        ;         Child Loop BB4_310 Depth 4
	;; [unrolled: 1-line block ×9, first 2 shown]
	s_and_saveexec_b64 s[28:29], s[4:5]
	s_cbranch_execz .LBB4_276
; %bb.275:                              ;   in Loop: Header=BB4_274 Depth=3
	s_trap 2
	buffer_load_dword v2, off, s[0:3], s33 offset:176 ; 4-byte Folded Reload
	ds_read_b64 v[0:1], v0
	s_waitcnt vmcnt(0) lgkmcnt(0)
	v_add_co_u32_e32 v0, vcc, v0, v2
	buffer_load_dword v2, off, s[0:3], s33 offset:180 ; 4-byte Folded Reload
	s_waitcnt vmcnt(0)
	v_addc_co_u32_e32 v1, vcc, v1, v2, vcc
	buffer_load_dword v2, off, s[0:3], s33 offset:184 ; 4-byte Folded Reload
	buffer_load_dword v3, off, s[0:3], s33 offset:188 ; 4-byte Folded Reload
	s_waitcnt vmcnt(1)
	v_add_co_u32_e32 v0, vcc, v0, v2
	s_waitcnt vmcnt(0)
	v_addc_co_u32_e32 v1, vcc, v1, v3, vcc
	v_ashrrev_i32_e32 v2, 31, v38
	v_add_co_u32_e32 v0, vcc, v0, v38
	v_addc_co_u32_e32 v1, vcc, v1, v2, vcc
	ds_write_b64 v0, v[0:1]
	v_mov_b32_e32 v0, v61
	v_mov_b32_e32 v1, v61
	ds_write_b64 v0, v[0:1]
.LBB4_276:                              ;   in Loop: Header=BB4_274 Depth=3
	s_or_b64 exec, exec, s[28:29]
	v_sub_u32_e32 v0, v59, v38
	v_min_i32_e32 v44, v44, v0
	v_and_b32_e32 v0, 12, v46
	v_cmp_ne_u32_e32 vcc, 0, v0
	s_and_saveexec_b64 s[40:41], vcc
	s_cbranch_execz .LBB4_302
; %bb.277:                              ;   in Loop: Header=BB4_274 Depth=3
	buffer_load_dword v0, off, s[0:3], s33 offset:56 ; 4-byte Folded Reload
	buffer_load_dword v1, off, s[0:3], s33 offset:60 ; 4-byte Folded Reload
	v_and_b32_e32 v8, 8, v46
	s_waitcnt lgkmcnt(0)
	v_add_co_u32_e32 v2, vcc, v48, v8
	v_addc_co_u32_e32 v3, vcc, 0, v49, vcc
	s_waitcnt vmcnt(0)
	v_add_co_u32_e32 v0, vcc, 2, v0
	s_waitcnt vmcnt(0)
	v_addc_co_u32_e32 v1, vcc, 0, v1, vcc
	v_cmp_lt_u64_e32 vcc, v[2:3], v[0:1]
	s_and_saveexec_b64 s[42:43], vcc
	s_cbranch_execz .LBB4_289
; %bb.278:                              ;   in Loop: Header=BB4_274 Depth=3
	v_and_b32_e32 v2, 64, v46
	s_mov_b32 s83, 0
	v_cmp_eq_u32_e32 vcc, 0, v2
	s_mov_b64 s[30:31], 0
                                        ; implicit-def: $sgpr34_sgpr35
                                        ; implicit-def: $sgpr36_sgpr37
                                        ; implicit-def: $sgpr38_sgpr39
	s_branch .LBB4_282
.LBB4_279:                              ;   in Loop: Header=BB4_282 Depth=4
	s_waitcnt vmcnt(0) lgkmcnt(0)
	v_add_co_u32_e64 v3, s[28:29], v48, v8
	v_addc_co_u32_e64 v4, s[28:29], 0, v49, s[28:29]
	v_cmp_ge_u64_e64 s[28:29], v[3:4], v[0:1]
	s_or_b64 s[52:53], s[52:53], exec
	s_orn2_b64 s[50:51], s[28:29], exec
.LBB4_280:                              ;   in Loop: Header=BB4_282 Depth=4
	s_or_b64 exec, exec, s[64:65]
	s_andn2_b64 s[28:29], s[38:39], exec
	s_and_b64 s[38:39], s[52:53], exec
	s_or_b64 s[38:39], s[28:29], s[38:39]
	s_andn2_b64 s[28:29], s[36:37], exec
	s_and_b64 s[36:37], s[50:51], exec
	s_or_b64 s[36:37], s[28:29], s[36:37]
.LBB4_281:                              ;   in Loop: Header=BB4_282 Depth=4
	s_or_b64 exec, exec, s[48:49]
	s_and_b64 s[28:29], exec, s[36:37]
	s_or_b64 s[30:31], s[28:29], s[30:31]
	s_andn2_b64 s[28:29], s[34:35], exec
	s_and_b64 s[34:35], s[38:39], exec
	s_or_b64 s[34:35], s[28:29], s[34:35]
	s_andn2_b64 exec, exec, s[30:31]
	s_cbranch_execz .LBB4_286
.LBB4_282:                              ;   Parent Loop BB4_47 Depth=1
                                        ;     Parent Loop BB4_271 Depth=2
                                        ;       Parent Loop BB4_274 Depth=3
                                        ; =>      This Inner Loop Header: Depth=4
	s_sleep 1
	s_waitcnt vmcnt(0) lgkmcnt(0)
	flat_load_dwordx2 v[48:49], v[32:33] glc
	s_or_b64 s[38:39], s[38:39], exec
	s_or_b64 s[36:37], s[36:37], exec
                                        ; implicit-def: $vgpr2
	s_and_saveexec_b64 s[48:49], vcc
	s_cbranch_execz .LBB4_281
; %bb.283:                              ;   in Loop: Header=BB4_282 Depth=4
	s_cmpk_lt_i32 s83, 0x270f
	s_cselect_b64 s[54:55], -1, 0
	s_cmpk_gt_i32 s83, 0x270e
	s_mov_b64 s[50:51], -1
	s_cbranch_scc0 .LBB4_285
; %bb.284:                              ;   in Loop: Header=BB4_282 Depth=4
	s_trap 2
	ds_read_b64 v[2:3], v0
	s_andn2_b64 s[54:55], s[54:55], exec
	s_mov_b32 s83, 0
	s_mov_b64 s[52:53], 0
	s_waitcnt vmcnt(0) lgkmcnt(0)
	flat_load_dword v2, v[2:3] glc
	s_waitcnt vmcnt(0) lgkmcnt(0)
	buffer_wbinvl1_vol
	v_cmp_eq_u32_e64 s[28:29], 0, v2
	s_and_b64 s[28:29], s[28:29], exec
	s_or_b64 s[54:55], s[54:55], s[28:29]
	s_and_saveexec_b64 s[64:65], s[54:55]
	s_cbranch_execz .LBB4_280
	s_branch .LBB4_279
.LBB4_285:                              ;   in Loop: Header=BB4_282 Depth=4
	s_add_i32 s83, s83, 1
	s_mov_b64 s[52:53], -1
                                        ; implicit-def: $vgpr2
	s_and_saveexec_b64 s[64:65], s[54:55]
	s_cbranch_execz .LBB4_280
	s_branch .LBB4_279
.LBB4_286:                              ;   in Loop: Header=BB4_274 Depth=3
	s_or_b64 exec, exec, s[30:31]
	s_xor_b64 s[28:29], s[34:35], -1
	s_and_saveexec_b64 vcc, s[28:29]
	s_xor_b64 s[28:29], exec, vcc
	s_cbranch_execz .LBB4_288
; %bb.287:                              ;   in Loop: Header=BB4_274 Depth=3
	v_or_b32_e32 v46, 64, v46
	s_waitcnt lgkmcnt(0)
	ds_write_b32 v0, v2
	s_trap 2
.LBB4_288:                              ;   in Loop: Header=BB4_274 Depth=3
	s_or_b64 exec, exec, s[28:29]
.LBB4_289:                              ;   in Loop: Header=BB4_274 Depth=3
	s_or_b64 exec, exec, s[42:43]
	v_and_b32_e32 v2, 0x108, v46
	v_cmp_ne_u32_e32 vcc, s69, v2
	;;#ASMSTART
	s_wakeup
	;;#ASMEND
                                        ; implicit-def: $vgpr2_vgpr3
	s_and_saveexec_b64 s[28:29], vcc
	s_xor_b64 s[28:29], exec, s[28:29]
	s_cbranch_execz .LBB4_291
; %bb.290:                              ;   in Loop: Header=BB4_274 Depth=3
	buffer_load_dword v2, off, s[0:3], s33 offset:56 ; 4-byte Folded Reload
	buffer_load_dword v3, off, s[0:3], s33 offset:60 ; 4-byte Folded Reload
	s_waitcnt vmcnt(0)
	v_mov_b32_e32 v3, v61
                                        ; implicit-def: $vgpr4_vgpr5
                                        ; kill: killed $vgpr4_vgpr5
	v_and_b32_e32 v2, 7, v2
.LBB4_291:                              ;   in Loop: Header=BB4_274 Depth=3
	s_andn2_saveexec_b64 s[28:29], s[28:29]
	s_cbranch_execz .LBB4_293
; %bb.292:                              ;   in Loop: Header=BB4_274 Depth=3
	buffer_load_dword v2, off, s[0:3], s33 offset:56 ; 4-byte Folded Reload
	buffer_load_dword v3, off, s[0:3], s33 offset:60 ; 4-byte Folded Reload
	;; [unrolled: 1-line block ×6, first 2 shown]
	v_ashrrev_i32_e32 v45, 31, v44
	s_waitcnt vmcnt(0)
	v_and_b32_e32 v2, 7, v2
	v_mad_u64_u32 v[4:5], s[42:43], v2, 24, v[3:4]
	v_mov_b32_e32 v3, v61
	flat_store_dwordx2 v[4:5], v[44:45] offset:8
.LBB4_293:                              ;   in Loop: Header=BB4_274 Depth=3
	s_or_b64 exec, exec, s[28:29]
	v_and_b32_e32 v4, 0x100, v46
	v_cmp_ne_u32_e32 vcc, 0, v4
	s_mov_b64 s[28:29], -1
                                        ; implicit-def: $vgpr4_vgpr5
	s_and_saveexec_b64 s[42:43], vcc
	s_cbranch_execz .LBB4_297
; %bb.294:                              ;   in Loop: Header=BB4_274 Depth=3
	buffer_load_dword v4, off, s[0:3], s33 offset:88 ; 4-byte Folded Reload
	buffer_load_dword v5, off, s[0:3], s33 offset:92 ; 4-byte Folded Reload
	buffer_load_dword v6, off, s[0:3], s33 offset:96 ; 4-byte Folded Reload
	buffer_load_dword v7, off, s[0:3], s33 offset:100 ; 4-byte Folded Reload
	s_waitcnt vmcnt(0)
	v_mad_u64_u32 v[6:7], s[28:29], v2, 24, v[4:5]
	v_mov_b32_e32 v4, v7
	v_mad_u64_u32 v[4:5], s[28:29], v3, 24, v[4:5]
	v_mov_b32_e32 v7, v4
	flat_load_dword v4, v[6:7]
	s_waitcnt vmcnt(0) lgkmcnt(0)
	v_cmp_ne_u32_e32 vcc, 1, v4
	v_cmp_eq_u32_e64 s[28:29], 1, v4
                                        ; implicit-def: $vgpr4_vgpr5
	s_and_saveexec_b64 s[30:31], s[28:29]
	s_cbranch_execz .LBB4_296
; %bb.295:                              ;   in Loop: Header=BB4_274 Depth=3
	flat_load_dword v4, v[6:7] offset:4 glc
	s_waitcnt vmcnt(0) lgkmcnt(0)
	v_ashrrev_i32_e32 v5, 31, v4
.LBB4_296:                              ;   in Loop: Header=BB4_274 Depth=3
	s_or_b64 exec, exec, s[30:31]
	s_orn2_b64 s[28:29], vcc, exec
.LBB4_297:                              ;   in Loop: Header=BB4_274 Depth=3
	s_or_b64 exec, exec, s[42:43]
	s_and_saveexec_b64 s[42:43], s[28:29]
	s_cbranch_execz .LBB4_299
; %bb.298:                              ;   in Loop: Header=BB4_274 Depth=3
	buffer_load_dword v4, off, s[0:3], s33 offset:124 ; 4-byte Folded Reload
	buffer_load_dword v5, off, s[0:3], s33 offset:144 ; 4-byte Folded Reload
	s_waitcnt vmcnt(0)
	v_mul_lo_u32 v3, v3, v4
	v_mul_lo_u32 v6, v2, v5
	v_mad_u64_u32 v[4:5], s[28:29], v2, v4, 0
	v_add3_u32 v5, v5, v6, v3
.LBB4_299:                              ;   in Loop: Header=BB4_274 Depth=3
	s_or_b64 exec, exec, s[42:43]
	v_cmp_eq_u32_e32 vcc, 0, v8
	v_mov_b32_e32 v2, 0xc8
	v_mov_b32_e32 v3, 0x90
	v_cndmask_b32_e32 v6, v2, v3, vcc
	buffer_load_dword v2, off, s[0:3], s33 offset:80 ; 4-byte Folded Reload
	buffer_load_dword v3, off, s[0:3], s33 offset:84 ; 4-byte Folded Reload
	s_waitcnt vmcnt(0)
	v_add_co_u32_e32 v2, vcc, v2, v4
	v_addc_co_u32_e32 v3, vcc, v3, v5, vcc
	v_add_u32_e32 v4, v0, v6
	ds_write_b64 v4, v[2:3] offset:584
	v_and_b32_e32 v2, 0x2000, v46
	v_cmp_ne_u32_e32 vcc, 0, v2
	s_and_saveexec_b64 s[28:29], vcc
	s_cbranch_execz .LBB4_301
; %bb.300:                              ;   in Loop: Header=BB4_274 Depth=3
	ds_read_b64 v[2:3], v0 offset:872
	s_waitcnt lgkmcnt(0)
	v_add_co_u32_e32 v2, vcc, 1, v2
	v_addc_co_u32_e32 v3, vcc, 0, v3, vcc
	ds_write_b64 v0, v[2:3] offset:872
.LBB4_301:                              ;   in Loop: Header=BB4_274 Depth=3
	s_or_b64 exec, exec, s[28:29]
	buffer_store_dword v0, off, s[0:3], s33 offset:56 ; 4-byte Folded Spill
	s_nop 0
	buffer_store_dword v1, off, s[0:3], s33 offset:60 ; 4-byte Folded Spill
.LBB4_302:                              ;   in Loop: Header=BB4_274 Depth=3
	s_or_b64 exec, exec, s[40:41]
	s_and_saveexec_b64 s[28:29], s[10:11]
	s_cbranch_execz .LBB4_321
; %bb.303:                              ;   in Loop: Header=BB4_274 Depth=3
	s_and_saveexec_b64 s[40:41], s[58:59]
	s_xor_b64 s[40:41], exec, s[40:41]
	s_cbranch_execz .LBB4_318
; %bb.304:                              ;   in Loop: Header=BB4_274 Depth=3
	s_and_saveexec_b64 s[42:43], s[16:17]
	s_cbranch_execz .LBB4_317
; %bb.305:                              ;   in Loop: Header=BB4_274 Depth=3
	s_mov_b64 s[34:35], exec
	v_mbcnt_lo_u32_b32 v0, s34, 0
	v_mbcnt_hi_u32_b32 v0, s35, v0
	v_cmp_eq_u32_e32 vcc, 0, v0
	s_waitcnt vmcnt(0) lgkmcnt(0)
	buffer_wbinvl1_vol
	s_and_saveexec_b64 s[30:31], vcc
	s_cbranch_execz .LBB4_307
; %bb.306:                              ;   in Loop: Header=BB4_274 Depth=3
	s_bcnt1_i32_b64 vcc_lo, s[34:35]
	v_mov_b32_e32 v0, vcc_lo
	v_mov_b32_e32 v1, v61
	ds_add_u64 v0, v[0:1]
	s_trap 2
.LBB4_307:                              ;   in Loop: Header=BB4_274 Depth=3
	s_or_b64 exec, exec, s[30:31]
	s_trap 2
	ds_read_b64 v[0:1], v0
	s_waitcnt lgkmcnt(0)
	v_mov_b32_e32 v2, v40
	v_mov_b32_e32 v3, v41
	v_add_co_u32_e32 v2, vcc, v2, v21
	v_addc_co_u32_e32 v3, vcc, 0, v3, vcc
	v_mov_b32_e32 v41, v3
	v_cmp_lt_u64_e32 vcc, v[0:1], v[2:3]
	v_mov_b32_e32 v40, v2
	s_and_saveexec_b64 s[30:31], vcc
	s_cbranch_execz .LBB4_316
; %bb.308:                              ;   in Loop: Header=BB4_274 Depth=3
	s_mov_b32 s52, 0
	s_mov_b64 s[34:35], 0
                                        ; implicit-def: $sgpr36_sgpr37
                                        ; implicit-def: $sgpr38_sgpr39
	s_branch .LBB4_310
.LBB4_309:                              ;   in Loop: Header=BB4_310 Depth=4
	s_or_b64 exec, exec, s[50:51]
	s_and_b64 vcc, exec, vcc
	s_or_b64 s[34:35], vcc, s[34:35]
	s_andn2_b64 vcc, s[36:37], exec
	s_and_b64 s[36:37], s[38:39], exec
	s_or_b64 s[36:37], vcc, s[36:37]
	s_andn2_b64 exec, exec, s[34:35]
	s_cbranch_execz .LBB4_314
.LBB4_310:                              ;   Parent Loop BB4_47 Depth=1
                                        ;     Parent Loop BB4_271 Depth=2
                                        ;       Parent Loop BB4_274 Depth=3
                                        ; =>      This Inner Loop Header: Depth=4
	s_add_i32 s52, s52, 1
	s_cmpk_lg_i32 s52, 0x2710
	s_cselect_b64 s[48:49], -1, 0
	s_and_b64 vcc, exec, s[48:49]
	s_cbranch_vccz .LBB4_312
; %bb.311:                              ;   in Loop: Header=BB4_310 Depth=4
	s_mov_b64 vcc, -1
	s_or_b64 s[38:39], s[38:39], exec
	s_and_saveexec_b64 s[50:51], s[48:49]
	s_cbranch_execz .LBB4_309
	s_branch .LBB4_313
.LBB4_312:                              ;   in Loop: Header=BB4_310 Depth=4
	s_trap 2
	ds_read_b64 v[0:1], v0
	s_andn2_b64 s[48:49], s[48:49], exec
	s_mov_b32 s52, 0
	s_waitcnt lgkmcnt(0)
	flat_load_dword v0, v[0:1] glc
	s_waitcnt vmcnt(0) lgkmcnt(0)
	buffer_wbinvl1_vol
	v_cmp_eq_u32_e32 vcc, 0, v0
	s_and_b64 vcc, vcc, exec
	s_or_b64 s[48:49], s[48:49], vcc
	s_mov_b64 vcc, -1
	s_or_b64 s[38:39], s[38:39], exec
	s_and_saveexec_b64 s[50:51], s[48:49]
	s_cbranch_execz .LBB4_309
.LBB4_313:                              ;   in Loop: Header=BB4_310 Depth=4
	s_sleep 1
	s_trap 2
	ds_read_b64 v[0:1], v0
	s_waitcnt lgkmcnt(0)
	s_andn2_b64 s[38:39], s[38:39], exec
	v_cmp_ge_u64_e32 vcc, v[0:1], v[40:41]
	s_orn2_b64 vcc, vcc, exec
	s_branch .LBB4_309
.LBB4_314:                              ;   in Loop: Header=BB4_274 Depth=3
	s_or_b64 exec, exec, s[34:35]
	s_and_saveexec_b64 vcc, s[36:37]
	s_xor_b64 vcc, exec, vcc
	s_cbranch_execz .LBB4_316
; %bb.315:                              ;   in Loop: Header=BB4_274 Depth=3
	v_mov_b32_e32 v0, 1
	ds_write_b32 v0, v0
	s_trap 2
.LBB4_316:                              ;   in Loop: Header=BB4_274 Depth=3
	s_or_b64 exec, exec, s[30:31]
	;;#ASMSTART
	s_wakeup
	;;#ASMEND
.LBB4_317:                              ;   in Loop: Header=BB4_274 Depth=3
	s_or_b64 exec, exec, s[42:43]
.LBB4_318:                              ;   in Loop: Header=BB4_274 Depth=3
	s_andn2_saveexec_b64 s[40:41], s[40:41]
	s_cbranch_execz .LBB4_320
; %bb.319:                              ;   in Loop: Header=BB4_274 Depth=3
	s_waitcnt vmcnt(0) lgkmcnt(0)
	buffer_wbinvl1_vol
	s_barrier
.LBB4_320:                              ;   in Loop: Header=BB4_274 Depth=3
	s_or_b64 exec, exec, s[40:41]
.LBB4_321:                              ;   in Loop: Header=BB4_274 Depth=3
	s_or_b64 exec, exec, s[28:29]
	s_trap 2
	ds_read_b32 v0, v0
	v_and_b32_e32 v1, 0x4000, v46
	v_cmp_ne_u32_e32 vcc, 0, v1
	s_xor_b64 s[28:29], s[6:7], -1
	s_and_b64 s[40:41], s[28:29], vcc
	s_and_saveexec_b64 s[28:29], s[40:41]
	s_cbranch_execz .LBB4_340
; %bb.322:                              ;   in Loop: Header=BB4_274 Depth=3
	s_and_saveexec_b64 s[40:41], s[58:59]
	s_xor_b64 s[40:41], exec, s[40:41]
	s_cbranch_execz .LBB4_337
; %bb.323:                              ;   in Loop: Header=BB4_274 Depth=3
	s_and_saveexec_b64 s[42:43], s[16:17]
	s_cbranch_execz .LBB4_336
; %bb.324:                              ;   in Loop: Header=BB4_274 Depth=3
	s_mov_b64 s[34:35], exec
	v_mbcnt_lo_u32_b32 v1, s34, 0
	v_mbcnt_hi_u32_b32 v1, s35, v1
	v_cmp_eq_u32_e32 vcc, 0, v1
	s_waitcnt vmcnt(0) lgkmcnt(0)
	buffer_wbinvl1_vol
	s_and_saveexec_b64 s[30:31], vcc
	s_cbranch_execz .LBB4_326
; %bb.325:                              ;   in Loop: Header=BB4_274 Depth=3
	s_bcnt1_i32_b64 vcc_lo, s[34:35]
	v_mov_b32_e32 v1, vcc_lo
	v_mov_b32_e32 v2, v61
	ds_add_u64 v0, v[1:2]
	s_trap 2
.LBB4_326:                              ;   in Loop: Header=BB4_274 Depth=3
	s_or_b64 exec, exec, s[30:31]
	s_trap 2
	ds_read_b64 v[1:2], v0
	s_waitcnt lgkmcnt(0)
	v_mov_b32_e32 v3, v40
	v_mov_b32_e32 v4, v41
	v_add_co_u32_e32 v3, vcc, v3, v21
	v_addc_co_u32_e32 v4, vcc, 0, v4, vcc
	v_mov_b32_e32 v41, v4
	v_cmp_lt_u64_e32 vcc, v[1:2], v[3:4]
	v_mov_b32_e32 v40, v3
	s_and_saveexec_b64 s[30:31], vcc
	s_cbranch_execz .LBB4_335
; %bb.327:                              ;   in Loop: Header=BB4_274 Depth=3
	s_mov_b32 s52, 0
	s_mov_b64 s[34:35], 0
                                        ; implicit-def: $sgpr36_sgpr37
                                        ; implicit-def: $sgpr38_sgpr39
	s_branch .LBB4_329
.LBB4_328:                              ;   in Loop: Header=BB4_329 Depth=4
	s_or_b64 exec, exec, s[50:51]
	s_and_b64 vcc, exec, vcc
	s_or_b64 s[34:35], vcc, s[34:35]
	s_andn2_b64 vcc, s[36:37], exec
	s_and_b64 s[36:37], s[38:39], exec
	s_or_b64 s[36:37], vcc, s[36:37]
	s_andn2_b64 exec, exec, s[34:35]
	s_cbranch_execz .LBB4_333
.LBB4_329:                              ;   Parent Loop BB4_47 Depth=1
                                        ;     Parent Loop BB4_271 Depth=2
                                        ;       Parent Loop BB4_274 Depth=3
                                        ; =>      This Inner Loop Header: Depth=4
	s_add_i32 s52, s52, 1
	s_cmpk_lg_i32 s52, 0x2710
	s_cselect_b64 s[48:49], -1, 0
	s_and_b64 vcc, exec, s[48:49]
	s_cbranch_vccz .LBB4_331
; %bb.330:                              ;   in Loop: Header=BB4_329 Depth=4
	s_mov_b64 vcc, -1
	s_or_b64 s[38:39], s[38:39], exec
	s_and_saveexec_b64 s[50:51], s[48:49]
	s_cbranch_execz .LBB4_328
	s_branch .LBB4_332
.LBB4_331:                              ;   in Loop: Header=BB4_329 Depth=4
	s_trap 2
	ds_read_b64 v[1:2], v0
	s_andn2_b64 s[48:49], s[48:49], exec
	s_mov_b32 s52, 0
	s_waitcnt lgkmcnt(0)
	flat_load_dword v1, v[1:2] glc
	s_waitcnt vmcnt(0) lgkmcnt(0)
	buffer_wbinvl1_vol
	v_cmp_eq_u32_e32 vcc, 0, v1
	s_and_b64 vcc, vcc, exec
	s_or_b64 s[48:49], s[48:49], vcc
	s_mov_b64 vcc, -1
	s_or_b64 s[38:39], s[38:39], exec
	s_and_saveexec_b64 s[50:51], s[48:49]
	s_cbranch_execz .LBB4_328
.LBB4_332:                              ;   in Loop: Header=BB4_329 Depth=4
	s_sleep 1
	s_trap 2
	ds_read_b64 v[1:2], v0
	s_waitcnt lgkmcnt(0)
	s_andn2_b64 s[38:39], s[38:39], exec
	v_cmp_ge_u64_e32 vcc, v[1:2], v[40:41]
	s_orn2_b64 vcc, vcc, exec
	s_branch .LBB4_328
.LBB4_333:                              ;   in Loop: Header=BB4_274 Depth=3
	s_or_b64 exec, exec, s[34:35]
	s_and_saveexec_b64 vcc, s[36:37]
	s_xor_b64 vcc, exec, vcc
	s_cbranch_execz .LBB4_335
; %bb.334:                              ;   in Loop: Header=BB4_274 Depth=3
	v_mov_b32_e32 v1, 1
	ds_write_b32 v0, v1
	s_trap 2
.LBB4_335:                              ;   in Loop: Header=BB4_274 Depth=3
	s_or_b64 exec, exec, s[30:31]
	;;#ASMSTART
	s_wakeup
	;;#ASMEND
.LBB4_336:                              ;   in Loop: Header=BB4_274 Depth=3
	s_or_b64 exec, exec, s[42:43]
.LBB4_337:                              ;   in Loop: Header=BB4_274 Depth=3
	s_andn2_saveexec_b64 s[40:41], s[40:41]
	s_cbranch_execz .LBB4_339
; %bb.338:                              ;   in Loop: Header=BB4_274 Depth=3
	s_waitcnt vmcnt(0) lgkmcnt(0)
	buffer_wbinvl1_vol
	s_barrier
.LBB4_339:                              ;   in Loop: Header=BB4_274 Depth=3
	s_or_b64 exec, exec, s[40:41]
.LBB4_340:                              ;   in Loop: Header=BB4_274 Depth=3
	s_or_b64 exec, exec, s[28:29]
	s_trap 2
	s_waitcnt lgkmcnt(0)
	ds_read_b64 v[1:2], v0
	s_waitcnt lgkmcnt(0)
	v_cmp_eq_u64_e32 vcc, 0, v[1:2]
	s_cbranch_vccnz .LBB4_348
; %bb.341:                              ;   in Loop: Header=BB4_274 Depth=3
	buffer_store_dword v1, off, s[0:3], s33 offset:152 ; 4-byte Folded Spill
	s_nop 0
	buffer_store_dword v2, off, s[0:3], s33 offset:156 ; 4-byte Folded Spill
	s_trap 2
	ds_read_b64 v[3:4], v0
	s_waitcnt lgkmcnt(0)
	v_cmp_eq_u64_e32 vcc, 0, v[3:4]
	s_cbranch_vccnz .LBB4_348
; %bb.342:                              ;   in Loop: Header=BB4_274 Depth=3
	s_mov_b64 s[40:41], -1
	s_and_saveexec_b64 s[28:29], s[22:23]
	s_cbranch_execz .LBB4_344
; %bb.343:                              ;   in Loop: Header=BB4_274 Depth=3
	ds_read_b32 v1, v0 offset:720
	s_waitcnt lgkmcnt(0)
	v_and_b32_e32 v1, 15, v1
	v_cmp_eq_u32_e32 vcc, 0, v1
	s_orn2_b64 s[40:41], vcc, exec
.LBB4_344:                              ;   in Loop: Header=BB4_274 Depth=3
	s_or_b64 exec, exec, s[28:29]
	s_and_saveexec_b64 s[28:29], s[20:21]
	s_cbranch_execz .LBB4_346
; %bb.345:                              ;   in Loop: Header=BB4_274 Depth=3
	ds_read_b32 v1, v0 offset:784
	s_waitcnt lgkmcnt(0)
	v_and_b32_e32 v1, 15, v1
	v_cmp_eq_u32_e32 vcc, 0, v1
	s_and_b64 s[42:43], s[40:41], vcc
	s_andn2_b64 s[40:41], s[40:41], exec
	s_and_b64 s[42:43], s[42:43], exec
	s_or_b64 s[40:41], s[40:41], s[42:43]
.LBB4_346:                              ;   in Loop: Header=BB4_274 Depth=3
	s_or_b64 exec, exec, s[28:29]
	v_cmp_eq_u32_e32 vcc, 0, v0
	v_cndmask_b32_e32 v1, 0, v44, vcc
	s_xor_b64 s[40:41], s[40:41], -1
	v_cndmask_b32_e64 v0, 0, 1, s[40:41]
	buffer_store_dword v1, off, s[0:3], s33 offset:116 ; 4-byte Folded Spill
	v_cmp_ne_u32_e32 vcc, 0, v0
	buffer_load_dword v2, off, s[0:3], s33 offset:148 ; 4-byte Folded Reload
	buffer_load_dword v0, off, s[0:3], s33 offset:112 ; 4-byte Folded Reload
	s_mov_b64 s[28:29], -1
	v_mov_b32_e32 v8, 0
	v_mov_b32_e32 v9, v1
	s_cbranch_vccz .LBB4_353
; %bb.347:                              ;   in Loop: Header=BB4_274 Depth=3
	s_and_saveexec_b64 s[40:41], s[28:29]
	s_cbranch_execnz .LBB4_2062
	s_branch .LBB4_2750
.LBB4_348:                              ;   in Loop: Header=BB4_274 Depth=3
	s_mov_b64 s[28:29], 0
	s_and_saveexec_b64 s[40:41], s[10:11]
	s_cbranch_execnz .LBB4_2751
.LBB4_349:                              ;   in Loop: Header=BB4_274 Depth=3
	s_or_b64 exec, exec, s[40:41]
                                        ; implicit-def: $vgpr0
	s_and_saveexec_b64 s[40:41], s[24:25]
	s_xor_b64 s[40:41], exec, s[40:41]
	s_cbranch_execz .LBB4_2769
.LBB4_350:                              ;   in Loop: Header=BB4_274 Depth=3
	v_and_b32_e32 v1, 16, v46
	v_cmp_ne_u32_e32 vcc, 0, v1
	v_and_b32_e32 v0, 16, v46
	s_and_b64 s[42:43], vcc, s[28:29]
	s_and_saveexec_b64 s[28:29], s[42:43]
	s_cbranch_execz .LBB4_352
; %bb.351:                              ;   in Loop: Header=BB4_274 Depth=3
	v_mov_b32_e32 v0, 1
	s_waitcnt vmcnt(0) lgkmcnt(0)
	buffer_wbinvl1_vol
.LBB4_352:                              ;   in Loop: Header=BB4_274 Depth=3
	s_or_b64 exec, exec, s[28:29]
	s_andn2_saveexec_b64 s[28:29], s[40:41]
	s_cbranch_execz .LBB4_2788
	s_branch .LBB4_2770
.LBB4_353:                              ;   in Loop: Header=BB4_274 Depth=3
	buffer_store_dword v3, off, s[0:3], s33 offset:200 ; 4-byte Folded Spill
	s_nop 0
	buffer_store_dword v4, off, s[0:3], s33 offset:204 ; 4-byte Folded Spill
	buffer_load_dword v1, off, s[0:3], s33 offset:116 ; 4-byte Folded Reload
	s_waitcnt vmcnt(0)
	v_ashrrev_i32_e32 v0, 31, v1
	v_lshrrev_b32_e32 v0, 21, v0
	v_add_u32_e32 v0, v1, v0
	v_ashrrev_i32_e32 v1, 11, v0
	buffer_load_dword v0, off, s[0:3], s33 offset:112 ; 4-byte Folded Reload
	s_waitcnt vmcnt(0)
	v_sub_u32_e32 v3, v1, v0
	v_cmp_lt_i32_e32 vcc, 0, v3
	s_and_saveexec_b64 s[40:41], vcc
	s_cbranch_execz .LBB4_1509
; %bb.354:                              ;   in Loop: Header=BB4_274 Depth=3
	buffer_store_dword v1, off, s[0:3], s33 offset:208 ; 4-byte Folded Spill
	s_trap 2
	ds_read_b64 v[0:1], v0
	buffer_load_dword v2, off, s[0:3], s33 offset:248 ; 4-byte Folded Reload
	buffer_load_dword v4, off, s[0:3], s33 offset:152 ; 4-byte Folded Reload
	buffer_load_dword v5, off, s[0:3], s33 offset:156 ; 4-byte Folded Reload
	s_mov_b64 s[42:43], 0
	s_waitcnt vmcnt(1)
	v_add_co_u32_e32 v26, vcc, v4, v2
	buffer_load_dword v4, off, s[0:3], s33 offset:252 ; 4-byte Folded Reload
	s_waitcnt vmcnt(0)
	v_addc_co_u32_e32 v27, vcc, v5, v4, vcc
	s_waitcnt lgkmcnt(0)
	v_add_co_u32_e32 v28, vcc, v0, v2
	v_addc_co_u32_e32 v29, vcc, v1, v4, vcc
	buffer_load_dword v0, off, s[0:3], s33 offset:200 ; 4-byte Folded Reload
	buffer_load_dword v1, off, s[0:3], s33 offset:204 ; 4-byte Folded Reload
	s_waitcnt vmcnt(1)
	v_add_co_u32_e32 v30, vcc, v0, v2
	s_waitcnt vmcnt(0)
	v_addc_co_u32_e32 v31, vcc, v1, v4, vcc
	s_branch .LBB4_357
.LBB4_355:                              ;   in Loop: Header=BB4_357 Depth=4
	s_or_b64 exec, exec, s[30:31]
.LBB4_356:                              ;   in Loop: Header=BB4_357 Depth=4
	s_or_b64 exec, exec, s[28:29]
	v_lshl_or_b32 v1, v34, 8, v25
	v_lshlrev_b32_e32 v2, 16, v35
	v_lshlrev_b32_e32 v4, 24, v16
	v_or3_b32 v15, v1, v2, v4
	v_lshl_or_b32 v1, v6, 8, v5
	v_lshlrev_b32_e32 v2, 16, v7
	v_lshlrev_b32_e32 v4, 24, v24
	v_or3_b32 v14, v1, v2, v4
	;; [unrolled: 4-line block ×3, first 2 shown]
	v_lshlrev_b32_e32 v1, 24, v18
	v_lshlrev_b32_e32 v2, 16, v39
	v_lshl_or_b32 v4, v50, 8, v37
	v_or3_b32 v17, v4, v2, v1
	v_lshl_or_b32 v1, v53, 8, v52
	v_lshlrev_b32_e32 v2, 16, v54
	v_lshlrev_b32_e32 v4, 24, v8
	v_or3_b32 v5, v1, v2, v4
	v_lshl_or_b32 v1, v22, 8, v19
	v_lshlrev_b32_e32 v2, 16, v23
	v_lshlrev_b32_e32 v4, 24, v51
	;; [unrolled: 4-line block ×3, first 2 shown]
	v_or3_b32 v6, v1, v2, v6
	v_lshlrev_b32_e32 v0, 24, v0
	v_lshlrev_b32_e32 v1, 16, v45
	v_lshl_or_b32 v2, v43, 8, v42
	v_or3_b32 v7, v2, v1, v0
	global_store_dwordx4 v[30:31], v[14:17], off glc slc
	global_store_dwordx4 v[30:31], v[4:7], off offset:1024 glc slc
	buffer_load_dword v0, off, s[0:3], s33 offset:76 ; 4-byte Folded Reload
	buffer_load_dword v21, off, s[0:3], s33 offset:64 ; 4-byte Folded Reload
	s_waitcnt vmcnt(1)
	v_add_co_u32_e32 v26, vcc, v26, v0
	v_addc_co_u32_e32 v27, vcc, 0, v27, vcc
	v_add_co_u32_e32 v28, vcc, v28, v0
	v_addc_co_u32_e32 v29, vcc, 0, v29, vcc
	s_waitcnt vmcnt(0)
	v_sub_u32_e32 v3, v3, v21
	v_cmp_gt_i32_e32 vcc, 1, v3
	s_or_b64 s[42:43], vcc, s[42:43]
	v_add_co_u32_e32 v30, vcc, v30, v0
	v_addc_co_u32_e32 v31, vcc, 0, v31, vcc
	s_andn2_b64 exec, exec, s[42:43]
	s_cbranch_execz .LBB4_1508
.LBB4_357:                              ;   Parent Loop BB4_47 Depth=1
                                        ;     Parent Loop BB4_271 Depth=2
                                        ;       Parent Loop BB4_274 Depth=3
                                        ; =>      This Inner Loop Header: Depth=4
	global_load_dwordx4 v[20:23], v[26:27], off glc slc
	global_load_dwordx4 v[12:15], v[26:27], off offset:1024 glc slc
	global_load_dwordx4 v[16:19], v[28:29], off glc slc
	global_load_dwordx4 v[8:11], v[28:29], off offset:1024 glc slc
	v_mov_b32_e32 v0, 0
	v_mov_b32_e32 v1, 0
	s_waitcnt vmcnt(3)
	v_cmp_ne_u16_sdwa vcc, v20, v61 src0_sel:BYTE_0 src1_sel:DWORD
	s_and_saveexec_b64 s[28:29], vcc
	s_cbranch_execz .LBB4_365
; %bb.358:                              ;   in Loop: Header=BB4_357 Depth=4
	v_cmp_ne_u16_sdwa vcc, sext(v20), s70 src0_sel:BYTE_0 src1_sel:DWORD
	v_bfrev_b32_e32 v1, 1
	s_and_saveexec_b64 s[30:31], vcc
	s_cbranch_execz .LBB4_364
; %bb.359:                              ;   in Loop: Header=BB4_357 Depth=4
	v_and_b32_e32 v1, 0x7c, v20
	v_and_b32_e32 v2, 3, v20
	v_cmp_ne_u32_e32 vcc, s71, v1
                                        ; implicit-def: $vgpr1
	s_and_saveexec_b64 s[34:35], vcc
	s_xor_b64 s[34:35], exec, s[34:35]
	s_cbranch_execz .LBB4_361
; %bb.360:                              ;   in Loop: Header=BB4_357 Depth=4
	v_ffbh_u32_e32 v4, v2
	v_min_u32_e32 v6, 32, v4
	v_subrev_u32_e32 v4, 29, v6
	v_lshlrev_b64 v[4:5], v4, v[20:21]
	v_bfe_u32 v1, v20, 2, 5
	v_and_b32_e32 v4, 3, v4
	v_cmp_eq_u32_e32 vcc, 0, v1
	v_sub_u32_e32 v5, 30, v6
	v_cndmask_b32_e32 v2, v2, v4, vcc
	v_lshlrev_b32_e32 v4, 24, v20
	v_cndmask_b32_e32 v1, v1, v5, vcc
	v_and_b32_e32 v4, 0x80000000, v4
	v_lshl_add_u32 v1, v1, 23, v4
	v_lshl_or_b32 v1, v2, 21, v1
	v_add_u32_e32 v1, 0x38000000, v1
                                        ; implicit-def: $vgpr2
.LBB4_361:                              ;   in Loop: Header=BB4_357 Depth=4
	s_andn2_saveexec_b64 s[34:35], s[34:35]
; %bb.362:                              ;   in Loop: Header=BB4_357 Depth=4
	v_mov_b32_e32 v1, -1
	v_cmp_gt_i16_sdwa vcc, sext(v20), v1 src0_sel:BYTE_0 src1_sel:DWORD
	v_mov_b32_e32 v1, 0xff800000
	v_cndmask_b32_e32 v1, v1, v47, vcc
	v_cmp_eq_u32_e32 vcc, 0, v2
	v_mov_b32_e32 v2, 0x7f800001
	v_cndmask_b32_e32 v1, v2, v1, vcc
; %bb.363:                              ;   in Loop: Header=BB4_357 Depth=4
	s_or_b64 exec, exec, s[34:35]
.LBB4_364:                              ;   in Loop: Header=BB4_357 Depth=4
	s_or_b64 exec, exec, s[30:31]
.LBB4_365:                              ;   in Loop: Header=BB4_357 Depth=4
	s_or_b64 exec, exec, s[28:29]
	s_waitcnt vmcnt(1)
	v_cmp_ne_u16_sdwa vcc, v16, v61 src0_sel:BYTE_0 src1_sel:DWORD
	s_and_saveexec_b64 s[28:29], vcc
	s_cbranch_execz .LBB4_373
; %bb.366:                              ;   in Loop: Header=BB4_357 Depth=4
	v_cmp_ne_u16_sdwa vcc, sext(v16), s70 src0_sel:BYTE_0 src1_sel:DWORD
	v_bfrev_b32_e32 v0, 1
	s_and_saveexec_b64 s[30:31], vcc
	s_cbranch_execz .LBB4_372
; %bb.367:                              ;   in Loop: Header=BB4_357 Depth=4
	v_and_b32_e32 v0, 0x7c, v16
	v_and_b32_e32 v2, 3, v16
	v_cmp_ne_u32_e32 vcc, s71, v0
                                        ; implicit-def: $vgpr0
	s_and_saveexec_b64 s[34:35], vcc
	s_xor_b64 s[34:35], exec, s[34:35]
	s_cbranch_execz .LBB4_369
; %bb.368:                              ;   in Loop: Header=BB4_357 Depth=4
	v_ffbh_u32_e32 v4, v2
	v_min_u32_e32 v6, 32, v4
	v_subrev_u32_e32 v4, 29, v6
	v_lshlrev_b64 v[4:5], v4, v[16:17]
	v_bfe_u32 v0, v16, 2, 5
	v_and_b32_e32 v4, 3, v4
	v_cmp_eq_u32_e32 vcc, 0, v0
	v_sub_u32_e32 v5, 30, v6
	v_cndmask_b32_e32 v2, v2, v4, vcc
	v_lshlrev_b32_e32 v4, 24, v16
	v_cndmask_b32_e32 v0, v0, v5, vcc
	v_and_b32_e32 v4, 0x80000000, v4
	v_lshl_add_u32 v0, v0, 23, v4
	v_lshl_or_b32 v0, v2, 21, v0
	v_add_u32_e32 v0, 0x38000000, v0
                                        ; implicit-def: $vgpr2
.LBB4_369:                              ;   in Loop: Header=BB4_357 Depth=4
	s_andn2_saveexec_b64 s[34:35], s[34:35]
; %bb.370:                              ;   in Loop: Header=BB4_357 Depth=4
	v_mov_b32_e32 v0, -1
	v_cmp_gt_i16_sdwa vcc, sext(v16), v0 src0_sel:BYTE_0 src1_sel:DWORD
	v_mov_b32_e32 v0, 0xff800000
	v_cndmask_b32_e32 v0, v0, v47, vcc
	v_cmp_eq_u32_e32 vcc, 0, v2
	v_mov_b32_e32 v2, 0x7f800001
	v_cndmask_b32_e32 v0, v2, v0, vcc
; %bb.371:                              ;   in Loop: Header=BB4_357 Depth=4
	s_or_b64 exec, exec, s[34:35]
.LBB4_372:                              ;   in Loop: Header=BB4_357 Depth=4
	s_or_b64 exec, exec, s[30:31]
.LBB4_373:                              ;   in Loop: Header=BB4_357 Depth=4
	s_or_b64 exec, exec, s[28:29]
	v_mul_f32_e32 v0, v1, v0
	v_and_b32_e32 v1, 0x7f800000, v0
	v_mov_b32_e32 v2, v61
	v_cmp_ne_u64_e32 vcc, s[62:63], v[1:2]
	v_and_b32_e32 v60, 0x7fffff, v0
                                        ; implicit-def: $vgpr5
	s_and_saveexec_b64 s[28:29], vcc
	s_xor_b64 s[30:31], exec, s[28:29]
	s_cbranch_execz .LBB4_387
; %bb.374:                              ;   in Loop: Header=BB4_357 Depth=4
	v_and_b32_e32 v1, 0x7fffffff, v0
	v_mov_b32_e32 v2, v61
	v_cmp_gt_u64_e32 vcc, s[78:79], v[1:2]
	v_and_b32_sdwa v6, v0, s81 dst_sel:DWORD dst_unused:UNUSED_PAD src0_sel:BYTE_3 src1_sel:DWORD
                                        ; implicit-def: $vgpr5
	s_and_saveexec_b64 s[28:29], vcc
	s_xor_b64 s[34:35], exec, s[28:29]
	s_cbranch_execz .LBB4_384
; %bb.375:                              ;   in Loop: Header=BB4_357 Depth=4
	v_mov_b32_e32 v5, 0
	v_cmp_ne_u32_e32 vcc, 0, v0
	s_and_saveexec_b64 s[36:37], vcc
	s_cbranch_execz .LBB4_383
; %bb.376:                              ;   in Loop: Header=BB4_357 Depth=4
	v_bfe_u32 v4, v0, 23, 8
	v_cmp_gt_u32_e64 s[28:29], s47, v4
	v_sub_u32_e32 v0, 0x71, v4
	v_cmp_eq_u32_e32 vcc, 0, v4
	v_cndmask_b32_e64 v0, 0, v0, s[28:29]
	v_mov_b32_e32 v2, 0x70
	v_cndmask_b32_e32 v5, v0, v2, vcc
	v_or_b32_e32 v1, 0x800000, v60
	v_add_u32_e32 v0, 21, v5
	v_cndmask_b32_e32 v60, v1, v60, vcc
	v_lshlrev_b64 v[0:1], v0, -1
	v_add_u32_e32 v2, 20, v5
	v_lshlrev_b64 v[24:25], v2, 1
	v_bfi_b32 v1, v1, 0, 0
	v_bfi_b32 v0, v0, 0, v60
	v_cmp_eq_u64_e64 s[28:29], v[0:1], v[24:25]
	v_lshrrev_b64 v[0:1], v5, v[60:61]
	v_mov_b32_e32 v2, v1
	v_mov_b32_e32 v1, v0
	s_and_saveexec_b64 s[38:39], s[28:29]
; %bb.377:                              ;   in Loop: Header=BB4_357 Depth=4
	v_bfe_u32 v1, v0, 21, 1
	v_add_co_u32_e64 v1, s[28:29], v0, v1
	v_add_co_u32_e64 v1, s[28:29], -1, v1
; %bb.378:                              ;   in Loop: Header=BB4_357 Depth=4
	s_or_b64 exec, exec, s[38:39]
	v_add_u32_e32 v2, 0xffffff81, v4
	v_mov_b32_e32 v4, 0xffffff82
	v_cndmask_b32_e32 v2, v2, v4, vcc
	v_lshrrev_b32_e32 v4, 23, v0
	v_add3_u32 v5, v5, v2, v4
	v_add_u32_e32 v4, 14, v5
	v_and_b32_e32 v1, 0x1fffff, v1
	v_add_u32_e32 v60, v1, v0
	v_cmp_ne_u32_e32 vcc, 0, v4
                                        ; implicit-def: $vgpr0_vgpr1
                                        ; implicit-def: $vgpr2
	s_and_saveexec_b64 s[28:29], vcc
	s_xor_b64 s[28:29], exec, s[28:29]
; %bb.379:                              ;   in Loop: Header=BB4_357 Depth=4
	v_cmp_lt_u64_e32 vcc, s[88:89], v[60:61]
	v_add_u32_e32 v0, 15, v5
	v_cndmask_b32_e32 v2, v4, v0, vcc
	v_cndmask_b32_e64 v0, 0, 1, vcc
	v_lshrrev_b64 v[0:1], v0, v[60:61]
; %bb.380:                              ;   in Loop: Header=BB4_357 Depth=4
	s_andn2_saveexec_b64 s[28:29], s[28:29]
; %bb.381:                              ;   in Loop: Header=BB4_357 Depth=4
	v_mov_b32_e32 v0, v60
	v_bfe_u32 v2, v60, 23, 1
	v_mov_b32_e32 v1, v61
; %bb.382:                              ;   in Loop: Header=BB4_357 Depth=4
	s_or_b64 exec, exec, s[28:29]
	v_lshrrev_b64 v[0:1], 21, v[0:1]
	v_cmp_gt_i32_e32 vcc, 32, v2
	v_cndmask_b32_e32 v1, 0, v1, vcc
	v_cndmask_b32_e32 v0, 3, v0, vcc
	v_cmp_eq_u64_e64 s[28:29], 0, v[0:1]
	v_min_i32_e32 v1, 31, v2
	v_lshlrev_b32_e32 v1, 2, v1
	v_cmp_eq_u32_e32 vcc, 0, v2
	v_and_b32_e32 v1, 0xfc, v1
	v_and_or_b32 v0, v0, 3, v1
	s_and_b64 s[28:29], vcc, s[28:29]
	v_cndmask_b32_e64 v0, v0, 0, s[28:29]
	v_or_b32_e32 v5, v0, v6
.LBB4_383:                              ;   in Loop: Header=BB4_357 Depth=4
	s_or_b64 exec, exec, s[36:37]
                                        ; implicit-def: $vgpr6
.LBB4_384:                              ;   in Loop: Header=BB4_357 Depth=4
	s_andn2_saveexec_b64 s[28:29], s[34:35]
; %bb.385:                              ;   in Loop: Header=BB4_357 Depth=4
	v_or_b32_e32 v5, 0x7b, v6
; %bb.386:                              ;   in Loop: Header=BB4_357 Depth=4
	s_or_b64 exec, exec, s[28:29]
                                        ; implicit-def: $vgpr0
.LBB4_387:                              ;   in Loop: Header=BB4_357 Depth=4
	s_andn2_saveexec_b64 s[28:29], s[30:31]
	s_cbranch_execz .LBB4_393
; %bb.388:                              ;   in Loop: Header=BB4_357 Depth=4
	v_cmp_ne_u64_e32 vcc, 0, v[60:61]
                                        ; implicit-def: $vgpr5
	s_and_saveexec_b64 s[30:31], vcc
	s_xor_b64 vcc, exec, s[30:31]
; %bb.389:                              ;   in Loop: Header=BB4_357 Depth=4
	v_or_b32_sdwa v5, v0, s44 dst_sel:DWORD dst_unused:UNUSED_PAD src0_sel:BYTE_3 src1_sel:DWORD
                                        ; implicit-def: $vgpr0
; %bb.390:                              ;   in Loop: Header=BB4_357 Depth=4
	s_andn2_saveexec_b64 s[30:31], vcc
; %bb.391:                              ;   in Loop: Header=BB4_357 Depth=4
	v_cmp_lt_i32_e32 vcc, -1, v0
	v_bfrev_b32_e32 v0, 0.5
	v_mov_b32_e32 v1, 0x7c
	v_cndmask_b32_e32 v5, v0, v1, vcc
; %bb.392:                              ;   in Loop: Header=BB4_357 Depth=4
	s_or_b64 exec, exec, s[30:31]
.LBB4_393:                              ;   in Loop: Header=BB4_357 Depth=4
	s_or_b64 exec, exec, s[28:29]
	v_lshrrev_b16_e32 v60, 8, v20
	v_cmp_ne_u16_e32 vcc, 0, v60
	v_mov_b32_e32 v0, 0
	v_mov_b32_e32 v1, 0
	s_and_saveexec_b64 s[28:29], vcc
	s_cbranch_execz .LBB4_401
; %bb.394:                              ;   in Loop: Header=BB4_357 Depth=4
	v_cmp_ne_u16_e32 vcc, s81, v60
	v_bfrev_b32_e32 v1, 1
	s_and_saveexec_b64 s[30:31], vcc
	s_cbranch_execz .LBB4_400
; %bb.395:                              ;   in Loop: Header=BB4_357 Depth=4
	v_and_b32_e32 v1, 0x7c, v60
	v_and_b32_e32 v2, 3, v60
	v_cmp_ne_u32_e32 vcc, s71, v1
                                        ; implicit-def: $vgpr1
	s_and_saveexec_b64 s[34:35], vcc
	s_xor_b64 s[34:35], exec, s[34:35]
	s_cbranch_execz .LBB4_397
; %bb.396:                              ;   in Loop: Header=BB4_357 Depth=4
	v_ffbh_u32_e32 v4, v2
	v_min_u32_e32 v4, 32, v4
	v_bfe_u32 v1, v60, 2, 5
	v_subrev_u32_e32 v6, 29, v4
	v_lshlrev_b64 v[6:7], v6, v[60:61]
	v_sub_u32_e32 v4, 30, v4
	v_cmp_eq_u32_e32 vcc, 0, v1
	v_cndmask_b32_e32 v1, v1, v4, vcc
	v_lshlrev_b32_e32 v4, 16, v20
	v_and_b32_e32 v6, 3, v6
	v_and_b32_e32 v4, 0x80000000, v4
	v_cndmask_b32_e32 v2, v2, v6, vcc
	v_lshl_add_u32 v1, v1, 23, v4
	v_lshl_or_b32 v1, v2, 21, v1
	v_add_u32_e32 v1, 0x38000000, v1
                                        ; implicit-def: $vgpr2
.LBB4_397:                              ;   in Loop: Header=BB4_357 Depth=4
	s_andn2_saveexec_b64 s[34:35], s[34:35]
; %bb.398:                              ;   in Loop: Header=BB4_357 Depth=4
	v_cmp_lt_i16_e32 vcc, -1, v20
	v_mov_b32_e32 v1, 0xff800000
	v_cndmask_b32_e32 v1, v1, v47, vcc
	v_cmp_eq_u32_e32 vcc, 0, v2
	v_mov_b32_e32 v2, 0x7f800001
	v_cndmask_b32_e32 v1, v2, v1, vcc
; %bb.399:                              ;   in Loop: Header=BB4_357 Depth=4
	s_or_b64 exec, exec, s[34:35]
.LBB4_400:                              ;   in Loop: Header=BB4_357 Depth=4
	s_or_b64 exec, exec, s[30:31]
.LBB4_401:                              ;   in Loop: Header=BB4_357 Depth=4
	s_or_b64 exec, exec, s[28:29]
	v_lshrrev_b16_e32 v60, 8, v16
	v_cmp_ne_u16_e32 vcc, 0, v60
	s_and_saveexec_b64 s[28:29], vcc
	s_cbranch_execz .LBB4_409
; %bb.402:                              ;   in Loop: Header=BB4_357 Depth=4
	v_cmp_ne_u16_e32 vcc, s81, v60
	v_bfrev_b32_e32 v0, 1
	s_and_saveexec_b64 s[30:31], vcc
	s_cbranch_execz .LBB4_408
; %bb.403:                              ;   in Loop: Header=BB4_357 Depth=4
	v_and_b32_e32 v0, 0x7c, v60
	v_and_b32_e32 v2, 3, v60
	v_cmp_ne_u32_e32 vcc, s71, v0
                                        ; implicit-def: $vgpr0
	s_and_saveexec_b64 s[34:35], vcc
	s_xor_b64 s[34:35], exec, s[34:35]
	s_cbranch_execz .LBB4_405
; %bb.404:                              ;   in Loop: Header=BB4_357 Depth=4
	v_ffbh_u32_e32 v4, v2
	v_min_u32_e32 v4, 32, v4
	v_bfe_u32 v0, v60, 2, 5
	v_subrev_u32_e32 v6, 29, v4
	v_lshlrev_b64 v[6:7], v6, v[60:61]
	v_sub_u32_e32 v4, 30, v4
	v_cmp_eq_u32_e32 vcc, 0, v0
	v_cndmask_b32_e32 v0, v0, v4, vcc
	v_lshlrev_b32_e32 v4, 16, v16
	v_and_b32_e32 v6, 3, v6
	v_and_b32_e32 v4, 0x80000000, v4
	v_cndmask_b32_e32 v2, v2, v6, vcc
	v_lshl_add_u32 v0, v0, 23, v4
	v_lshl_or_b32 v0, v2, 21, v0
	v_add_u32_e32 v0, 0x38000000, v0
                                        ; implicit-def: $vgpr2
.LBB4_405:                              ;   in Loop: Header=BB4_357 Depth=4
	s_andn2_saveexec_b64 s[34:35], s[34:35]
; %bb.406:                              ;   in Loop: Header=BB4_357 Depth=4
	v_cmp_lt_i16_e32 vcc, -1, v16
	v_mov_b32_e32 v0, 0xff800000
	v_cndmask_b32_e32 v0, v0, v47, vcc
	v_cmp_eq_u32_e32 vcc, 0, v2
	v_mov_b32_e32 v2, 0x7f800001
	v_cndmask_b32_e32 v0, v2, v0, vcc
; %bb.407:                              ;   in Loop: Header=BB4_357 Depth=4
	s_or_b64 exec, exec, s[34:35]
.LBB4_408:                              ;   in Loop: Header=BB4_357 Depth=4
	s_or_b64 exec, exec, s[30:31]
.LBB4_409:                              ;   in Loop: Header=BB4_357 Depth=4
	s_or_b64 exec, exec, s[28:29]
	v_mul_f32_e32 v0, v1, v0
	v_and_b32_e32 v1, 0x7f800000, v0
	v_mov_b32_e32 v2, v61
	v_cmp_ne_u64_e32 vcc, s[62:63], v[1:2]
	v_and_b32_e32 v60, 0x7fffff, v0
                                        ; implicit-def: $vgpr6
	s_and_saveexec_b64 s[28:29], vcc
	s_xor_b64 s[30:31], exec, s[28:29]
	s_cbranch_execz .LBB4_423
; %bb.410:                              ;   in Loop: Header=BB4_357 Depth=4
	v_and_b32_e32 v1, 0x7fffffff, v0
	v_mov_b32_e32 v2, v61
	v_cmp_gt_u64_e32 vcc, s[78:79], v[1:2]
	v_and_b32_sdwa v7, v0, s81 dst_sel:DWORD dst_unused:UNUSED_PAD src0_sel:BYTE_3 src1_sel:DWORD
                                        ; implicit-def: $vgpr6
	s_and_saveexec_b64 s[28:29], vcc
	s_xor_b64 s[34:35], exec, s[28:29]
	s_cbranch_execz .LBB4_420
; %bb.411:                              ;   in Loop: Header=BB4_357 Depth=4
	v_mov_b32_e32 v6, 0
	v_cmp_ne_u32_e32 vcc, 0, v0
	s_and_saveexec_b64 s[36:37], vcc
	s_cbranch_execz .LBB4_419
; %bb.412:                              ;   in Loop: Header=BB4_357 Depth=4
	v_bfe_u32 v4, v0, 23, 8
	v_cmp_gt_u32_e64 s[28:29], s47, v4
	v_sub_u32_e32 v0, 0x71, v4
	v_cmp_eq_u32_e32 vcc, 0, v4
	v_cndmask_b32_e64 v0, 0, v0, s[28:29]
	v_mov_b32_e32 v2, 0x70
	v_cndmask_b32_e32 v6, v0, v2, vcc
	v_or_b32_e32 v1, 0x800000, v60
	v_add_u32_e32 v0, 21, v6
	v_cndmask_b32_e32 v60, v1, v60, vcc
	v_lshlrev_b64 v[0:1], v0, -1
	v_add_u32_e32 v2, 20, v6
	v_lshlrev_b64 v[24:25], v2, 1
	v_bfi_b32 v1, v1, 0, 0
	v_bfi_b32 v0, v0, 0, v60
	v_cmp_eq_u64_e64 s[28:29], v[0:1], v[24:25]
	v_lshrrev_b64 v[0:1], v6, v[60:61]
	v_mov_b32_e32 v2, v1
	v_mov_b32_e32 v1, v0
	s_and_saveexec_b64 s[38:39], s[28:29]
; %bb.413:                              ;   in Loop: Header=BB4_357 Depth=4
	v_bfe_u32 v1, v0, 21, 1
	v_add_co_u32_e64 v1, s[28:29], v0, v1
	v_add_co_u32_e64 v1, s[28:29], -1, v1
; %bb.414:                              ;   in Loop: Header=BB4_357 Depth=4
	s_or_b64 exec, exec, s[38:39]
	v_add_u32_e32 v2, 0xffffff81, v4
	v_mov_b32_e32 v4, 0xffffff82
	v_cndmask_b32_e32 v2, v2, v4, vcc
	v_lshrrev_b32_e32 v4, 23, v0
	v_add3_u32 v6, v6, v2, v4
	v_add_u32_e32 v4, 14, v6
	v_and_b32_e32 v1, 0x1fffff, v1
	v_add_u32_e32 v60, v1, v0
	v_cmp_ne_u32_e32 vcc, 0, v4
                                        ; implicit-def: $vgpr0_vgpr1
                                        ; implicit-def: $vgpr2
	s_and_saveexec_b64 s[28:29], vcc
	s_xor_b64 s[28:29], exec, s[28:29]
; %bb.415:                              ;   in Loop: Header=BB4_357 Depth=4
	v_cmp_lt_u64_e32 vcc, s[88:89], v[60:61]
	v_add_u32_e32 v0, 15, v6
	v_cndmask_b32_e32 v2, v4, v0, vcc
	v_cndmask_b32_e64 v0, 0, 1, vcc
	v_lshrrev_b64 v[0:1], v0, v[60:61]
; %bb.416:                              ;   in Loop: Header=BB4_357 Depth=4
	s_andn2_saveexec_b64 s[28:29], s[28:29]
; %bb.417:                              ;   in Loop: Header=BB4_357 Depth=4
	v_mov_b32_e32 v0, v60
	v_bfe_u32 v2, v60, 23, 1
	v_mov_b32_e32 v1, v61
; %bb.418:                              ;   in Loop: Header=BB4_357 Depth=4
	s_or_b64 exec, exec, s[28:29]
	v_lshrrev_b64 v[0:1], 21, v[0:1]
	v_cmp_gt_i32_e32 vcc, 32, v2
	v_cndmask_b32_e32 v1, 0, v1, vcc
	v_cndmask_b32_e32 v0, 3, v0, vcc
	v_cmp_eq_u64_e64 s[28:29], 0, v[0:1]
	v_min_i32_e32 v1, 31, v2
	v_lshlrev_b32_e32 v1, 2, v1
	v_cmp_eq_u32_e32 vcc, 0, v2
	v_and_b32_e32 v1, 0xfc, v1
	v_and_or_b32 v0, v0, 3, v1
	s_and_b64 s[28:29], vcc, s[28:29]
	v_cndmask_b32_e64 v0, v0, 0, s[28:29]
	v_or_b32_e32 v6, v0, v7
.LBB4_419:                              ;   in Loop: Header=BB4_357 Depth=4
	s_or_b64 exec, exec, s[36:37]
                                        ; implicit-def: $vgpr7
.LBB4_420:                              ;   in Loop: Header=BB4_357 Depth=4
	s_andn2_saveexec_b64 s[28:29], s[34:35]
; %bb.421:                              ;   in Loop: Header=BB4_357 Depth=4
	v_or_b32_e32 v6, 0x7b, v7
; %bb.422:                              ;   in Loop: Header=BB4_357 Depth=4
	s_or_b64 exec, exec, s[28:29]
                                        ; implicit-def: $vgpr0
.LBB4_423:                              ;   in Loop: Header=BB4_357 Depth=4
	s_andn2_saveexec_b64 s[28:29], s[30:31]
	s_cbranch_execz .LBB4_429
; %bb.424:                              ;   in Loop: Header=BB4_357 Depth=4
	v_cmp_ne_u64_e32 vcc, 0, v[60:61]
                                        ; implicit-def: $vgpr6
	s_and_saveexec_b64 s[30:31], vcc
	s_xor_b64 vcc, exec, s[30:31]
; %bb.425:                              ;   in Loop: Header=BB4_357 Depth=4
	v_or_b32_sdwa v6, v0, s44 dst_sel:DWORD dst_unused:UNUSED_PAD src0_sel:BYTE_3 src1_sel:DWORD
                                        ; implicit-def: $vgpr0
; %bb.426:                              ;   in Loop: Header=BB4_357 Depth=4
	s_andn2_saveexec_b64 s[30:31], vcc
; %bb.427:                              ;   in Loop: Header=BB4_357 Depth=4
	v_cmp_lt_i32_e32 vcc, -1, v0
	v_bfrev_b32_e32 v0, 0.5
	v_mov_b32_e32 v1, 0x7c
	v_cndmask_b32_e32 v6, v0, v1, vcc
; %bb.428:                              ;   in Loop: Header=BB4_357 Depth=4
	s_or_b64 exec, exec, s[30:31]
.LBB4_429:                              ;   in Loop: Header=BB4_357 Depth=4
	s_or_b64 exec, exec, s[28:29]
	v_lshrrev_b32_e32 v0, 16, v20
	v_cmp_ne_u16_sdwa vcc, v0, v61 src0_sel:BYTE_0 src1_sel:DWORD
	v_mov_b32_e32 v1, 0
	v_mov_b32_e32 v2, 0
	s_and_saveexec_b64 s[28:29], vcc
	s_cbranch_execz .LBB4_437
; %bb.430:                              ;   in Loop: Header=BB4_357 Depth=4
	v_cmp_ne_u16_sdwa vcc, v0, s81 src0_sel:BYTE_0 src1_sel:DWORD
	v_bfrev_b32_e32 v2, 1
	s_and_saveexec_b64 s[30:31], vcc
	s_cbranch_execz .LBB4_436
; %bb.431:                              ;   in Loop: Header=BB4_357 Depth=4
	v_and_b32_e32 v2, 0x7c0000, v20
	v_bfe_u32 v4, v20, 16, 2
	v_cmp_ne_u32_e32 vcc, s45, v2
                                        ; implicit-def: $vgpr2
	s_and_saveexec_b64 s[34:35], vcc
	s_xor_b64 s[34:35], exec, s[34:35]
	s_cbranch_execz .LBB4_433
; %bb.432:                              ;   in Loop: Header=BB4_357 Depth=4
	v_ffbh_u32_e32 v7, v4
	v_min_u32_e32 v7, 32, v7
	v_subrev_u32_e32 v24, 29, v7
	v_lshlrev_b64 v[24:25], v24, v[0:1]
	v_bfe_u32 v2, v20, 18, 5
	v_sub_u32_e32 v0, 30, v7
	v_and_b32_e32 v7, 3, v24
	v_cmp_eq_u32_e32 vcc, 0, v2
	v_cndmask_b32_e32 v0, v2, v0, vcc
	v_cndmask_b32_e32 v2, v4, v7, vcc
	v_lshlrev_b32_e32 v4, 8, v20
	v_and_b32_e32 v4, 0x80000000, v4
	v_lshl_add_u32 v0, v0, 23, v4
	v_lshl_or_b32 v0, v2, 21, v0
	v_add_u32_e32 v2, 0x38000000, v0
                                        ; implicit-def: $vgpr4
                                        ; implicit-def: $vgpr0
.LBB4_433:                              ;   in Loop: Header=BB4_357 Depth=4
	s_andn2_saveexec_b64 s[34:35], s[34:35]
; %bb.434:                              ;   in Loop: Header=BB4_357 Depth=4
	v_mov_b32_e32 v2, -1
	v_cmp_gt_i16_sdwa vcc, sext(v0), v2 src0_sel:BYTE_0 src1_sel:DWORD
	v_mov_b32_e32 v0, 0xff800000
	v_cndmask_b32_e32 v0, v0, v47, vcc
	v_cmp_eq_u32_e32 vcc, 0, v4
	v_mov_b32_e32 v2, 0x7f800001
	v_cndmask_b32_e32 v2, v2, v0, vcc
; %bb.435:                              ;   in Loop: Header=BB4_357 Depth=4
	s_or_b64 exec, exec, s[34:35]
.LBB4_436:                              ;   in Loop: Header=BB4_357 Depth=4
	s_or_b64 exec, exec, s[30:31]
.LBB4_437:                              ;   in Loop: Header=BB4_357 Depth=4
	s_or_b64 exec, exec, s[28:29]
	v_lshrrev_b32_e32 v0, 16, v16
	v_cmp_ne_u16_sdwa vcc, v0, v61 src0_sel:BYTE_0 src1_sel:DWORD
	s_and_saveexec_b64 s[28:29], vcc
	s_cbranch_execz .LBB4_445
; %bb.438:                              ;   in Loop: Header=BB4_357 Depth=4
	v_cmp_ne_u16_sdwa vcc, v0, s81 src0_sel:BYTE_0 src1_sel:DWORD
	v_bfrev_b32_e32 v1, 1
	s_and_saveexec_b64 s[30:31], vcc
	s_cbranch_execz .LBB4_444
; %bb.439:                              ;   in Loop: Header=BB4_357 Depth=4
	v_and_b32_e32 v1, 0x7c0000, v16
	v_bfe_u32 v4, v16, 16, 2
	v_cmp_ne_u32_e32 vcc, s45, v1
                                        ; implicit-def: $vgpr1
	s_and_saveexec_b64 s[34:35], vcc
	s_xor_b64 s[34:35], exec, s[34:35]
	s_cbranch_execz .LBB4_441
; %bb.440:                              ;   in Loop: Header=BB4_357 Depth=4
	v_ffbh_u32_e32 v1, v4
	v_min_u32_e32 v24, 32, v1
	v_subrev_u32_e32 v1, 29, v24
	v_lshlrev_b64 v[0:1], v1, v[0:1]
	v_bfe_u32 v7, v16, 18, 5
	v_and_b32_e32 v0, 3, v0
	v_cmp_eq_u32_e32 vcc, 0, v7
	v_sub_u32_e32 v1, 30, v24
	v_cndmask_b32_e32 v0, v4, v0, vcc
	v_lshlrev_b32_e32 v4, 8, v16
	v_cndmask_b32_e32 v1, v7, v1, vcc
	v_and_b32_e32 v4, 0x80000000, v4
	v_lshl_add_u32 v1, v1, 23, v4
	v_lshl_or_b32 v0, v0, 21, v1
	v_add_u32_e32 v1, 0x38000000, v0
                                        ; implicit-def: $vgpr4
                                        ; implicit-def: $vgpr0
.LBB4_441:                              ;   in Loop: Header=BB4_357 Depth=4
	s_andn2_saveexec_b64 s[34:35], s[34:35]
; %bb.442:                              ;   in Loop: Header=BB4_357 Depth=4
	v_mov_b32_e32 v1, -1
	v_cmp_gt_i16_sdwa vcc, sext(v0), v1 src0_sel:BYTE_0 src1_sel:DWORD
	v_mov_b32_e32 v0, 0xff800000
	v_cndmask_b32_e32 v0, v0, v47, vcc
	v_cmp_eq_u32_e32 vcc, 0, v4
	v_mov_b32_e32 v1, 0x7f800001
	v_cndmask_b32_e32 v1, v1, v0, vcc
; %bb.443:                              ;   in Loop: Header=BB4_357 Depth=4
	s_or_b64 exec, exec, s[34:35]
.LBB4_444:                              ;   in Loop: Header=BB4_357 Depth=4
	s_or_b64 exec, exec, s[30:31]
.LBB4_445:                              ;   in Loop: Header=BB4_357 Depth=4
	s_or_b64 exec, exec, s[28:29]
	v_mul_f32_e32 v0, v2, v1
	v_and_b32_e32 v1, 0x7f800000, v0
	v_mov_b32_e32 v2, v61
	v_cmp_ne_u64_e32 vcc, s[62:63], v[1:2]
	v_and_b32_e32 v60, 0x7fffff, v0
                                        ; implicit-def: $vgpr7
	s_and_saveexec_b64 s[28:29], vcc
	s_xor_b64 s[30:31], exec, s[28:29]
	s_cbranch_execz .LBB4_459
; %bb.446:                              ;   in Loop: Header=BB4_357 Depth=4
	v_and_b32_e32 v1, 0x7fffffff, v0
	v_mov_b32_e32 v2, v61
	v_cmp_gt_u64_e32 vcc, s[78:79], v[1:2]
	v_and_b32_sdwa v24, v0, s81 dst_sel:DWORD dst_unused:UNUSED_PAD src0_sel:BYTE_3 src1_sel:DWORD
                                        ; implicit-def: $vgpr7
	s_and_saveexec_b64 s[28:29], vcc
	s_xor_b64 s[34:35], exec, s[28:29]
	s_cbranch_execz .LBB4_456
; %bb.447:                              ;   in Loop: Header=BB4_357 Depth=4
	v_mov_b32_e32 v7, 0
	v_cmp_ne_u32_e32 vcc, 0, v0
	s_and_saveexec_b64 s[36:37], vcc
	s_cbranch_execz .LBB4_455
; %bb.448:                              ;   in Loop: Header=BB4_357 Depth=4
	v_bfe_u32 v4, v0, 23, 8
	v_cmp_gt_u32_e64 s[28:29], s47, v4
	v_sub_u32_e32 v0, 0x71, v4
	v_cmp_eq_u32_e32 vcc, 0, v4
	v_cndmask_b32_e64 v0, 0, v0, s[28:29]
	v_mov_b32_e32 v2, 0x70
	v_cndmask_b32_e32 v7, v0, v2, vcc
	v_or_b32_e32 v1, 0x800000, v60
	v_add_u32_e32 v0, 21, v7
	v_cndmask_b32_e32 v60, v1, v60, vcc
	v_lshlrev_b64 v[0:1], v0, -1
	v_add_u32_e32 v2, 20, v7
	v_lshlrev_b64 v[34:35], v2, 1
	v_bfi_b32 v1, v1, 0, 0
	v_bfi_b32 v0, v0, 0, v60
	v_cmp_eq_u64_e64 s[28:29], v[0:1], v[34:35]
	v_lshrrev_b64 v[0:1], v7, v[60:61]
	v_mov_b32_e32 v2, v1
	v_mov_b32_e32 v1, v0
	s_and_saveexec_b64 s[38:39], s[28:29]
; %bb.449:                              ;   in Loop: Header=BB4_357 Depth=4
	v_bfe_u32 v1, v0, 21, 1
	v_add_co_u32_e64 v1, s[28:29], v0, v1
	v_add_co_u32_e64 v1, s[28:29], -1, v1
; %bb.450:                              ;   in Loop: Header=BB4_357 Depth=4
	s_or_b64 exec, exec, s[38:39]
	v_add_u32_e32 v2, 0xffffff81, v4
	v_mov_b32_e32 v4, 0xffffff82
	v_cndmask_b32_e32 v2, v2, v4, vcc
	v_lshrrev_b32_e32 v4, 23, v0
	v_add3_u32 v7, v7, v2, v4
	v_add_u32_e32 v4, 14, v7
	v_and_b32_e32 v1, 0x1fffff, v1
	v_add_u32_e32 v60, v1, v0
	v_cmp_ne_u32_e32 vcc, 0, v4
                                        ; implicit-def: $vgpr0_vgpr1
                                        ; implicit-def: $vgpr2
	s_and_saveexec_b64 s[28:29], vcc
	s_xor_b64 s[28:29], exec, s[28:29]
; %bb.451:                              ;   in Loop: Header=BB4_357 Depth=4
	v_cmp_lt_u64_e32 vcc, s[88:89], v[60:61]
	v_add_u32_e32 v0, 15, v7
	v_cndmask_b32_e32 v2, v4, v0, vcc
	v_cndmask_b32_e64 v0, 0, 1, vcc
	v_lshrrev_b64 v[0:1], v0, v[60:61]
; %bb.452:                              ;   in Loop: Header=BB4_357 Depth=4
	s_andn2_saveexec_b64 s[28:29], s[28:29]
; %bb.453:                              ;   in Loop: Header=BB4_357 Depth=4
	v_mov_b32_e32 v0, v60
	v_bfe_u32 v2, v60, 23, 1
	v_mov_b32_e32 v1, v61
; %bb.454:                              ;   in Loop: Header=BB4_357 Depth=4
	s_or_b64 exec, exec, s[28:29]
	v_lshrrev_b64 v[0:1], 21, v[0:1]
	v_cmp_gt_i32_e32 vcc, 32, v2
	v_cndmask_b32_e32 v1, 0, v1, vcc
	v_cndmask_b32_e32 v0, 3, v0, vcc
	v_cmp_eq_u64_e64 s[28:29], 0, v[0:1]
	v_min_i32_e32 v1, 31, v2
	v_lshlrev_b32_e32 v1, 2, v1
	v_cmp_eq_u32_e32 vcc, 0, v2
	v_and_b32_e32 v1, 0xfc, v1
	v_and_or_b32 v0, v0, 3, v1
	s_and_b64 s[28:29], vcc, s[28:29]
	v_cndmask_b32_e64 v0, v0, 0, s[28:29]
	v_or_b32_e32 v7, v0, v24
.LBB4_455:                              ;   in Loop: Header=BB4_357 Depth=4
	s_or_b64 exec, exec, s[36:37]
                                        ; implicit-def: $vgpr24
.LBB4_456:                              ;   in Loop: Header=BB4_357 Depth=4
	s_andn2_saveexec_b64 s[28:29], s[34:35]
; %bb.457:                              ;   in Loop: Header=BB4_357 Depth=4
	v_or_b32_e32 v7, 0x7b, v24
; %bb.458:                              ;   in Loop: Header=BB4_357 Depth=4
	s_or_b64 exec, exec, s[28:29]
                                        ; implicit-def: $vgpr0
.LBB4_459:                              ;   in Loop: Header=BB4_357 Depth=4
	s_andn2_saveexec_b64 s[28:29], s[30:31]
	s_cbranch_execz .LBB4_465
; %bb.460:                              ;   in Loop: Header=BB4_357 Depth=4
	v_cmp_ne_u64_e32 vcc, 0, v[60:61]
                                        ; implicit-def: $vgpr7
	s_and_saveexec_b64 s[30:31], vcc
	s_xor_b64 vcc, exec, s[30:31]
; %bb.461:                              ;   in Loop: Header=BB4_357 Depth=4
	v_or_b32_sdwa v7, v0, s44 dst_sel:DWORD dst_unused:UNUSED_PAD src0_sel:BYTE_3 src1_sel:DWORD
                                        ; implicit-def: $vgpr0
; %bb.462:                              ;   in Loop: Header=BB4_357 Depth=4
	s_andn2_saveexec_b64 s[30:31], vcc
; %bb.463:                              ;   in Loop: Header=BB4_357 Depth=4
	v_cmp_lt_i32_e32 vcc, -1, v0
	v_bfrev_b32_e32 v0, 0.5
	v_mov_b32_e32 v1, 0x7c
	v_cndmask_b32_e32 v7, v0, v1, vcc
; %bb.464:                              ;   in Loop: Header=BB4_357 Depth=4
	s_or_b64 exec, exec, s[30:31]
.LBB4_465:                              ;   in Loop: Header=BB4_357 Depth=4
	s_or_b64 exec, exec, s[28:29]
	v_cmp_lt_u32_e32 vcc, s57, v20
	v_mov_b32_e32 v1, 0
	v_mov_b32_e32 v2, 0
	s_and_saveexec_b64 s[28:29], vcc
	s_cbranch_execz .LBB4_473
; %bb.466:                              ;   in Loop: Header=BB4_357 Depth=4
	v_lshrrev_b32_e32 v0, 24, v20
	v_cmp_ne_u32_e32 vcc, s81, v0
	v_bfrev_b32_e32 v2, 1
	s_and_saveexec_b64 s[30:31], vcc
	s_cbranch_execz .LBB4_472
; %bb.467:                              ;   in Loop: Header=BB4_357 Depth=4
	v_and_b32_e32 v2, 0x7c000000, v20
	v_bfe_u32 v4, v20, 24, 2
	v_cmp_ne_u32_e32 vcc, s82, v2
                                        ; implicit-def: $vgpr2
	s_and_saveexec_b64 s[34:35], vcc
	s_xor_b64 s[34:35], exec, s[34:35]
	s_cbranch_execz .LBB4_469
; %bb.468:                              ;   in Loop: Header=BB4_357 Depth=4
	v_ffbh_u32_e32 v24, v4
	v_min_u32_e32 v34, 32, v24
	v_subrev_u32_e32 v24, 29, v34
	v_lshlrev_b64 v[24:25], v24, v[0:1]
	v_bfe_u32 v2, v20, 26, 5
	v_sub_u32_e32 v0, 30, v34
	v_and_b32_e32 v24, 3, v24
	v_cmp_eq_u32_e32 vcc, 0, v2
	v_cndmask_b32_e32 v0, v2, v0, vcc
	v_cndmask_b32_e32 v2, v4, v24, vcc
	v_and_b32_e32 v4, 0x80000000, v20
	v_lshl_add_u32 v0, v0, 23, v4
	v_lshl_or_b32 v0, v2, 21, v0
	v_add_u32_e32 v2, 0x38000000, v0
                                        ; implicit-def: $vgpr4
.LBB4_469:                              ;   in Loop: Header=BB4_357 Depth=4
	s_andn2_saveexec_b64 s[34:35], s[34:35]
; %bb.470:                              ;   in Loop: Header=BB4_357 Depth=4
	v_cmp_lt_i32_e32 vcc, -1, v20
	v_mov_b32_e32 v0, 0xff800000
	v_cndmask_b32_e32 v0, v0, v47, vcc
	v_cmp_eq_u32_e32 vcc, 0, v4
	v_mov_b32_e32 v2, 0x7f800001
	v_cndmask_b32_e32 v2, v2, v0, vcc
; %bb.471:                              ;   in Loop: Header=BB4_357 Depth=4
	s_or_b64 exec, exec, s[34:35]
.LBB4_472:                              ;   in Loop: Header=BB4_357 Depth=4
	s_or_b64 exec, exec, s[30:31]
.LBB4_473:                              ;   in Loop: Header=BB4_357 Depth=4
	s_or_b64 exec, exec, s[28:29]
	v_cmp_lt_u32_e32 vcc, s57, v16
	s_and_saveexec_b64 s[28:29], vcc
	s_cbranch_execz .LBB4_481
; %bb.474:                              ;   in Loop: Header=BB4_357 Depth=4
	v_lshrrev_b32_e32 v0, 24, v16
	v_cmp_ne_u32_e32 vcc, s81, v0
	v_bfrev_b32_e32 v1, 1
	s_and_saveexec_b64 s[30:31], vcc
	s_cbranch_execz .LBB4_480
; %bb.475:                              ;   in Loop: Header=BB4_357 Depth=4
	v_and_b32_e32 v1, 0x7c000000, v16
	v_bfe_u32 v4, v16, 24, 2
	v_cmp_ne_u32_e32 vcc, s82, v1
                                        ; implicit-def: $vgpr1
	s_and_saveexec_b64 s[34:35], vcc
	s_xor_b64 s[34:35], exec, s[34:35]
	s_cbranch_execz .LBB4_477
; %bb.476:                              ;   in Loop: Header=BB4_357 Depth=4
	v_ffbh_u32_e32 v1, v4
	v_min_u32_e32 v25, 32, v1
	v_subrev_u32_e32 v1, 29, v25
	v_lshlrev_b64 v[0:1], v1, v[0:1]
	v_bfe_u32 v24, v16, 26, 5
	v_sub_u32_e32 v1, 30, v25
	v_and_b32_e32 v0, 3, v0
	v_cmp_eq_u32_e32 vcc, 0, v24
	v_cndmask_b32_e32 v1, v24, v1, vcc
	v_cndmask_b32_e32 v0, v4, v0, vcc
	v_and_b32_e32 v4, 0x80000000, v16
	v_lshl_add_u32 v1, v1, 23, v4
	v_lshl_or_b32 v0, v0, 21, v1
	v_add_u32_e32 v1, 0x38000000, v0
                                        ; implicit-def: $vgpr4
.LBB4_477:                              ;   in Loop: Header=BB4_357 Depth=4
	s_andn2_saveexec_b64 s[34:35], s[34:35]
; %bb.478:                              ;   in Loop: Header=BB4_357 Depth=4
	v_cmp_lt_i32_e32 vcc, -1, v16
	v_mov_b32_e32 v0, 0xff800000
	v_cndmask_b32_e32 v0, v0, v47, vcc
	v_cmp_eq_u32_e32 vcc, 0, v4
	v_mov_b32_e32 v1, 0x7f800001
	v_cndmask_b32_e32 v1, v1, v0, vcc
; %bb.479:                              ;   in Loop: Header=BB4_357 Depth=4
	s_or_b64 exec, exec, s[34:35]
.LBB4_480:                              ;   in Loop: Header=BB4_357 Depth=4
	s_or_b64 exec, exec, s[30:31]
.LBB4_481:                              ;   in Loop: Header=BB4_357 Depth=4
	s_or_b64 exec, exec, s[28:29]
	v_mul_f32_e32 v0, v2, v1
	v_and_b32_e32 v1, 0x7f800000, v0
	v_mov_b32_e32 v2, v61
	v_cmp_ne_u64_e32 vcc, s[62:63], v[1:2]
	v_and_b32_e32 v60, 0x7fffff, v0
                                        ; implicit-def: $vgpr24
	s_and_saveexec_b64 s[28:29], vcc
	s_xor_b64 s[30:31], exec, s[28:29]
	s_cbranch_execz .LBB4_495
; %bb.482:                              ;   in Loop: Header=BB4_357 Depth=4
	v_and_b32_e32 v1, 0x7fffffff, v0
	v_mov_b32_e32 v2, v61
	v_cmp_gt_u64_e32 vcc, s[78:79], v[1:2]
	v_and_b32_sdwa v25, v0, s81 dst_sel:DWORD dst_unused:UNUSED_PAD src0_sel:BYTE_3 src1_sel:DWORD
                                        ; implicit-def: $vgpr24
	s_and_saveexec_b64 s[28:29], vcc
	s_xor_b64 s[34:35], exec, s[28:29]
	s_cbranch_execz .LBB4_492
; %bb.483:                              ;   in Loop: Header=BB4_357 Depth=4
	v_mov_b32_e32 v24, 0
	v_cmp_ne_u32_e32 vcc, 0, v0
	s_and_saveexec_b64 s[36:37], vcc
	s_cbranch_execz .LBB4_491
; %bb.484:                              ;   in Loop: Header=BB4_357 Depth=4
	v_bfe_u32 v4, v0, 23, 8
	v_cmp_gt_u32_e64 s[28:29], s47, v4
	v_sub_u32_e32 v0, 0x71, v4
	v_cmp_eq_u32_e32 vcc, 0, v4
	v_cndmask_b32_e64 v0, 0, v0, s[28:29]
	v_mov_b32_e32 v2, 0x70
	v_cndmask_b32_e32 v24, v0, v2, vcc
	v_or_b32_e32 v1, 0x800000, v60
	v_add_u32_e32 v0, 21, v24
	v_cndmask_b32_e32 v60, v1, v60, vcc
	v_lshlrev_b64 v[0:1], v0, -1
	v_add_u32_e32 v2, 20, v24
	v_lshlrev_b64 v[34:35], v2, 1
	v_bfi_b32 v1, v1, 0, 0
	v_bfi_b32 v0, v0, 0, v60
	v_cmp_eq_u64_e64 s[28:29], v[0:1], v[34:35]
	v_lshrrev_b64 v[0:1], v24, v[60:61]
	v_mov_b32_e32 v2, v1
	v_mov_b32_e32 v1, v0
	s_and_saveexec_b64 s[38:39], s[28:29]
; %bb.485:                              ;   in Loop: Header=BB4_357 Depth=4
	v_bfe_u32 v1, v0, 21, 1
	v_add_co_u32_e64 v1, s[28:29], v0, v1
	v_add_co_u32_e64 v1, s[28:29], -1, v1
; %bb.486:                              ;   in Loop: Header=BB4_357 Depth=4
	s_or_b64 exec, exec, s[38:39]
	v_add_u32_e32 v2, 0xffffff81, v4
	v_mov_b32_e32 v4, 0xffffff82
	v_cndmask_b32_e32 v2, v2, v4, vcc
	v_lshrrev_b32_e32 v4, 23, v0
	v_add3_u32 v24, v24, v2, v4
	v_add_u32_e32 v4, 14, v24
	v_and_b32_e32 v1, 0x1fffff, v1
	v_add_u32_e32 v60, v1, v0
	v_cmp_ne_u32_e32 vcc, 0, v4
                                        ; implicit-def: $vgpr0_vgpr1
                                        ; implicit-def: $vgpr2
	s_and_saveexec_b64 s[28:29], vcc
	s_xor_b64 s[28:29], exec, s[28:29]
; %bb.487:                              ;   in Loop: Header=BB4_357 Depth=4
	v_cmp_lt_u64_e32 vcc, s[88:89], v[60:61]
	v_add_u32_e32 v0, 15, v24
	v_cndmask_b32_e32 v2, v4, v0, vcc
	v_cndmask_b32_e64 v0, 0, 1, vcc
	v_lshrrev_b64 v[0:1], v0, v[60:61]
; %bb.488:                              ;   in Loop: Header=BB4_357 Depth=4
	s_andn2_saveexec_b64 s[28:29], s[28:29]
; %bb.489:                              ;   in Loop: Header=BB4_357 Depth=4
	v_mov_b32_e32 v0, v60
	v_bfe_u32 v2, v60, 23, 1
	v_mov_b32_e32 v1, v61
; %bb.490:                              ;   in Loop: Header=BB4_357 Depth=4
	s_or_b64 exec, exec, s[28:29]
	v_lshrrev_b64 v[0:1], 21, v[0:1]
	v_cmp_gt_i32_e32 vcc, 32, v2
	v_cndmask_b32_e32 v1, 0, v1, vcc
	v_cndmask_b32_e32 v0, 3, v0, vcc
	v_cmp_eq_u64_e64 s[28:29], 0, v[0:1]
	v_min_i32_e32 v1, 31, v2
	v_lshlrev_b32_e32 v1, 2, v1
	v_cmp_eq_u32_e32 vcc, 0, v2
	v_and_b32_e32 v1, 0xfc, v1
	v_and_or_b32 v0, v0, 3, v1
	s_and_b64 s[28:29], vcc, s[28:29]
	v_cndmask_b32_e64 v0, v0, 0, s[28:29]
	v_or_b32_e32 v24, v0, v25
.LBB4_491:                              ;   in Loop: Header=BB4_357 Depth=4
	s_or_b64 exec, exec, s[36:37]
                                        ; implicit-def: $vgpr25
.LBB4_492:                              ;   in Loop: Header=BB4_357 Depth=4
	s_andn2_saveexec_b64 s[28:29], s[34:35]
; %bb.493:                              ;   in Loop: Header=BB4_357 Depth=4
	v_or_b32_e32 v24, 0x7b, v25
; %bb.494:                              ;   in Loop: Header=BB4_357 Depth=4
	s_or_b64 exec, exec, s[28:29]
                                        ; implicit-def: $vgpr0
.LBB4_495:                              ;   in Loop: Header=BB4_357 Depth=4
	s_andn2_saveexec_b64 s[28:29], s[30:31]
	s_cbranch_execz .LBB4_501
; %bb.496:                              ;   in Loop: Header=BB4_357 Depth=4
	v_cmp_ne_u64_e32 vcc, 0, v[60:61]
                                        ; implicit-def: $vgpr24
	s_and_saveexec_b64 s[30:31], vcc
	s_xor_b64 vcc, exec, s[30:31]
; %bb.497:                              ;   in Loop: Header=BB4_357 Depth=4
	v_or_b32_sdwa v24, v0, s44 dst_sel:DWORD dst_unused:UNUSED_PAD src0_sel:BYTE_3 src1_sel:DWORD
                                        ; implicit-def: $vgpr0
; %bb.498:                              ;   in Loop: Header=BB4_357 Depth=4
	s_andn2_saveexec_b64 s[30:31], vcc
; %bb.499:                              ;   in Loop: Header=BB4_357 Depth=4
	v_cmp_lt_i32_e32 vcc, -1, v0
	v_bfrev_b32_e32 v0, 0.5
	v_mov_b32_e32 v1, 0x7c
	v_cndmask_b32_e32 v24, v0, v1, vcc
; %bb.500:                              ;   in Loop: Header=BB4_357 Depth=4
	s_or_b64 exec, exec, s[30:31]
.LBB4_501:                              ;   in Loop: Header=BB4_357 Depth=4
	s_or_b64 exec, exec, s[28:29]
	v_mov_b32_e32 v60, v21
	v_cmp_ne_u16_sdwa vcc, v21, v61 src0_sel:BYTE_0 src1_sel:DWORD
	v_mov_b32_e32 v1, 0
	v_mov_b32_e32 v0, 0
	s_and_saveexec_b64 s[28:29], vcc
	s_cbranch_execz .LBB4_509
; %bb.502:                              ;   in Loop: Header=BB4_357 Depth=4
	v_cmp_ne_u16_sdwa vcc, v21, s81 src0_sel:BYTE_0 src1_sel:DWORD
	v_bfrev_b32_e32 v0, 1
	s_and_saveexec_b64 s[30:31], vcc
	s_cbranch_execz .LBB4_508
; %bb.503:                              ;   in Loop: Header=BB4_357 Depth=4
	v_and_b32_e32 v0, 0x7c, v21
	v_and_b32_e32 v2, 3, v21
	v_cmp_ne_u32_e32 vcc, s71, v0
                                        ; implicit-def: $vgpr0
	s_and_saveexec_b64 s[34:35], vcc
	s_xor_b64 s[34:35], exec, s[34:35]
	s_cbranch_execz .LBB4_505
; %bb.504:                              ;   in Loop: Header=BB4_357 Depth=4
	v_ffbh_u32_e32 v4, v2
	v_min_u32_e32 v4, 32, v4
	v_bfe_u32 v0, v21, 2, 5
	v_subrev_u32_e32 v25, 29, v4
	v_lshlrev_b64 v[34:35], v25, v[60:61]
	v_sub_u32_e32 v4, 30, v4
	v_cmp_eq_u32_e32 vcc, 0, v0
	v_cndmask_b32_e32 v0, v0, v4, vcc
	v_lshlrev_b32_e32 v4, 24, v21
	v_and_b32_e32 v25, 3, v34
	v_and_b32_e32 v4, 0x80000000, v4
	v_cndmask_b32_e32 v2, v2, v25, vcc
	v_lshl_add_u32 v0, v0, 23, v4
	v_lshl_or_b32 v0, v2, 21, v0
	v_add_u32_e32 v0, 0x38000000, v0
                                        ; implicit-def: $vgpr2
.LBB4_505:                              ;   in Loop: Header=BB4_357 Depth=4
	s_andn2_saveexec_b64 s[34:35], s[34:35]
; %bb.506:                              ;   in Loop: Header=BB4_357 Depth=4
	v_mov_b32_e32 v0, -1
	v_cmp_gt_i16_sdwa vcc, sext(v21), v0 src0_sel:BYTE_0 src1_sel:DWORD
	v_mov_b32_e32 v0, 0xff800000
	v_cndmask_b32_e32 v0, v0, v47, vcc
	v_cmp_eq_u32_e32 vcc, 0, v2
	v_mov_b32_e32 v2, 0x7f800001
	v_cndmask_b32_e32 v0, v2, v0, vcc
; %bb.507:                              ;   in Loop: Header=BB4_357 Depth=4
	s_or_b64 exec, exec, s[34:35]
.LBB4_508:                              ;   in Loop: Header=BB4_357 Depth=4
	s_or_b64 exec, exec, s[30:31]
.LBB4_509:                              ;   in Loop: Header=BB4_357 Depth=4
	s_or_b64 exec, exec, s[28:29]
	v_cmp_ne_u16_sdwa vcc, v17, v61 src0_sel:BYTE_0 src1_sel:DWORD
	s_and_saveexec_b64 s[28:29], vcc
	s_cbranch_execz .LBB4_517
; %bb.510:                              ;   in Loop: Header=BB4_357 Depth=4
	v_cmp_ne_u16_sdwa vcc, v17, s81 src0_sel:BYTE_0 src1_sel:DWORD
	v_bfrev_b32_e32 v1, 1
	s_and_saveexec_b64 s[30:31], vcc
	s_cbranch_execz .LBB4_516
; %bb.511:                              ;   in Loop: Header=BB4_357 Depth=4
	v_and_b32_e32 v1, 0x7c, v17
	v_and_b32_e32 v2, 3, v17
	v_cmp_ne_u32_e32 vcc, s71, v1
                                        ; implicit-def: $vgpr1
	s_and_saveexec_b64 s[34:35], vcc
	s_xor_b64 s[34:35], exec, s[34:35]
	s_cbranch_execz .LBB4_513
; %bb.512:                              ;   in Loop: Header=BB4_357 Depth=4
	v_ffbh_u32_e32 v4, v2
	v_min_u32_e32 v4, 32, v4
	v_mov_b32_e32 v34, v17
	v_mov_b32_e32 v35, v61
	v_bfe_u32 v1, v17, 2, 5
	v_subrev_u32_e32 v25, 29, v4
	v_lshlrev_b64 v[34:35], v25, v[34:35]
	v_sub_u32_e32 v4, 30, v4
	v_cmp_eq_u32_e32 vcc, 0, v1
	v_cndmask_b32_e32 v1, v1, v4, vcc
	v_lshlrev_b32_e32 v4, 24, v17
	v_and_b32_e32 v25, 3, v34
	v_and_b32_e32 v4, 0x80000000, v4
	v_cndmask_b32_e32 v2, v2, v25, vcc
	v_lshl_add_u32 v1, v1, 23, v4
	v_lshl_or_b32 v1, v2, 21, v1
	v_add_u32_e32 v1, 0x38000000, v1
                                        ; implicit-def: $vgpr2
.LBB4_513:                              ;   in Loop: Header=BB4_357 Depth=4
	s_andn2_saveexec_b64 s[34:35], s[34:35]
; %bb.514:                              ;   in Loop: Header=BB4_357 Depth=4
	v_mov_b32_e32 v1, -1
	v_cmp_gt_i16_sdwa vcc, sext(v17), v1 src0_sel:BYTE_0 src1_sel:DWORD
	v_mov_b32_e32 v1, 0xff800000
	v_cndmask_b32_e32 v1, v1, v47, vcc
	v_cmp_eq_u32_e32 vcc, 0, v2
	v_mov_b32_e32 v2, 0x7f800001
	v_cndmask_b32_e32 v1, v2, v1, vcc
; %bb.515:                              ;   in Loop: Header=BB4_357 Depth=4
	s_or_b64 exec, exec, s[34:35]
.LBB4_516:                              ;   in Loop: Header=BB4_357 Depth=4
	s_or_b64 exec, exec, s[30:31]
.LBB4_517:                              ;   in Loop: Header=BB4_357 Depth=4
	s_or_b64 exec, exec, s[28:29]
	v_mul_f32_e32 v2, v0, v1
	v_and_b32_e32 v34, 0x7f800000, v2
	v_mov_b32_e32 v35, v61
	v_cmp_ne_u64_e32 vcc, s[62:63], v[34:35]
	v_and_b32_e32 v0, 0x7fffff, v2
	v_mov_b32_e32 v1, v61
                                        ; implicit-def: $vgpr25
	s_and_saveexec_b64 s[28:29], vcc
	s_xor_b64 s[30:31], exec, s[28:29]
	s_cbranch_execz .LBB4_531
; %bb.518:                              ;   in Loop: Header=BB4_357 Depth=4
	v_and_b32_e32 v34, 0x7fffffff, v2
	v_mov_b32_e32 v35, v61
	v_cmp_gt_u64_e32 vcc, s[78:79], v[34:35]
	v_and_b32_sdwa v34, v2, s81 dst_sel:DWORD dst_unused:UNUSED_PAD src0_sel:BYTE_3 src1_sel:DWORD
                                        ; implicit-def: $vgpr25
	s_and_saveexec_b64 s[28:29], vcc
	s_xor_b64 s[34:35], exec, s[28:29]
	s_cbranch_execz .LBB4_528
; %bb.519:                              ;   in Loop: Header=BB4_357 Depth=4
	v_mov_b32_e32 v25, 0
	v_cmp_ne_u32_e32 vcc, 0, v2
	s_and_saveexec_b64 s[36:37], vcc
	s_cbranch_execz .LBB4_527
; %bb.520:                              ;   in Loop: Header=BB4_357 Depth=4
	v_bfe_u32 v4, v2, 23, 8
	v_cmp_gt_u32_e64 s[28:29], s47, v4
	v_sub_u32_e32 v2, 0x71, v4
	v_cmp_eq_u32_e32 vcc, 0, v4
	v_cndmask_b32_e64 v2, 0, v2, s[28:29]
	v_mov_b32_e32 v25, 0x70
	v_cndmask_b32_e32 v25, v2, v25, vcc
	v_or_b32_e32 v35, 0x800000, v0
	v_add_u32_e32 v2, 21, v25
	v_cndmask_b32_e32 v0, v35, v0, vcc
	v_lshlrev_b64 v[35:36], v2, -1
	v_add_u32_e32 v2, 20, v25
	v_bfi_b32 v35, v35, 0, v0
	v_lshlrev_b64 v[50:51], v2, 1
	v_lshrrev_b64 v[0:1], v25, v[0:1]
	v_bfi_b32 v36, v36, 0, 0
	v_cmp_eq_u64_e64 s[28:29], v[35:36], v[50:51]
	v_mov_b32_e32 v2, v1
	v_mov_b32_e32 v1, v0
	s_and_saveexec_b64 s[38:39], s[28:29]
; %bb.521:                              ;   in Loop: Header=BB4_357 Depth=4
	v_bfe_u32 v1, v0, 21, 1
	v_add_co_u32_e64 v1, s[28:29], v0, v1
	v_add_co_u32_e64 v1, s[28:29], -1, v1
; %bb.522:                              ;   in Loop: Header=BB4_357 Depth=4
	s_or_b64 exec, exec, s[38:39]
	v_add_u32_e32 v2, 0xffffff81, v4
	v_mov_b32_e32 v4, 0xffffff82
	v_cndmask_b32_e32 v2, v2, v4, vcc
	v_lshrrev_b32_e32 v4, 23, v0
	v_add3_u32 v25, v25, v2, v4
	v_add_u32_e32 v4, 14, v25
	v_and_b32_e32 v1, 0x1fffff, v1
	v_add_u32_e32 v0, v1, v0
	v_mov_b32_e32 v1, v61
	v_cmp_ne_u32_e32 vcc, 0, v4
                                        ; implicit-def: $vgpr2
	s_and_saveexec_b64 s[28:29], vcc
	s_xor_b64 s[28:29], exec, s[28:29]
; %bb.523:                              ;   in Loop: Header=BB4_357 Depth=4
	v_cmp_lt_u64_e32 vcc, s[88:89], v[0:1]
	v_add_u32_e32 v2, 15, v25
	v_cndmask_b32_e32 v2, v4, v2, vcc
	v_cndmask_b32_e64 v4, 0, 1, vcc
	v_lshrrev_b64 v[0:1], v4, v[0:1]
; %bb.524:                              ;   in Loop: Header=BB4_357 Depth=4
	s_andn2_saveexec_b64 s[28:29], s[28:29]
; %bb.525:                              ;   in Loop: Header=BB4_357 Depth=4
	v_bfe_u32 v2, v0, 23, 1
; %bb.526:                              ;   in Loop: Header=BB4_357 Depth=4
	s_or_b64 exec, exec, s[28:29]
	v_lshrrev_b64 v[0:1], 21, v[0:1]
	v_cmp_gt_i32_e32 vcc, 32, v2
	v_cndmask_b32_e32 v1, 0, v1, vcc
	v_cndmask_b32_e32 v0, 3, v0, vcc
	v_cmp_eq_u64_e64 s[28:29], 0, v[0:1]
	v_min_i32_e32 v1, 31, v2
	v_lshlrev_b32_e32 v1, 2, v1
	v_cmp_eq_u32_e32 vcc, 0, v2
	v_and_b32_e32 v1, 0xfc, v1
	v_and_or_b32 v0, v0, 3, v1
	s_and_b64 s[28:29], vcc, s[28:29]
	v_cndmask_b32_e64 v0, v0, 0, s[28:29]
	v_or_b32_e32 v25, v0, v34
.LBB4_527:                              ;   in Loop: Header=BB4_357 Depth=4
	s_or_b64 exec, exec, s[36:37]
                                        ; implicit-def: $vgpr34
.LBB4_528:                              ;   in Loop: Header=BB4_357 Depth=4
	s_andn2_saveexec_b64 s[28:29], s[34:35]
; %bb.529:                              ;   in Loop: Header=BB4_357 Depth=4
	v_or_b32_e32 v25, 0x7b, v34
; %bb.530:                              ;   in Loop: Header=BB4_357 Depth=4
	s_or_b64 exec, exec, s[28:29]
                                        ; implicit-def: $vgpr2
                                        ; implicit-def: $vgpr0_vgpr1
.LBB4_531:                              ;   in Loop: Header=BB4_357 Depth=4
	s_andn2_saveexec_b64 s[28:29], s[30:31]
	s_cbranch_execz .LBB4_537
; %bb.532:                              ;   in Loop: Header=BB4_357 Depth=4
	v_cmp_ne_u64_e32 vcc, 0, v[0:1]
                                        ; implicit-def: $vgpr25
	s_and_saveexec_b64 s[30:31], vcc
	s_xor_b64 vcc, exec, s[30:31]
; %bb.533:                              ;   in Loop: Header=BB4_357 Depth=4
	v_or_b32_sdwa v25, v2, s44 dst_sel:DWORD dst_unused:UNUSED_PAD src0_sel:BYTE_3 src1_sel:DWORD
                                        ; implicit-def: $vgpr2
; %bb.534:                              ;   in Loop: Header=BB4_357 Depth=4
	s_andn2_saveexec_b64 s[30:31], vcc
; %bb.535:                              ;   in Loop: Header=BB4_357 Depth=4
	v_cmp_lt_i32_e32 vcc, -1, v2
	v_bfrev_b32_e32 v0, 0.5
	v_mov_b32_e32 v1, 0x7c
	v_cndmask_b32_e32 v25, v0, v1, vcc
; %bb.536:                              ;   in Loop: Header=BB4_357 Depth=4
	s_or_b64 exec, exec, s[30:31]
.LBB4_537:                              ;   in Loop: Header=BB4_357 Depth=4
	s_or_b64 exec, exec, s[28:29]
	v_lshrrev_b16_e32 v0, 8, v60
	v_cmp_ne_u16_e32 vcc, 0, v0
	v_mov_b32_e32 v2, 0
	v_mov_b32_e32 v1, 0
	s_and_saveexec_b64 s[28:29], vcc
	s_cbranch_execz .LBB4_545
; %bb.538:                              ;   in Loop: Header=BB4_357 Depth=4
	v_cmp_ne_u16_e32 vcc, s81, v0
	v_bfrev_b32_e32 v1, 1
	s_and_saveexec_b64 s[30:31], vcc
	s_cbranch_execz .LBB4_544
; %bb.539:                              ;   in Loop: Header=BB4_357 Depth=4
	v_and_b32_e32 v1, 0x7c, v0
	v_and_b32_e32 v4, 3, v0
	v_cmp_ne_u32_e32 vcc, s71, v1
                                        ; implicit-def: $vgpr1
	s_and_saveexec_b64 s[34:35], vcc
	s_xor_b64 s[34:35], exec, s[34:35]
	s_cbranch_execz .LBB4_541
; %bb.540:                              ;   in Loop: Header=BB4_357 Depth=4
	v_ffbh_u32_e32 v35, v4
	v_min_u32_e32 v35, 32, v35
	v_mov_b32_e32 v1, v61
	v_subrev_u32_e32 v36, 29, v35
	v_bfe_u32 v34, v0, 2, 5
	v_lshlrev_b64 v[0:1], v36, v[0:1]
	v_cmp_eq_u32_e32 vcc, 0, v34
	v_and_b32_e32 v0, 3, v0
	v_sub_u32_e32 v1, 30, v35
	v_cndmask_b32_e32 v0, v4, v0, vcc
	v_lshlrev_b32_e32 v4, 16, v60
	v_cndmask_b32_e32 v1, v34, v1, vcc
	v_and_b32_e32 v4, 0x80000000, v4
	v_lshl_add_u32 v1, v1, 23, v4
	v_lshl_or_b32 v0, v0, 21, v1
	v_add_u32_e32 v1, 0x38000000, v0
                                        ; implicit-def: $vgpr4
.LBB4_541:                              ;   in Loop: Header=BB4_357 Depth=4
	s_andn2_saveexec_b64 s[34:35], s[34:35]
; %bb.542:                              ;   in Loop: Header=BB4_357 Depth=4
	v_cmp_lt_i16_e32 vcc, -1, v60
	v_mov_b32_e32 v0, 0xff800000
	v_cndmask_b32_e32 v0, v0, v47, vcc
	v_cmp_eq_u32_e32 vcc, 0, v4
	v_mov_b32_e32 v1, 0x7f800001
	v_cndmask_b32_e32 v1, v1, v0, vcc
; %bb.543:                              ;   in Loop: Header=BB4_357 Depth=4
	s_or_b64 exec, exec, s[34:35]
.LBB4_544:                              ;   in Loop: Header=BB4_357 Depth=4
	s_or_b64 exec, exec, s[30:31]
.LBB4_545:                              ;   in Loop: Header=BB4_357 Depth=4
	s_or_b64 exec, exec, s[28:29]
	v_lshrrev_b16_e32 v60, 8, v17
	v_cmp_ne_u16_e32 vcc, 0, v60
	s_and_saveexec_b64 s[28:29], vcc
	s_cbranch_execz .LBB4_553
; %bb.546:                              ;   in Loop: Header=BB4_357 Depth=4
	v_cmp_ne_u16_e32 vcc, s81, v60
	v_bfrev_b32_e32 v2, 1
	s_and_saveexec_b64 s[30:31], vcc
	s_cbranch_execz .LBB4_552
; %bb.547:                              ;   in Loop: Header=BB4_357 Depth=4
	v_and_b32_e32 v2, 0x7c, v60
	v_and_b32_e32 v0, 3, v60
	v_cmp_ne_u32_e32 vcc, s71, v2
                                        ; implicit-def: $vgpr2
	s_and_saveexec_b64 s[34:35], vcc
	s_xor_b64 s[34:35], exec, s[34:35]
	s_cbranch_execz .LBB4_549
; %bb.548:                              ;   in Loop: Header=BB4_357 Depth=4
	v_ffbh_u32_e32 v4, v0
	v_min_u32_e32 v4, 32, v4
	v_bfe_u32 v2, v60, 2, 5
	v_subrev_u32_e32 v34, 29, v4
	v_lshlrev_b64 v[34:35], v34, v[60:61]
	v_sub_u32_e32 v4, 30, v4
	v_cmp_eq_u32_e32 vcc, 0, v2
	v_cndmask_b32_e32 v2, v2, v4, vcc
	v_lshlrev_b32_e32 v4, 16, v17
	v_and_b32_e32 v34, 3, v34
	v_and_b32_e32 v4, 0x80000000, v4
	v_cndmask_b32_e32 v0, v0, v34, vcc
	v_lshl_add_u32 v2, v2, 23, v4
	v_lshl_or_b32 v0, v0, 21, v2
	v_add_u32_e32 v2, 0x38000000, v0
                                        ; implicit-def: $vgpr0
.LBB4_549:                              ;   in Loop: Header=BB4_357 Depth=4
	s_andn2_saveexec_b64 s[34:35], s[34:35]
; %bb.550:                              ;   in Loop: Header=BB4_357 Depth=4
	v_cmp_lt_i16_e32 vcc, -1, v17
	v_mov_b32_e32 v2, 0xff800000
	v_cndmask_b32_e32 v2, v2, v47, vcc
	v_cmp_eq_u32_e32 vcc, 0, v0
	v_mov_b32_e32 v0, 0x7f800001
	v_cndmask_b32_e32 v2, v0, v2, vcc
; %bb.551:                              ;   in Loop: Header=BB4_357 Depth=4
	s_or_b64 exec, exec, s[34:35]
.LBB4_552:                              ;   in Loop: Header=BB4_357 Depth=4
	s_or_b64 exec, exec, s[30:31]
.LBB4_553:                              ;   in Loop: Header=BB4_357 Depth=4
	s_or_b64 exec, exec, s[28:29]
	v_mul_f32_e32 v0, v1, v2
	v_and_b32_e32 v1, 0x7f800000, v0
	v_mov_b32_e32 v2, v61
	v_cmp_ne_u64_e32 vcc, s[62:63], v[1:2]
	v_and_b32_e32 v60, 0x7fffff, v0
                                        ; implicit-def: $vgpr34
	s_and_saveexec_b64 s[28:29], vcc
	s_xor_b64 s[30:31], exec, s[28:29]
	s_cbranch_execz .LBB4_567
; %bb.554:                              ;   in Loop: Header=BB4_357 Depth=4
	v_and_b32_e32 v1, 0x7fffffff, v0
	v_mov_b32_e32 v2, v61
	v_cmp_gt_u64_e32 vcc, s[78:79], v[1:2]
	v_and_b32_sdwa v35, v0, s81 dst_sel:DWORD dst_unused:UNUSED_PAD src0_sel:BYTE_3 src1_sel:DWORD
                                        ; implicit-def: $vgpr34
	s_and_saveexec_b64 s[28:29], vcc
	s_xor_b64 s[34:35], exec, s[28:29]
	s_cbranch_execz .LBB4_564
; %bb.555:                              ;   in Loop: Header=BB4_357 Depth=4
	v_mov_b32_e32 v34, 0
	v_cmp_ne_u32_e32 vcc, 0, v0
	s_and_saveexec_b64 s[36:37], vcc
	s_cbranch_execz .LBB4_563
; %bb.556:                              ;   in Loop: Header=BB4_357 Depth=4
	v_bfe_u32 v4, v0, 23, 8
	v_cmp_gt_u32_e64 s[28:29], s47, v4
	v_sub_u32_e32 v0, 0x71, v4
	v_cmp_eq_u32_e32 vcc, 0, v4
	v_cndmask_b32_e64 v0, 0, v0, s[28:29]
	v_mov_b32_e32 v2, 0x70
	v_cndmask_b32_e32 v34, v0, v2, vcc
	v_or_b32_e32 v1, 0x800000, v60
	v_add_u32_e32 v0, 21, v34
	v_cndmask_b32_e32 v60, v1, v60, vcc
	v_lshlrev_b64 v[0:1], v0, -1
	v_add_u32_e32 v2, 20, v34
	v_lshlrev_b64 v[36:37], v2, 1
	v_bfi_b32 v1, v1, 0, 0
	v_bfi_b32 v0, v0, 0, v60
	v_cmp_eq_u64_e64 s[28:29], v[0:1], v[36:37]
	v_lshrrev_b64 v[0:1], v34, v[60:61]
	v_mov_b32_e32 v2, v1
	v_mov_b32_e32 v1, v0
	s_and_saveexec_b64 s[38:39], s[28:29]
; %bb.557:                              ;   in Loop: Header=BB4_357 Depth=4
	v_bfe_u32 v1, v0, 21, 1
	v_add_co_u32_e64 v1, s[28:29], v0, v1
	v_add_co_u32_e64 v1, s[28:29], -1, v1
; %bb.558:                              ;   in Loop: Header=BB4_357 Depth=4
	s_or_b64 exec, exec, s[38:39]
	v_add_u32_e32 v2, 0xffffff81, v4
	v_mov_b32_e32 v4, 0xffffff82
	v_cndmask_b32_e32 v2, v2, v4, vcc
	v_lshrrev_b32_e32 v4, 23, v0
	v_add3_u32 v34, v34, v2, v4
	v_add_u32_e32 v4, 14, v34
	v_and_b32_e32 v1, 0x1fffff, v1
	v_add_u32_e32 v60, v1, v0
	v_cmp_ne_u32_e32 vcc, 0, v4
                                        ; implicit-def: $vgpr0_vgpr1
                                        ; implicit-def: $vgpr2
	s_and_saveexec_b64 s[28:29], vcc
	s_xor_b64 s[28:29], exec, s[28:29]
; %bb.559:                              ;   in Loop: Header=BB4_357 Depth=4
	v_cmp_lt_u64_e32 vcc, s[88:89], v[60:61]
	v_add_u32_e32 v0, 15, v34
	v_cndmask_b32_e32 v2, v4, v0, vcc
	v_cndmask_b32_e64 v0, 0, 1, vcc
	v_lshrrev_b64 v[0:1], v0, v[60:61]
; %bb.560:                              ;   in Loop: Header=BB4_357 Depth=4
	s_andn2_saveexec_b64 s[28:29], s[28:29]
; %bb.561:                              ;   in Loop: Header=BB4_357 Depth=4
	v_mov_b32_e32 v0, v60
	v_bfe_u32 v2, v60, 23, 1
	v_mov_b32_e32 v1, v61
; %bb.562:                              ;   in Loop: Header=BB4_357 Depth=4
	s_or_b64 exec, exec, s[28:29]
	v_lshrrev_b64 v[0:1], 21, v[0:1]
	v_cmp_gt_i32_e32 vcc, 32, v2
	v_cndmask_b32_e32 v1, 0, v1, vcc
	v_cndmask_b32_e32 v0, 3, v0, vcc
	v_cmp_eq_u64_e64 s[28:29], 0, v[0:1]
	v_min_i32_e32 v1, 31, v2
	v_lshlrev_b32_e32 v1, 2, v1
	v_cmp_eq_u32_e32 vcc, 0, v2
	v_and_b32_e32 v1, 0xfc, v1
	v_and_or_b32 v0, v0, 3, v1
	s_and_b64 s[28:29], vcc, s[28:29]
	v_cndmask_b32_e64 v0, v0, 0, s[28:29]
	v_or_b32_e32 v34, v0, v35
.LBB4_563:                              ;   in Loop: Header=BB4_357 Depth=4
	s_or_b64 exec, exec, s[36:37]
                                        ; implicit-def: $vgpr35
.LBB4_564:                              ;   in Loop: Header=BB4_357 Depth=4
	s_andn2_saveexec_b64 s[28:29], s[34:35]
; %bb.565:                              ;   in Loop: Header=BB4_357 Depth=4
	v_or_b32_e32 v34, 0x7b, v35
; %bb.566:                              ;   in Loop: Header=BB4_357 Depth=4
	s_or_b64 exec, exec, s[28:29]
                                        ; implicit-def: $vgpr0
.LBB4_567:                              ;   in Loop: Header=BB4_357 Depth=4
	s_andn2_saveexec_b64 s[28:29], s[30:31]
	s_cbranch_execz .LBB4_573
; %bb.568:                              ;   in Loop: Header=BB4_357 Depth=4
	v_cmp_ne_u64_e32 vcc, 0, v[60:61]
                                        ; implicit-def: $vgpr34
	s_and_saveexec_b64 s[30:31], vcc
	s_xor_b64 vcc, exec, s[30:31]
; %bb.569:                              ;   in Loop: Header=BB4_357 Depth=4
	v_or_b32_sdwa v34, v0, s44 dst_sel:DWORD dst_unused:UNUSED_PAD src0_sel:BYTE_3 src1_sel:DWORD
                                        ; implicit-def: $vgpr0
; %bb.570:                              ;   in Loop: Header=BB4_357 Depth=4
	s_andn2_saveexec_b64 s[30:31], vcc
; %bb.571:                              ;   in Loop: Header=BB4_357 Depth=4
	v_cmp_lt_i32_e32 vcc, -1, v0
	v_bfrev_b32_e32 v0, 0.5
	v_mov_b32_e32 v1, 0x7c
	v_cndmask_b32_e32 v34, v0, v1, vcc
; %bb.572:                              ;   in Loop: Header=BB4_357 Depth=4
	s_or_b64 exec, exec, s[30:31]
.LBB4_573:                              ;   in Loop: Header=BB4_357 Depth=4
	s_or_b64 exec, exec, s[28:29]
	v_lshrrev_b32_e32 v0, 16, v21
	v_cmp_ne_u16_sdwa vcc, v0, v61 src0_sel:BYTE_0 src1_sel:DWORD
	v_mov_b32_e32 v1, 0
	v_mov_b32_e32 v2, 0
	s_and_saveexec_b64 s[28:29], vcc
	s_cbranch_execz .LBB4_581
; %bb.574:                              ;   in Loop: Header=BB4_357 Depth=4
	v_cmp_ne_u16_sdwa vcc, v0, s81 src0_sel:BYTE_0 src1_sel:DWORD
	v_bfrev_b32_e32 v2, 1
	s_and_saveexec_b64 s[30:31], vcc
	s_cbranch_execz .LBB4_580
; %bb.575:                              ;   in Loop: Header=BB4_357 Depth=4
	v_and_b32_e32 v2, 0x7c0000, v21
	v_bfe_u32 v4, v21, 16, 2
	v_cmp_ne_u32_e32 vcc, s45, v2
                                        ; implicit-def: $vgpr2
	s_and_saveexec_b64 s[34:35], vcc
	s_xor_b64 s[34:35], exec, s[34:35]
	s_cbranch_execz .LBB4_577
; %bb.576:                              ;   in Loop: Header=BB4_357 Depth=4
	v_ffbh_u32_e32 v35, v4
	v_min_u32_e32 v37, 32, v35
	v_subrev_u32_e32 v35, 29, v37
	v_lshlrev_b64 v[35:36], v35, v[0:1]
	v_bfe_u32 v2, v21, 18, 5
	v_sub_u32_e32 v0, 30, v37
	v_and_b32_e32 v35, 3, v35
	v_cmp_eq_u32_e32 vcc, 0, v2
	v_cndmask_b32_e32 v0, v2, v0, vcc
	v_cndmask_b32_e32 v2, v4, v35, vcc
	v_lshlrev_b32_e32 v4, 8, v21
	v_and_b32_e32 v4, 0x80000000, v4
	v_lshl_add_u32 v0, v0, 23, v4
	v_lshl_or_b32 v0, v2, 21, v0
	v_add_u32_e32 v2, 0x38000000, v0
                                        ; implicit-def: $vgpr4
                                        ; implicit-def: $vgpr0
.LBB4_577:                              ;   in Loop: Header=BB4_357 Depth=4
	s_andn2_saveexec_b64 s[34:35], s[34:35]
; %bb.578:                              ;   in Loop: Header=BB4_357 Depth=4
	v_mov_b32_e32 v2, -1
	v_cmp_gt_i16_sdwa vcc, sext(v0), v2 src0_sel:BYTE_0 src1_sel:DWORD
	v_mov_b32_e32 v0, 0xff800000
	v_cndmask_b32_e32 v0, v0, v47, vcc
	v_cmp_eq_u32_e32 vcc, 0, v4
	v_mov_b32_e32 v2, 0x7f800001
	v_cndmask_b32_e32 v2, v2, v0, vcc
; %bb.579:                              ;   in Loop: Header=BB4_357 Depth=4
	s_or_b64 exec, exec, s[34:35]
.LBB4_580:                              ;   in Loop: Header=BB4_357 Depth=4
	s_or_b64 exec, exec, s[30:31]
.LBB4_581:                              ;   in Loop: Header=BB4_357 Depth=4
	s_or_b64 exec, exec, s[28:29]
	v_lshrrev_b32_e32 v0, 16, v17
	v_cmp_ne_u16_sdwa vcc, v0, v61 src0_sel:BYTE_0 src1_sel:DWORD
	s_and_saveexec_b64 s[28:29], vcc
	s_cbranch_execz .LBB4_589
; %bb.582:                              ;   in Loop: Header=BB4_357 Depth=4
	v_cmp_ne_u16_sdwa vcc, v0, s81 src0_sel:BYTE_0 src1_sel:DWORD
	v_bfrev_b32_e32 v1, 1
	s_and_saveexec_b64 s[30:31], vcc
	s_cbranch_execz .LBB4_588
; %bb.583:                              ;   in Loop: Header=BB4_357 Depth=4
	v_and_b32_e32 v1, 0x7c0000, v17
	v_bfe_u32 v4, v17, 16, 2
	v_cmp_ne_u32_e32 vcc, s45, v1
                                        ; implicit-def: $vgpr1
	s_and_saveexec_b64 s[34:35], vcc
	s_xor_b64 s[34:35], exec, s[34:35]
	s_cbranch_execz .LBB4_585
; %bb.584:                              ;   in Loop: Header=BB4_357 Depth=4
	v_ffbh_u32_e32 v1, v4
	v_min_u32_e32 v36, 32, v1
	v_subrev_u32_e32 v1, 29, v36
	v_lshlrev_b64 v[0:1], v1, v[0:1]
	v_bfe_u32 v35, v17, 18, 5
	v_and_b32_e32 v0, 3, v0
	v_cmp_eq_u32_e32 vcc, 0, v35
	v_sub_u32_e32 v1, 30, v36
	v_cndmask_b32_e32 v0, v4, v0, vcc
	v_lshlrev_b32_e32 v4, 8, v17
	v_cndmask_b32_e32 v1, v35, v1, vcc
	v_and_b32_e32 v4, 0x80000000, v4
	v_lshl_add_u32 v1, v1, 23, v4
	v_lshl_or_b32 v0, v0, 21, v1
	v_add_u32_e32 v1, 0x38000000, v0
                                        ; implicit-def: $vgpr4
                                        ; implicit-def: $vgpr0
.LBB4_585:                              ;   in Loop: Header=BB4_357 Depth=4
	s_andn2_saveexec_b64 s[34:35], s[34:35]
; %bb.586:                              ;   in Loop: Header=BB4_357 Depth=4
	v_mov_b32_e32 v1, -1
	v_cmp_gt_i16_sdwa vcc, sext(v0), v1 src0_sel:BYTE_0 src1_sel:DWORD
	v_mov_b32_e32 v0, 0xff800000
	v_cndmask_b32_e32 v0, v0, v47, vcc
	v_cmp_eq_u32_e32 vcc, 0, v4
	v_mov_b32_e32 v1, 0x7f800001
	v_cndmask_b32_e32 v1, v1, v0, vcc
; %bb.587:                              ;   in Loop: Header=BB4_357 Depth=4
	s_or_b64 exec, exec, s[34:35]
.LBB4_588:                              ;   in Loop: Header=BB4_357 Depth=4
	s_or_b64 exec, exec, s[30:31]
.LBB4_589:                              ;   in Loop: Header=BB4_357 Depth=4
	s_or_b64 exec, exec, s[28:29]
	v_mul_f32_e32 v0, v2, v1
	v_and_b32_e32 v1, 0x7f800000, v0
	v_mov_b32_e32 v2, v61
	v_cmp_ne_u64_e32 vcc, s[62:63], v[1:2]
	v_and_b32_e32 v60, 0x7fffff, v0
                                        ; implicit-def: $vgpr35
	s_and_saveexec_b64 s[28:29], vcc
	s_xor_b64 s[30:31], exec, s[28:29]
	s_cbranch_execz .LBB4_603
; %bb.590:                              ;   in Loop: Header=BB4_357 Depth=4
	v_and_b32_e32 v1, 0x7fffffff, v0
	v_mov_b32_e32 v2, v61
	v_cmp_gt_u64_e32 vcc, s[78:79], v[1:2]
	v_and_b32_sdwa v36, v0, s81 dst_sel:DWORD dst_unused:UNUSED_PAD src0_sel:BYTE_3 src1_sel:DWORD
                                        ; implicit-def: $vgpr35
	s_and_saveexec_b64 s[28:29], vcc
	s_xor_b64 s[34:35], exec, s[28:29]
	s_cbranch_execz .LBB4_600
; %bb.591:                              ;   in Loop: Header=BB4_357 Depth=4
	v_mov_b32_e32 v35, 0
	v_cmp_ne_u32_e32 vcc, 0, v0
	s_and_saveexec_b64 s[36:37], vcc
	s_cbranch_execz .LBB4_599
; %bb.592:                              ;   in Loop: Header=BB4_357 Depth=4
	v_bfe_u32 v4, v0, 23, 8
	v_cmp_gt_u32_e64 s[28:29], s47, v4
	v_sub_u32_e32 v0, 0x71, v4
	v_cmp_eq_u32_e32 vcc, 0, v4
	v_cndmask_b32_e64 v0, 0, v0, s[28:29]
	v_mov_b32_e32 v2, 0x70
	v_cndmask_b32_e32 v35, v0, v2, vcc
	v_or_b32_e32 v1, 0x800000, v60
	v_add_u32_e32 v0, 21, v35
	v_cndmask_b32_e32 v60, v1, v60, vcc
	v_lshlrev_b64 v[0:1], v0, -1
	v_add_u32_e32 v2, 20, v35
	v_lshlrev_b64 v[50:51], v2, 1
	v_bfi_b32 v1, v1, 0, 0
	v_bfi_b32 v0, v0, 0, v60
	v_cmp_eq_u64_e64 s[28:29], v[0:1], v[50:51]
	v_lshrrev_b64 v[0:1], v35, v[60:61]
	v_mov_b32_e32 v2, v1
	v_mov_b32_e32 v1, v0
	s_and_saveexec_b64 s[38:39], s[28:29]
; %bb.593:                              ;   in Loop: Header=BB4_357 Depth=4
	v_bfe_u32 v1, v0, 21, 1
	v_add_co_u32_e64 v1, s[28:29], v0, v1
	v_add_co_u32_e64 v1, s[28:29], -1, v1
; %bb.594:                              ;   in Loop: Header=BB4_357 Depth=4
	s_or_b64 exec, exec, s[38:39]
	v_add_u32_e32 v2, 0xffffff81, v4
	v_mov_b32_e32 v4, 0xffffff82
	v_cndmask_b32_e32 v2, v2, v4, vcc
	v_lshrrev_b32_e32 v4, 23, v0
	v_add3_u32 v35, v35, v2, v4
	v_add_u32_e32 v4, 14, v35
	v_and_b32_e32 v1, 0x1fffff, v1
	v_add_u32_e32 v60, v1, v0
	v_cmp_ne_u32_e32 vcc, 0, v4
                                        ; implicit-def: $vgpr0_vgpr1
                                        ; implicit-def: $vgpr2
	s_and_saveexec_b64 s[28:29], vcc
	s_xor_b64 s[28:29], exec, s[28:29]
; %bb.595:                              ;   in Loop: Header=BB4_357 Depth=4
	v_cmp_lt_u64_e32 vcc, s[88:89], v[60:61]
	v_add_u32_e32 v0, 15, v35
	v_cndmask_b32_e32 v2, v4, v0, vcc
	v_cndmask_b32_e64 v0, 0, 1, vcc
	v_lshrrev_b64 v[0:1], v0, v[60:61]
; %bb.596:                              ;   in Loop: Header=BB4_357 Depth=4
	s_andn2_saveexec_b64 s[28:29], s[28:29]
; %bb.597:                              ;   in Loop: Header=BB4_357 Depth=4
	v_mov_b32_e32 v0, v60
	v_bfe_u32 v2, v60, 23, 1
	v_mov_b32_e32 v1, v61
; %bb.598:                              ;   in Loop: Header=BB4_357 Depth=4
	s_or_b64 exec, exec, s[28:29]
	v_lshrrev_b64 v[0:1], 21, v[0:1]
	v_cmp_gt_i32_e32 vcc, 32, v2
	v_cndmask_b32_e32 v1, 0, v1, vcc
	v_cndmask_b32_e32 v0, 3, v0, vcc
	v_cmp_eq_u64_e64 s[28:29], 0, v[0:1]
	v_min_i32_e32 v1, 31, v2
	v_lshlrev_b32_e32 v1, 2, v1
	v_cmp_eq_u32_e32 vcc, 0, v2
	v_and_b32_e32 v1, 0xfc, v1
	v_and_or_b32 v0, v0, 3, v1
	s_and_b64 s[28:29], vcc, s[28:29]
	v_cndmask_b32_e64 v0, v0, 0, s[28:29]
	v_or_b32_e32 v35, v0, v36
.LBB4_599:                              ;   in Loop: Header=BB4_357 Depth=4
	s_or_b64 exec, exec, s[36:37]
                                        ; implicit-def: $vgpr36
.LBB4_600:                              ;   in Loop: Header=BB4_357 Depth=4
	s_andn2_saveexec_b64 s[28:29], s[34:35]
; %bb.601:                              ;   in Loop: Header=BB4_357 Depth=4
	v_or_b32_e32 v35, 0x7b, v36
; %bb.602:                              ;   in Loop: Header=BB4_357 Depth=4
	s_or_b64 exec, exec, s[28:29]
                                        ; implicit-def: $vgpr0
.LBB4_603:                              ;   in Loop: Header=BB4_357 Depth=4
	s_andn2_saveexec_b64 s[28:29], s[30:31]
	s_cbranch_execz .LBB4_609
; %bb.604:                              ;   in Loop: Header=BB4_357 Depth=4
	v_cmp_ne_u64_e32 vcc, 0, v[60:61]
                                        ; implicit-def: $vgpr35
	s_and_saveexec_b64 s[30:31], vcc
	s_xor_b64 vcc, exec, s[30:31]
; %bb.605:                              ;   in Loop: Header=BB4_357 Depth=4
	v_or_b32_sdwa v35, v0, s44 dst_sel:DWORD dst_unused:UNUSED_PAD src0_sel:BYTE_3 src1_sel:DWORD
                                        ; implicit-def: $vgpr0
; %bb.606:                              ;   in Loop: Header=BB4_357 Depth=4
	s_andn2_saveexec_b64 s[30:31], vcc
; %bb.607:                              ;   in Loop: Header=BB4_357 Depth=4
	v_cmp_lt_i32_e32 vcc, -1, v0
	v_bfrev_b32_e32 v0, 0.5
	v_mov_b32_e32 v1, 0x7c
	v_cndmask_b32_e32 v35, v0, v1, vcc
; %bb.608:                              ;   in Loop: Header=BB4_357 Depth=4
	s_or_b64 exec, exec, s[30:31]
.LBB4_609:                              ;   in Loop: Header=BB4_357 Depth=4
	s_or_b64 exec, exec, s[28:29]
	v_cmp_lt_u64_e32 vcc, s[56:57], v[20:21]
	v_mov_b32_e32 v1, 0
	v_mov_b32_e32 v2, 0
	s_and_saveexec_b64 s[28:29], vcc
	s_cbranch_execz .LBB4_617
; %bb.610:                              ;   in Loop: Header=BB4_357 Depth=4
	v_lshrrev_b32_e32 v0, 24, v21
	v_cmp_ne_u32_e32 vcc, s81, v0
	v_bfrev_b32_e32 v2, 1
	s_and_saveexec_b64 s[30:31], vcc
	s_cbranch_execz .LBB4_616
; %bb.611:                              ;   in Loop: Header=BB4_357 Depth=4
	v_and_b32_e32 v2, 0x7c000000, v21
	v_bfe_u32 v4, v21, 24, 2
	v_cmp_ne_u32_e32 vcc, s82, v2
                                        ; implicit-def: $vgpr2
	s_and_saveexec_b64 s[34:35], vcc
	s_xor_b64 s[34:35], exec, s[34:35]
	s_cbranch_execz .LBB4_613
; %bb.612:                              ;   in Loop: Header=BB4_357 Depth=4
	v_ffbh_u32_e32 v36, v4
	v_min_u32_e32 v39, 32, v36
	v_subrev_u32_e32 v36, 29, v39
	v_lshlrev_b64 v[36:37], v36, v[0:1]
	v_bfe_u32 v2, v21, 26, 5
	v_sub_u32_e32 v0, 30, v39
	v_and_b32_e32 v36, 3, v36
	v_cmp_eq_u32_e32 vcc, 0, v2
	v_cndmask_b32_e32 v0, v2, v0, vcc
	v_cndmask_b32_e32 v2, v4, v36, vcc
	v_and_b32_e32 v4, 0x80000000, v21
	v_lshl_add_u32 v0, v0, 23, v4
	v_lshl_or_b32 v0, v2, 21, v0
	v_add_u32_e32 v2, 0x38000000, v0
                                        ; implicit-def: $vgpr4
.LBB4_613:                              ;   in Loop: Header=BB4_357 Depth=4
	s_andn2_saveexec_b64 s[34:35], s[34:35]
; %bb.614:                              ;   in Loop: Header=BB4_357 Depth=4
	v_cmp_lt_i64_e32 vcc, -1, v[20:21]
	v_mov_b32_e32 v0, 0xff800000
	v_cndmask_b32_e32 v0, v0, v47, vcc
	v_cmp_eq_u32_e32 vcc, 0, v4
	v_mov_b32_e32 v2, 0x7f800001
	v_cndmask_b32_e32 v2, v2, v0, vcc
; %bb.615:                              ;   in Loop: Header=BB4_357 Depth=4
	s_or_b64 exec, exec, s[34:35]
.LBB4_616:                              ;   in Loop: Header=BB4_357 Depth=4
	s_or_b64 exec, exec, s[30:31]
.LBB4_617:                              ;   in Loop: Header=BB4_357 Depth=4
	s_or_b64 exec, exec, s[28:29]
	v_cmp_lt_u64_e32 vcc, s[56:57], v[16:17]
	s_and_saveexec_b64 s[28:29], vcc
	s_cbranch_execz .LBB4_625
; %bb.618:                              ;   in Loop: Header=BB4_357 Depth=4
	v_lshrrev_b32_e32 v0, 24, v17
	v_cmp_ne_u32_e32 vcc, s81, v0
	v_bfrev_b32_e32 v1, 1
	s_and_saveexec_b64 s[30:31], vcc
	s_cbranch_execz .LBB4_624
; %bb.619:                              ;   in Loop: Header=BB4_357 Depth=4
	v_and_b32_e32 v1, 0x7c000000, v17
	v_bfe_u32 v4, v17, 24, 2
	v_cmp_ne_u32_e32 vcc, s82, v1
                                        ; implicit-def: $vgpr1
	s_and_saveexec_b64 s[34:35], vcc
	s_xor_b64 s[34:35], exec, s[34:35]
	s_cbranch_execz .LBB4_621
; %bb.620:                              ;   in Loop: Header=BB4_357 Depth=4
	v_ffbh_u32_e32 v1, v4
	v_min_u32_e32 v21, 32, v1
	v_subrev_u32_e32 v1, 29, v21
	v_lshlrev_b64 v[0:1], v1, v[0:1]
	v_bfe_u32 v20, v17, 26, 5
	v_sub_u32_e32 v1, 30, v21
	v_and_b32_e32 v0, 3, v0
	v_cmp_eq_u32_e32 vcc, 0, v20
	v_cndmask_b32_e32 v1, v20, v1, vcc
	v_cndmask_b32_e32 v0, v4, v0, vcc
	v_and_b32_e32 v4, 0x80000000, v17
	v_lshl_add_u32 v1, v1, 23, v4
	v_lshl_or_b32 v0, v0, 21, v1
	v_add_u32_e32 v1, 0x38000000, v0
                                        ; implicit-def: $vgpr4
.LBB4_621:                              ;   in Loop: Header=BB4_357 Depth=4
	s_andn2_saveexec_b64 s[34:35], s[34:35]
; %bb.622:                              ;   in Loop: Header=BB4_357 Depth=4
	v_cmp_lt_i64_e32 vcc, -1, v[16:17]
	v_mov_b32_e32 v0, 0xff800000
	v_cndmask_b32_e32 v0, v0, v47, vcc
	v_cmp_eq_u32_e32 vcc, 0, v4
	v_mov_b32_e32 v1, 0x7f800001
	v_cndmask_b32_e32 v1, v1, v0, vcc
; %bb.623:                              ;   in Loop: Header=BB4_357 Depth=4
	s_or_b64 exec, exec, s[34:35]
.LBB4_624:                              ;   in Loop: Header=BB4_357 Depth=4
	s_or_b64 exec, exec, s[30:31]
.LBB4_625:                              ;   in Loop: Header=BB4_357 Depth=4
	s_or_b64 exec, exec, s[28:29]
	v_mul_f32_e32 v0, v2, v1
	v_and_b32_e32 v1, 0x7f800000, v0
	v_mov_b32_e32 v2, v61
	v_cmp_ne_u64_e32 vcc, s[62:63], v[1:2]
	v_and_b32_e32 v60, 0x7fffff, v0
                                        ; implicit-def: $vgpr16
	s_and_saveexec_b64 s[28:29], vcc
	s_xor_b64 s[30:31], exec, s[28:29]
	s_cbranch_execz .LBB4_639
; %bb.626:                              ;   in Loop: Header=BB4_357 Depth=4
	v_and_b32_e32 v1, 0x7fffffff, v0
	v_mov_b32_e32 v2, v61
	v_cmp_gt_u64_e32 vcc, s[78:79], v[1:2]
	v_and_b32_sdwa v17, v0, s81 dst_sel:DWORD dst_unused:UNUSED_PAD src0_sel:BYTE_3 src1_sel:DWORD
                                        ; implicit-def: $vgpr16
	s_and_saveexec_b64 s[28:29], vcc
	s_xor_b64 s[34:35], exec, s[28:29]
	s_cbranch_execz .LBB4_636
; %bb.627:                              ;   in Loop: Header=BB4_357 Depth=4
	v_mov_b32_e32 v16, 0
	v_cmp_ne_u32_e32 vcc, 0, v0
	s_and_saveexec_b64 s[36:37], vcc
	s_cbranch_execz .LBB4_635
; %bb.628:                              ;   in Loop: Header=BB4_357 Depth=4
	v_bfe_u32 v4, v0, 23, 8
	v_cmp_gt_u32_e64 s[28:29], s47, v4
	v_sub_u32_e32 v0, 0x71, v4
	v_cmp_eq_u32_e32 vcc, 0, v4
	v_cndmask_b32_e64 v0, 0, v0, s[28:29]
	v_mov_b32_e32 v2, 0x70
	v_cndmask_b32_e32 v16, v0, v2, vcc
	v_or_b32_e32 v1, 0x800000, v60
	v_add_u32_e32 v0, 21, v16
	v_cndmask_b32_e32 v60, v1, v60, vcc
	v_lshlrev_b64 v[0:1], v0, -1
	v_add_u32_e32 v2, 20, v16
	v_lshlrev_b64 v[20:21], v2, 1
	v_bfi_b32 v1, v1, 0, 0
	v_bfi_b32 v0, v0, 0, v60
	v_cmp_eq_u64_e64 s[28:29], v[0:1], v[20:21]
	v_lshrrev_b64 v[0:1], v16, v[60:61]
	v_mov_b32_e32 v2, v1
	v_mov_b32_e32 v1, v0
	s_and_saveexec_b64 s[38:39], s[28:29]
; %bb.629:                              ;   in Loop: Header=BB4_357 Depth=4
	v_bfe_u32 v1, v0, 21, 1
	v_add_co_u32_e64 v1, s[28:29], v0, v1
	v_add_co_u32_e64 v1, s[28:29], -1, v1
; %bb.630:                              ;   in Loop: Header=BB4_357 Depth=4
	s_or_b64 exec, exec, s[38:39]
	v_add_u32_e32 v2, 0xffffff81, v4
	v_mov_b32_e32 v4, 0xffffff82
	v_cndmask_b32_e32 v2, v2, v4, vcc
	v_lshrrev_b32_e32 v4, 23, v0
	v_add3_u32 v16, v16, v2, v4
	v_add_u32_e32 v4, 14, v16
	v_and_b32_e32 v1, 0x1fffff, v1
	v_add_u32_e32 v60, v1, v0
	v_cmp_ne_u32_e32 vcc, 0, v4
                                        ; implicit-def: $vgpr0_vgpr1
                                        ; implicit-def: $vgpr2
	s_and_saveexec_b64 s[28:29], vcc
	s_xor_b64 s[28:29], exec, s[28:29]
; %bb.631:                              ;   in Loop: Header=BB4_357 Depth=4
	v_cmp_lt_u64_e32 vcc, s[88:89], v[60:61]
	v_add_u32_e32 v0, 15, v16
	v_cndmask_b32_e32 v2, v4, v0, vcc
	v_cndmask_b32_e64 v0, 0, 1, vcc
	v_lshrrev_b64 v[0:1], v0, v[60:61]
; %bb.632:                              ;   in Loop: Header=BB4_357 Depth=4
	s_andn2_saveexec_b64 s[28:29], s[28:29]
; %bb.633:                              ;   in Loop: Header=BB4_357 Depth=4
	v_mov_b32_e32 v0, v60
	v_bfe_u32 v2, v60, 23, 1
	v_mov_b32_e32 v1, v61
; %bb.634:                              ;   in Loop: Header=BB4_357 Depth=4
	s_or_b64 exec, exec, s[28:29]
	v_lshrrev_b64 v[0:1], 21, v[0:1]
	v_cmp_gt_i32_e32 vcc, 32, v2
	v_cndmask_b32_e32 v1, 0, v1, vcc
	v_cndmask_b32_e32 v0, 3, v0, vcc
	v_cmp_eq_u64_e64 s[28:29], 0, v[0:1]
	v_min_i32_e32 v1, 31, v2
	v_lshlrev_b32_e32 v1, 2, v1
	v_cmp_eq_u32_e32 vcc, 0, v2
	v_and_b32_e32 v1, 0xfc, v1
	v_and_or_b32 v0, v0, 3, v1
	s_and_b64 s[28:29], vcc, s[28:29]
	v_cndmask_b32_e64 v0, v0, 0, s[28:29]
	v_or_b32_e32 v16, v0, v17
.LBB4_635:                              ;   in Loop: Header=BB4_357 Depth=4
	s_or_b64 exec, exec, s[36:37]
                                        ; implicit-def: $vgpr17
.LBB4_636:                              ;   in Loop: Header=BB4_357 Depth=4
	s_andn2_saveexec_b64 s[28:29], s[34:35]
; %bb.637:                              ;   in Loop: Header=BB4_357 Depth=4
	v_or_b32_e32 v16, 0x7b, v17
; %bb.638:                              ;   in Loop: Header=BB4_357 Depth=4
	s_or_b64 exec, exec, s[28:29]
                                        ; implicit-def: $vgpr0
.LBB4_639:                              ;   in Loop: Header=BB4_357 Depth=4
	s_andn2_saveexec_b64 s[28:29], s[30:31]
	s_cbranch_execz .LBB4_645
; %bb.640:                              ;   in Loop: Header=BB4_357 Depth=4
	v_cmp_ne_u64_e32 vcc, 0, v[60:61]
                                        ; implicit-def: $vgpr16
	s_and_saveexec_b64 s[30:31], vcc
	s_xor_b64 vcc, exec, s[30:31]
; %bb.641:                              ;   in Loop: Header=BB4_357 Depth=4
	v_or_b32_sdwa v16, v0, s44 dst_sel:DWORD dst_unused:UNUSED_PAD src0_sel:BYTE_3 src1_sel:DWORD
                                        ; implicit-def: $vgpr0
; %bb.642:                              ;   in Loop: Header=BB4_357 Depth=4
	s_andn2_saveexec_b64 s[30:31], vcc
; %bb.643:                              ;   in Loop: Header=BB4_357 Depth=4
	v_cmp_lt_i32_e32 vcc, -1, v0
	v_bfrev_b32_e32 v0, 0.5
	v_mov_b32_e32 v1, 0x7c
	v_cndmask_b32_e32 v16, v0, v1, vcc
; %bb.644:                              ;   in Loop: Header=BB4_357 Depth=4
	s_or_b64 exec, exec, s[30:31]
.LBB4_645:                              ;   in Loop: Header=BB4_357 Depth=4
	s_or_b64 exec, exec, s[28:29]
	v_cmp_ne_u16_sdwa vcc, v22, v61 src0_sel:BYTE_0 src1_sel:DWORD
	v_mov_b32_e32 v0, 0
	v_mov_b32_e32 v1, 0
	s_and_saveexec_b64 s[28:29], vcc
	s_cbranch_execz .LBB4_653
; %bb.646:                              ;   in Loop: Header=BB4_357 Depth=4
	v_cmp_ne_u16_sdwa vcc, sext(v22), s70 src0_sel:BYTE_0 src1_sel:DWORD
	v_bfrev_b32_e32 v1, 1
	s_and_saveexec_b64 s[30:31], vcc
	s_cbranch_execz .LBB4_652
; %bb.647:                              ;   in Loop: Header=BB4_357 Depth=4
	v_and_b32_e32 v1, 0x7c, v22
	v_and_b32_e32 v2, 3, v22
	v_cmp_ne_u32_e32 vcc, s71, v1
                                        ; implicit-def: $vgpr1
	s_and_saveexec_b64 s[34:35], vcc
	s_xor_b64 s[34:35], exec, s[34:35]
	s_cbranch_execz .LBB4_649
; %bb.648:                              ;   in Loop: Header=BB4_357 Depth=4
	v_ffbh_u32_e32 v4, v2
	v_min_u32_e32 v4, 32, v4
	v_bfe_u32 v1, v22, 2, 5
	v_subrev_u32_e32 v17, 29, v4
	v_lshlrev_b64 v[20:21], v17, v[22:23]
	v_sub_u32_e32 v4, 30, v4
	v_cmp_eq_u32_e32 vcc, 0, v1
	v_cndmask_b32_e32 v1, v1, v4, vcc
	v_lshlrev_b32_e32 v4, 24, v22
	v_and_b32_e32 v17, 3, v20
	v_and_b32_e32 v4, 0x80000000, v4
	v_cndmask_b32_e32 v2, v2, v17, vcc
	v_lshl_add_u32 v1, v1, 23, v4
	v_lshl_or_b32 v1, v2, 21, v1
	v_add_u32_e32 v1, 0x38000000, v1
                                        ; implicit-def: $vgpr2
.LBB4_649:                              ;   in Loop: Header=BB4_357 Depth=4
	s_andn2_saveexec_b64 s[34:35], s[34:35]
; %bb.650:                              ;   in Loop: Header=BB4_357 Depth=4
	v_mov_b32_e32 v1, -1
	v_cmp_gt_i16_sdwa vcc, sext(v22), v1 src0_sel:BYTE_0 src1_sel:DWORD
	v_mov_b32_e32 v1, 0xff800000
	v_cndmask_b32_e32 v1, v1, v47, vcc
	v_cmp_eq_u32_e32 vcc, 0, v2
	v_mov_b32_e32 v2, 0x7f800001
	v_cndmask_b32_e32 v1, v2, v1, vcc
; %bb.651:                              ;   in Loop: Header=BB4_357 Depth=4
	s_or_b64 exec, exec, s[34:35]
.LBB4_652:                              ;   in Loop: Header=BB4_357 Depth=4
	s_or_b64 exec, exec, s[30:31]
.LBB4_653:                              ;   in Loop: Header=BB4_357 Depth=4
	s_or_b64 exec, exec, s[28:29]
	v_cmp_ne_u16_sdwa vcc, v18, v61 src0_sel:BYTE_0 src1_sel:DWORD
	s_and_saveexec_b64 s[28:29], vcc
	s_cbranch_execz .LBB4_661
; %bb.654:                              ;   in Loop: Header=BB4_357 Depth=4
	v_cmp_ne_u16_sdwa vcc, sext(v18), s70 src0_sel:BYTE_0 src1_sel:DWORD
	v_bfrev_b32_e32 v0, 1
	s_and_saveexec_b64 s[30:31], vcc
	s_cbranch_execz .LBB4_660
; %bb.655:                              ;   in Loop: Header=BB4_357 Depth=4
	v_and_b32_e32 v0, 0x7c, v18
	v_and_b32_e32 v2, 3, v18
	v_cmp_ne_u32_e32 vcc, s71, v0
                                        ; implicit-def: $vgpr0
	s_and_saveexec_b64 s[34:35], vcc
	s_xor_b64 s[34:35], exec, s[34:35]
	s_cbranch_execz .LBB4_657
; %bb.656:                              ;   in Loop: Header=BB4_357 Depth=4
	v_ffbh_u32_e32 v4, v2
	v_min_u32_e32 v4, 32, v4
	v_bfe_u32 v0, v18, 2, 5
	v_subrev_u32_e32 v17, 29, v4
	v_lshlrev_b64 v[20:21], v17, v[18:19]
	v_sub_u32_e32 v4, 30, v4
	v_cmp_eq_u32_e32 vcc, 0, v0
	v_cndmask_b32_e32 v0, v0, v4, vcc
	v_lshlrev_b32_e32 v4, 24, v18
	v_and_b32_e32 v17, 3, v20
	v_and_b32_e32 v4, 0x80000000, v4
	v_cndmask_b32_e32 v2, v2, v17, vcc
	v_lshl_add_u32 v0, v0, 23, v4
	v_lshl_or_b32 v0, v2, 21, v0
	v_add_u32_e32 v0, 0x38000000, v0
                                        ; implicit-def: $vgpr2
.LBB4_657:                              ;   in Loop: Header=BB4_357 Depth=4
	s_andn2_saveexec_b64 s[34:35], s[34:35]
; %bb.658:                              ;   in Loop: Header=BB4_357 Depth=4
	v_mov_b32_e32 v0, -1
	v_cmp_gt_i16_sdwa vcc, sext(v18), v0 src0_sel:BYTE_0 src1_sel:DWORD
	v_mov_b32_e32 v0, 0xff800000
	v_cndmask_b32_e32 v0, v0, v47, vcc
	v_cmp_eq_u32_e32 vcc, 0, v2
	v_mov_b32_e32 v2, 0x7f800001
	v_cndmask_b32_e32 v0, v2, v0, vcc
; %bb.659:                              ;   in Loop: Header=BB4_357 Depth=4
	s_or_b64 exec, exec, s[34:35]
.LBB4_660:                              ;   in Loop: Header=BB4_357 Depth=4
	s_or_b64 exec, exec, s[30:31]
.LBB4_661:                              ;   in Loop: Header=BB4_357 Depth=4
	s_or_b64 exec, exec, s[28:29]
	v_mul_f32_e32 v0, v1, v0
	v_and_b32_e32 v1, 0x7f800000, v0
	v_mov_b32_e32 v2, v61
	v_cmp_ne_u64_e32 vcc, s[62:63], v[1:2]
	v_and_b32_e32 v60, 0x7fffff, v0
                                        ; implicit-def: $vgpr17
	s_and_saveexec_b64 s[28:29], vcc
	s_xor_b64 s[30:31], exec, s[28:29]
	s_cbranch_execz .LBB4_675
; %bb.662:                              ;   in Loop: Header=BB4_357 Depth=4
	v_and_b32_e32 v1, 0x7fffffff, v0
	v_mov_b32_e32 v2, v61
	v_cmp_gt_u64_e32 vcc, s[78:79], v[1:2]
	v_and_b32_sdwa v20, v0, s81 dst_sel:DWORD dst_unused:UNUSED_PAD src0_sel:BYTE_3 src1_sel:DWORD
                                        ; implicit-def: $vgpr17
	s_and_saveexec_b64 s[28:29], vcc
	s_xor_b64 s[34:35], exec, s[28:29]
	s_cbranch_execz .LBB4_672
; %bb.663:                              ;   in Loop: Header=BB4_357 Depth=4
	v_mov_b32_e32 v17, 0
	v_cmp_ne_u32_e32 vcc, 0, v0
	s_and_saveexec_b64 s[36:37], vcc
	s_cbranch_execz .LBB4_671
; %bb.664:                              ;   in Loop: Header=BB4_357 Depth=4
	v_bfe_u32 v4, v0, 23, 8
	v_cmp_gt_u32_e64 s[28:29], s47, v4
	v_sub_u32_e32 v0, 0x71, v4
	v_cmp_eq_u32_e32 vcc, 0, v4
	v_cndmask_b32_e64 v0, 0, v0, s[28:29]
	v_mov_b32_e32 v2, 0x70
	v_cndmask_b32_e32 v17, v0, v2, vcc
	v_or_b32_e32 v1, 0x800000, v60
	v_add_u32_e32 v0, 21, v17
	v_cndmask_b32_e32 v60, v1, v60, vcc
	v_lshlrev_b64 v[0:1], v0, -1
	v_add_u32_e32 v2, 20, v17
	v_lshlrev_b64 v[36:37], v2, 1
	v_bfi_b32 v1, v1, 0, 0
	v_bfi_b32 v0, v0, 0, v60
	v_cmp_eq_u64_e64 s[28:29], v[0:1], v[36:37]
	v_lshrrev_b64 v[0:1], v17, v[60:61]
	v_mov_b32_e32 v2, v1
	v_mov_b32_e32 v1, v0
	s_and_saveexec_b64 s[38:39], s[28:29]
; %bb.665:                              ;   in Loop: Header=BB4_357 Depth=4
	v_bfe_u32 v1, v0, 21, 1
	v_add_co_u32_e64 v1, s[28:29], v0, v1
	v_add_co_u32_e64 v1, s[28:29], -1, v1
; %bb.666:                              ;   in Loop: Header=BB4_357 Depth=4
	s_or_b64 exec, exec, s[38:39]
	v_add_u32_e32 v2, 0xffffff81, v4
	v_mov_b32_e32 v4, 0xffffff82
	v_cndmask_b32_e32 v2, v2, v4, vcc
	v_lshrrev_b32_e32 v4, 23, v0
	v_add3_u32 v17, v17, v2, v4
	v_add_u32_e32 v4, 14, v17
	v_and_b32_e32 v1, 0x1fffff, v1
	v_add_u32_e32 v60, v1, v0
	v_cmp_ne_u32_e32 vcc, 0, v4
                                        ; implicit-def: $vgpr0_vgpr1
                                        ; implicit-def: $vgpr2
	s_and_saveexec_b64 s[28:29], vcc
	s_xor_b64 s[28:29], exec, s[28:29]
; %bb.667:                              ;   in Loop: Header=BB4_357 Depth=4
	v_cmp_lt_u64_e32 vcc, s[88:89], v[60:61]
	v_add_u32_e32 v0, 15, v17
	v_cndmask_b32_e32 v2, v4, v0, vcc
	v_cndmask_b32_e64 v0, 0, 1, vcc
	v_lshrrev_b64 v[0:1], v0, v[60:61]
; %bb.668:                              ;   in Loop: Header=BB4_357 Depth=4
	s_andn2_saveexec_b64 s[28:29], s[28:29]
; %bb.669:                              ;   in Loop: Header=BB4_357 Depth=4
	v_mov_b32_e32 v0, v60
	v_bfe_u32 v2, v60, 23, 1
	v_mov_b32_e32 v1, v61
; %bb.670:                              ;   in Loop: Header=BB4_357 Depth=4
	s_or_b64 exec, exec, s[28:29]
	v_lshrrev_b64 v[0:1], 21, v[0:1]
	v_cmp_gt_i32_e32 vcc, 32, v2
	v_cndmask_b32_e32 v1, 0, v1, vcc
	v_cndmask_b32_e32 v0, 3, v0, vcc
	v_cmp_eq_u64_e64 s[28:29], 0, v[0:1]
	v_min_i32_e32 v1, 31, v2
	v_lshlrev_b32_e32 v1, 2, v1
	v_cmp_eq_u32_e32 vcc, 0, v2
	v_and_b32_e32 v1, 0xfc, v1
	v_and_or_b32 v0, v0, 3, v1
	s_and_b64 s[28:29], vcc, s[28:29]
	v_cndmask_b32_e64 v0, v0, 0, s[28:29]
	v_or_b32_e32 v17, v0, v20
.LBB4_671:                              ;   in Loop: Header=BB4_357 Depth=4
	s_or_b64 exec, exec, s[36:37]
                                        ; implicit-def: $vgpr20
.LBB4_672:                              ;   in Loop: Header=BB4_357 Depth=4
	s_andn2_saveexec_b64 s[28:29], s[34:35]
; %bb.673:                              ;   in Loop: Header=BB4_357 Depth=4
	v_or_b32_e32 v17, 0x7b, v20
; %bb.674:                              ;   in Loop: Header=BB4_357 Depth=4
	s_or_b64 exec, exec, s[28:29]
                                        ; implicit-def: $vgpr0
.LBB4_675:                              ;   in Loop: Header=BB4_357 Depth=4
	s_andn2_saveexec_b64 s[28:29], s[30:31]
	s_cbranch_execz .LBB4_681
; %bb.676:                              ;   in Loop: Header=BB4_357 Depth=4
	v_cmp_ne_u64_e32 vcc, 0, v[60:61]
                                        ; implicit-def: $vgpr17
	s_and_saveexec_b64 s[30:31], vcc
	s_xor_b64 vcc, exec, s[30:31]
; %bb.677:                              ;   in Loop: Header=BB4_357 Depth=4
	v_or_b32_sdwa v17, v0, s44 dst_sel:DWORD dst_unused:UNUSED_PAD src0_sel:BYTE_3 src1_sel:DWORD
                                        ; implicit-def: $vgpr0
; %bb.678:                              ;   in Loop: Header=BB4_357 Depth=4
	s_andn2_saveexec_b64 s[30:31], vcc
; %bb.679:                              ;   in Loop: Header=BB4_357 Depth=4
	v_cmp_lt_i32_e32 vcc, -1, v0
	v_bfrev_b32_e32 v0, 0.5
	v_mov_b32_e32 v1, 0x7c
	v_cndmask_b32_e32 v17, v0, v1, vcc
; %bb.680:                              ;   in Loop: Header=BB4_357 Depth=4
	s_or_b64 exec, exec, s[30:31]
.LBB4_681:                              ;   in Loop: Header=BB4_357 Depth=4
	s_or_b64 exec, exec, s[28:29]
	v_lshrrev_b16_e32 v60, 8, v22
	v_cmp_ne_u16_e32 vcc, 0, v60
	v_mov_b32_e32 v0, 0
	v_mov_b32_e32 v1, 0
	s_and_saveexec_b64 s[28:29], vcc
	s_cbranch_execz .LBB4_689
; %bb.682:                              ;   in Loop: Header=BB4_357 Depth=4
	v_cmp_ne_u16_e32 vcc, s81, v60
	v_bfrev_b32_e32 v1, 1
	s_and_saveexec_b64 s[30:31], vcc
	s_cbranch_execz .LBB4_688
; %bb.683:                              ;   in Loop: Header=BB4_357 Depth=4
	v_and_b32_e32 v1, 0x7c, v60
	v_and_b32_e32 v2, 3, v60
	v_cmp_ne_u32_e32 vcc, s71, v1
                                        ; implicit-def: $vgpr1
	s_and_saveexec_b64 s[34:35], vcc
	s_xor_b64 s[34:35], exec, s[34:35]
	s_cbranch_execz .LBB4_685
; %bb.684:                              ;   in Loop: Header=BB4_357 Depth=4
	v_ffbh_u32_e32 v4, v2
	v_min_u32_e32 v4, 32, v4
	v_bfe_u32 v1, v60, 2, 5
	v_subrev_u32_e32 v20, 29, v4
	v_lshlrev_b64 v[20:21], v20, v[60:61]
	v_sub_u32_e32 v4, 30, v4
	v_cmp_eq_u32_e32 vcc, 0, v1
	v_cndmask_b32_e32 v1, v1, v4, vcc
	v_lshlrev_b32_e32 v4, 16, v22
	v_and_b32_e32 v20, 3, v20
	v_and_b32_e32 v4, 0x80000000, v4
	v_cndmask_b32_e32 v2, v2, v20, vcc
	v_lshl_add_u32 v1, v1, 23, v4
	v_lshl_or_b32 v1, v2, 21, v1
	v_add_u32_e32 v1, 0x38000000, v1
                                        ; implicit-def: $vgpr2
.LBB4_685:                              ;   in Loop: Header=BB4_357 Depth=4
	s_andn2_saveexec_b64 s[34:35], s[34:35]
; %bb.686:                              ;   in Loop: Header=BB4_357 Depth=4
	v_cmp_lt_i16_e32 vcc, -1, v22
	v_mov_b32_e32 v1, 0xff800000
	v_cndmask_b32_e32 v1, v1, v47, vcc
	v_cmp_eq_u32_e32 vcc, 0, v2
	v_mov_b32_e32 v2, 0x7f800001
	v_cndmask_b32_e32 v1, v2, v1, vcc
; %bb.687:                              ;   in Loop: Header=BB4_357 Depth=4
	s_or_b64 exec, exec, s[34:35]
.LBB4_688:                              ;   in Loop: Header=BB4_357 Depth=4
	s_or_b64 exec, exec, s[30:31]
.LBB4_689:                              ;   in Loop: Header=BB4_357 Depth=4
	s_or_b64 exec, exec, s[28:29]
	v_lshrrev_b16_e32 v60, 8, v18
	v_cmp_ne_u16_e32 vcc, 0, v60
	s_and_saveexec_b64 s[28:29], vcc
	s_cbranch_execz .LBB4_697
; %bb.690:                              ;   in Loop: Header=BB4_357 Depth=4
	v_cmp_ne_u16_e32 vcc, s81, v60
	v_bfrev_b32_e32 v0, 1
	s_and_saveexec_b64 s[30:31], vcc
	s_cbranch_execz .LBB4_696
; %bb.691:                              ;   in Loop: Header=BB4_357 Depth=4
	v_and_b32_e32 v0, 0x7c, v60
	v_and_b32_e32 v2, 3, v60
	v_cmp_ne_u32_e32 vcc, s71, v0
                                        ; implicit-def: $vgpr0
	s_and_saveexec_b64 s[34:35], vcc
	s_xor_b64 s[34:35], exec, s[34:35]
	s_cbranch_execz .LBB4_693
; %bb.692:                              ;   in Loop: Header=BB4_357 Depth=4
	v_ffbh_u32_e32 v4, v2
	v_min_u32_e32 v4, 32, v4
	v_bfe_u32 v0, v60, 2, 5
	v_subrev_u32_e32 v20, 29, v4
	v_lshlrev_b64 v[20:21], v20, v[60:61]
	v_sub_u32_e32 v4, 30, v4
	v_cmp_eq_u32_e32 vcc, 0, v0
	v_cndmask_b32_e32 v0, v0, v4, vcc
	v_lshlrev_b32_e32 v4, 16, v18
	v_and_b32_e32 v20, 3, v20
	v_and_b32_e32 v4, 0x80000000, v4
	v_cndmask_b32_e32 v2, v2, v20, vcc
	v_lshl_add_u32 v0, v0, 23, v4
	v_lshl_or_b32 v0, v2, 21, v0
	v_add_u32_e32 v0, 0x38000000, v0
                                        ; implicit-def: $vgpr2
.LBB4_693:                              ;   in Loop: Header=BB4_357 Depth=4
	s_andn2_saveexec_b64 s[34:35], s[34:35]
; %bb.694:                              ;   in Loop: Header=BB4_357 Depth=4
	v_cmp_lt_i16_e32 vcc, -1, v18
	v_mov_b32_e32 v0, 0xff800000
	v_cndmask_b32_e32 v0, v0, v47, vcc
	v_cmp_eq_u32_e32 vcc, 0, v2
	v_mov_b32_e32 v2, 0x7f800001
	v_cndmask_b32_e32 v0, v2, v0, vcc
; %bb.695:                              ;   in Loop: Header=BB4_357 Depth=4
	s_or_b64 exec, exec, s[34:35]
.LBB4_696:                              ;   in Loop: Header=BB4_357 Depth=4
	s_or_b64 exec, exec, s[30:31]
.LBB4_697:                              ;   in Loop: Header=BB4_357 Depth=4
	s_or_b64 exec, exec, s[28:29]
	v_mul_f32_e32 v0, v1, v0
	v_and_b32_e32 v1, 0x7f800000, v0
	v_mov_b32_e32 v2, v61
	v_cmp_ne_u64_e32 vcc, s[62:63], v[1:2]
	v_and_b32_e32 v60, 0x7fffff, v0
                                        ; implicit-def: $vgpr20
	s_and_saveexec_b64 s[28:29], vcc
	s_xor_b64 s[30:31], exec, s[28:29]
	s_cbranch_execz .LBB4_711
; %bb.698:                              ;   in Loop: Header=BB4_357 Depth=4
	v_and_b32_e32 v1, 0x7fffffff, v0
	v_mov_b32_e32 v2, v61
	v_cmp_gt_u64_e32 vcc, s[78:79], v[1:2]
	v_and_b32_sdwa v21, v0, s81 dst_sel:DWORD dst_unused:UNUSED_PAD src0_sel:BYTE_3 src1_sel:DWORD
                                        ; implicit-def: $vgpr20
	s_and_saveexec_b64 s[28:29], vcc
	s_xor_b64 s[34:35], exec, s[28:29]
	s_cbranch_execz .LBB4_708
; %bb.699:                              ;   in Loop: Header=BB4_357 Depth=4
	v_mov_b32_e32 v20, 0
	v_cmp_ne_u32_e32 vcc, 0, v0
	s_and_saveexec_b64 s[36:37], vcc
	s_cbranch_execz .LBB4_707
; %bb.700:                              ;   in Loop: Header=BB4_357 Depth=4
	v_bfe_u32 v4, v0, 23, 8
	v_cmp_gt_u32_e64 s[28:29], s47, v4
	v_sub_u32_e32 v0, 0x71, v4
	v_cmp_eq_u32_e32 vcc, 0, v4
	v_cndmask_b32_e64 v0, 0, v0, s[28:29]
	v_mov_b32_e32 v2, 0x70
	v_cndmask_b32_e32 v20, v0, v2, vcc
	v_or_b32_e32 v1, 0x800000, v60
	v_add_u32_e32 v0, 21, v20
	v_cndmask_b32_e32 v60, v1, v60, vcc
	v_lshlrev_b64 v[0:1], v0, -1
	v_add_u32_e32 v2, 20, v20
	v_lshlrev_b64 v[36:37], v2, 1
	v_bfi_b32 v1, v1, 0, 0
	v_bfi_b32 v0, v0, 0, v60
	v_cmp_eq_u64_e64 s[28:29], v[0:1], v[36:37]
	v_lshrrev_b64 v[0:1], v20, v[60:61]
	v_mov_b32_e32 v2, v1
	v_mov_b32_e32 v1, v0
	s_and_saveexec_b64 s[38:39], s[28:29]
; %bb.701:                              ;   in Loop: Header=BB4_357 Depth=4
	v_bfe_u32 v1, v0, 21, 1
	v_add_co_u32_e64 v1, s[28:29], v0, v1
	v_add_co_u32_e64 v1, s[28:29], -1, v1
; %bb.702:                              ;   in Loop: Header=BB4_357 Depth=4
	s_or_b64 exec, exec, s[38:39]
	v_add_u32_e32 v2, 0xffffff81, v4
	v_mov_b32_e32 v4, 0xffffff82
	v_cndmask_b32_e32 v2, v2, v4, vcc
	v_lshrrev_b32_e32 v4, 23, v0
	v_add3_u32 v20, v20, v2, v4
	v_add_u32_e32 v4, 14, v20
	v_and_b32_e32 v1, 0x1fffff, v1
	v_add_u32_e32 v60, v1, v0
	v_cmp_ne_u32_e32 vcc, 0, v4
                                        ; implicit-def: $vgpr0_vgpr1
                                        ; implicit-def: $vgpr2
	s_and_saveexec_b64 s[28:29], vcc
	s_xor_b64 s[28:29], exec, s[28:29]
; %bb.703:                              ;   in Loop: Header=BB4_357 Depth=4
	v_cmp_lt_u64_e32 vcc, s[88:89], v[60:61]
	v_add_u32_e32 v0, 15, v20
	v_cndmask_b32_e32 v2, v4, v0, vcc
	v_cndmask_b32_e64 v0, 0, 1, vcc
	v_lshrrev_b64 v[0:1], v0, v[60:61]
; %bb.704:                              ;   in Loop: Header=BB4_357 Depth=4
	s_andn2_saveexec_b64 s[28:29], s[28:29]
; %bb.705:                              ;   in Loop: Header=BB4_357 Depth=4
	v_mov_b32_e32 v0, v60
	v_bfe_u32 v2, v60, 23, 1
	v_mov_b32_e32 v1, v61
; %bb.706:                              ;   in Loop: Header=BB4_357 Depth=4
	s_or_b64 exec, exec, s[28:29]
	v_lshrrev_b64 v[0:1], 21, v[0:1]
	v_cmp_gt_i32_e32 vcc, 32, v2
	v_cndmask_b32_e32 v1, 0, v1, vcc
	v_cndmask_b32_e32 v0, 3, v0, vcc
	v_cmp_eq_u64_e64 s[28:29], 0, v[0:1]
	v_min_i32_e32 v1, 31, v2
	v_lshlrev_b32_e32 v1, 2, v1
	v_cmp_eq_u32_e32 vcc, 0, v2
	v_and_b32_e32 v1, 0xfc, v1
	v_and_or_b32 v0, v0, 3, v1
	s_and_b64 s[28:29], vcc, s[28:29]
	v_cndmask_b32_e64 v0, v0, 0, s[28:29]
	v_or_b32_e32 v20, v0, v21
.LBB4_707:                              ;   in Loop: Header=BB4_357 Depth=4
	s_or_b64 exec, exec, s[36:37]
                                        ; implicit-def: $vgpr21
.LBB4_708:                              ;   in Loop: Header=BB4_357 Depth=4
	s_andn2_saveexec_b64 s[28:29], s[34:35]
; %bb.709:                              ;   in Loop: Header=BB4_357 Depth=4
	v_or_b32_e32 v20, 0x7b, v21
; %bb.710:                              ;   in Loop: Header=BB4_357 Depth=4
	s_or_b64 exec, exec, s[28:29]
                                        ; implicit-def: $vgpr0
.LBB4_711:                              ;   in Loop: Header=BB4_357 Depth=4
	s_andn2_saveexec_b64 s[28:29], s[30:31]
	s_cbranch_execz .LBB4_717
; %bb.712:                              ;   in Loop: Header=BB4_357 Depth=4
	v_cmp_ne_u64_e32 vcc, 0, v[60:61]
                                        ; implicit-def: $vgpr20
	s_and_saveexec_b64 s[30:31], vcc
	s_xor_b64 vcc, exec, s[30:31]
; %bb.713:                              ;   in Loop: Header=BB4_357 Depth=4
	v_or_b32_sdwa v20, v0, s44 dst_sel:DWORD dst_unused:UNUSED_PAD src0_sel:BYTE_3 src1_sel:DWORD
                                        ; implicit-def: $vgpr0
; %bb.714:                              ;   in Loop: Header=BB4_357 Depth=4
	s_andn2_saveexec_b64 s[30:31], vcc
; %bb.715:                              ;   in Loop: Header=BB4_357 Depth=4
	v_cmp_lt_i32_e32 vcc, -1, v0
	v_bfrev_b32_e32 v0, 0.5
	v_mov_b32_e32 v1, 0x7c
	v_cndmask_b32_e32 v20, v0, v1, vcc
; %bb.716:                              ;   in Loop: Header=BB4_357 Depth=4
	s_or_b64 exec, exec, s[30:31]
.LBB4_717:                              ;   in Loop: Header=BB4_357 Depth=4
	s_or_b64 exec, exec, s[28:29]
	v_lshrrev_b32_e32 v0, 16, v22
	v_cmp_ne_u16_sdwa vcc, v0, v61 src0_sel:BYTE_0 src1_sel:DWORD
	v_mov_b32_e32 v1, 0
	v_mov_b32_e32 v2, 0
	s_and_saveexec_b64 s[28:29], vcc
	s_cbranch_execz .LBB4_725
; %bb.718:                              ;   in Loop: Header=BB4_357 Depth=4
	v_cmp_ne_u16_sdwa vcc, v0, s81 src0_sel:BYTE_0 src1_sel:DWORD
	v_bfrev_b32_e32 v2, 1
	s_and_saveexec_b64 s[30:31], vcc
	s_cbranch_execz .LBB4_724
; %bb.719:                              ;   in Loop: Header=BB4_357 Depth=4
	v_and_b32_e32 v2, 0x7c0000, v22
	v_bfe_u32 v4, v22, 16, 2
	v_cmp_ne_u32_e32 vcc, s45, v2
                                        ; implicit-def: $vgpr2
	s_and_saveexec_b64 s[34:35], vcc
	s_xor_b64 s[34:35], exec, s[34:35]
	s_cbranch_execz .LBB4_721
; %bb.720:                              ;   in Loop: Header=BB4_357 Depth=4
	v_ffbh_u32_e32 v21, v4
	v_min_u32_e32 v21, 32, v21
	v_subrev_u32_e32 v36, 29, v21
	v_lshlrev_b64 v[36:37], v36, v[0:1]
	v_bfe_u32 v2, v22, 18, 5
	v_sub_u32_e32 v0, 30, v21
	v_and_b32_e32 v21, 3, v36
	v_cmp_eq_u32_e32 vcc, 0, v2
	v_cndmask_b32_e32 v0, v2, v0, vcc
	v_cndmask_b32_e32 v2, v4, v21, vcc
	v_lshlrev_b32_e32 v4, 8, v22
	v_and_b32_e32 v4, 0x80000000, v4
	v_lshl_add_u32 v0, v0, 23, v4
	v_lshl_or_b32 v0, v2, 21, v0
	v_add_u32_e32 v2, 0x38000000, v0
                                        ; implicit-def: $vgpr4
                                        ; implicit-def: $vgpr0
.LBB4_721:                              ;   in Loop: Header=BB4_357 Depth=4
	s_andn2_saveexec_b64 s[34:35], s[34:35]
; %bb.722:                              ;   in Loop: Header=BB4_357 Depth=4
	v_mov_b32_e32 v2, -1
	v_cmp_gt_i16_sdwa vcc, sext(v0), v2 src0_sel:BYTE_0 src1_sel:DWORD
	v_mov_b32_e32 v0, 0xff800000
	v_cndmask_b32_e32 v0, v0, v47, vcc
	v_cmp_eq_u32_e32 vcc, 0, v4
	v_mov_b32_e32 v2, 0x7f800001
	v_cndmask_b32_e32 v2, v2, v0, vcc
; %bb.723:                              ;   in Loop: Header=BB4_357 Depth=4
	s_or_b64 exec, exec, s[34:35]
.LBB4_724:                              ;   in Loop: Header=BB4_357 Depth=4
	s_or_b64 exec, exec, s[30:31]
.LBB4_725:                              ;   in Loop: Header=BB4_357 Depth=4
	s_or_b64 exec, exec, s[28:29]
	v_lshrrev_b32_e32 v0, 16, v18
	v_cmp_ne_u16_sdwa vcc, v0, v61 src0_sel:BYTE_0 src1_sel:DWORD
	s_and_saveexec_b64 s[28:29], vcc
	s_cbranch_execz .LBB4_733
; %bb.726:                              ;   in Loop: Header=BB4_357 Depth=4
	v_cmp_ne_u16_sdwa vcc, v0, s81 src0_sel:BYTE_0 src1_sel:DWORD
	v_bfrev_b32_e32 v1, 1
	s_and_saveexec_b64 s[30:31], vcc
	s_cbranch_execz .LBB4_732
; %bb.727:                              ;   in Loop: Header=BB4_357 Depth=4
	v_and_b32_e32 v1, 0x7c0000, v18
	v_bfe_u32 v4, v18, 16, 2
	v_cmp_ne_u32_e32 vcc, s45, v1
                                        ; implicit-def: $vgpr1
	s_and_saveexec_b64 s[34:35], vcc
	s_xor_b64 s[34:35], exec, s[34:35]
	s_cbranch_execz .LBB4_729
; %bb.728:                              ;   in Loop: Header=BB4_357 Depth=4
	v_ffbh_u32_e32 v1, v4
	v_min_u32_e32 v36, 32, v1
	v_subrev_u32_e32 v1, 29, v36
	v_lshlrev_b64 v[0:1], v1, v[0:1]
	v_bfe_u32 v21, v18, 18, 5
	v_and_b32_e32 v0, 3, v0
	v_cmp_eq_u32_e32 vcc, 0, v21
	v_sub_u32_e32 v1, 30, v36
	v_cndmask_b32_e32 v0, v4, v0, vcc
	v_lshlrev_b32_e32 v4, 8, v18
	v_cndmask_b32_e32 v1, v21, v1, vcc
	v_and_b32_e32 v4, 0x80000000, v4
	v_lshl_add_u32 v1, v1, 23, v4
	v_lshl_or_b32 v0, v0, 21, v1
	v_add_u32_e32 v1, 0x38000000, v0
                                        ; implicit-def: $vgpr4
                                        ; implicit-def: $vgpr0
.LBB4_729:                              ;   in Loop: Header=BB4_357 Depth=4
	s_andn2_saveexec_b64 s[34:35], s[34:35]
; %bb.730:                              ;   in Loop: Header=BB4_357 Depth=4
	v_mov_b32_e32 v1, -1
	v_cmp_gt_i16_sdwa vcc, sext(v0), v1 src0_sel:BYTE_0 src1_sel:DWORD
	v_mov_b32_e32 v0, 0xff800000
	v_cndmask_b32_e32 v0, v0, v47, vcc
	v_cmp_eq_u32_e32 vcc, 0, v4
	v_mov_b32_e32 v1, 0x7f800001
	v_cndmask_b32_e32 v1, v1, v0, vcc
; %bb.731:                              ;   in Loop: Header=BB4_357 Depth=4
	s_or_b64 exec, exec, s[34:35]
.LBB4_732:                              ;   in Loop: Header=BB4_357 Depth=4
	s_or_b64 exec, exec, s[30:31]
.LBB4_733:                              ;   in Loop: Header=BB4_357 Depth=4
	s_or_b64 exec, exec, s[28:29]
	v_mul_f32_e32 v0, v2, v1
	v_and_b32_e32 v1, 0x7f800000, v0
	v_mov_b32_e32 v2, v61
	v_cmp_ne_u64_e32 vcc, s[62:63], v[1:2]
	v_and_b32_e32 v60, 0x7fffff, v0
                                        ; implicit-def: $vgpr21
	s_and_saveexec_b64 s[28:29], vcc
	s_xor_b64 s[30:31], exec, s[28:29]
	s_cbranch_execz .LBB4_747
; %bb.734:                              ;   in Loop: Header=BB4_357 Depth=4
	v_and_b32_e32 v1, 0x7fffffff, v0
	v_mov_b32_e32 v2, v61
	v_cmp_gt_u64_e32 vcc, s[78:79], v[1:2]
	v_and_b32_sdwa v36, v0, s81 dst_sel:DWORD dst_unused:UNUSED_PAD src0_sel:BYTE_3 src1_sel:DWORD
                                        ; implicit-def: $vgpr21
	s_and_saveexec_b64 s[28:29], vcc
	s_xor_b64 s[34:35], exec, s[28:29]
	s_cbranch_execz .LBB4_744
; %bb.735:                              ;   in Loop: Header=BB4_357 Depth=4
	v_mov_b32_e32 v21, 0
	v_cmp_ne_u32_e32 vcc, 0, v0
	s_and_saveexec_b64 s[36:37], vcc
	s_cbranch_execz .LBB4_743
; %bb.736:                              ;   in Loop: Header=BB4_357 Depth=4
	v_bfe_u32 v4, v0, 23, 8
	v_cmp_gt_u32_e64 s[28:29], s47, v4
	v_sub_u32_e32 v0, 0x71, v4
	v_cmp_eq_u32_e32 vcc, 0, v4
	v_cndmask_b32_e64 v0, 0, v0, s[28:29]
	v_mov_b32_e32 v2, 0x70
	v_cndmask_b32_e32 v21, v0, v2, vcc
	v_or_b32_e32 v1, 0x800000, v60
	v_add_u32_e32 v0, 21, v21
	v_cndmask_b32_e32 v60, v1, v60, vcc
	v_lshlrev_b64 v[0:1], v0, -1
	v_add_u32_e32 v2, 20, v21
	v_lshlrev_b64 v[50:51], v2, 1
	v_bfi_b32 v1, v1, 0, 0
	v_bfi_b32 v0, v0, 0, v60
	v_cmp_eq_u64_e64 s[28:29], v[0:1], v[50:51]
	v_lshrrev_b64 v[0:1], v21, v[60:61]
	v_mov_b32_e32 v2, v1
	v_mov_b32_e32 v1, v0
	s_and_saveexec_b64 s[38:39], s[28:29]
; %bb.737:                              ;   in Loop: Header=BB4_357 Depth=4
	v_bfe_u32 v1, v0, 21, 1
	v_add_co_u32_e64 v1, s[28:29], v0, v1
	v_add_co_u32_e64 v1, s[28:29], -1, v1
; %bb.738:                              ;   in Loop: Header=BB4_357 Depth=4
	s_or_b64 exec, exec, s[38:39]
	v_add_u32_e32 v2, 0xffffff81, v4
	v_mov_b32_e32 v4, 0xffffff82
	v_cndmask_b32_e32 v2, v2, v4, vcc
	v_lshrrev_b32_e32 v4, 23, v0
	v_add3_u32 v21, v21, v2, v4
	v_add_u32_e32 v4, 14, v21
	v_and_b32_e32 v1, 0x1fffff, v1
	v_add_u32_e32 v60, v1, v0
	v_cmp_ne_u32_e32 vcc, 0, v4
                                        ; implicit-def: $vgpr0_vgpr1
                                        ; implicit-def: $vgpr2
	s_and_saveexec_b64 s[28:29], vcc
	s_xor_b64 s[28:29], exec, s[28:29]
; %bb.739:                              ;   in Loop: Header=BB4_357 Depth=4
	v_cmp_lt_u64_e32 vcc, s[88:89], v[60:61]
	v_add_u32_e32 v0, 15, v21
	v_cndmask_b32_e32 v2, v4, v0, vcc
	v_cndmask_b32_e64 v0, 0, 1, vcc
	v_lshrrev_b64 v[0:1], v0, v[60:61]
; %bb.740:                              ;   in Loop: Header=BB4_357 Depth=4
	s_andn2_saveexec_b64 s[28:29], s[28:29]
; %bb.741:                              ;   in Loop: Header=BB4_357 Depth=4
	v_mov_b32_e32 v0, v60
	v_bfe_u32 v2, v60, 23, 1
	v_mov_b32_e32 v1, v61
; %bb.742:                              ;   in Loop: Header=BB4_357 Depth=4
	s_or_b64 exec, exec, s[28:29]
	v_lshrrev_b64 v[0:1], 21, v[0:1]
	v_cmp_gt_i32_e32 vcc, 32, v2
	v_cndmask_b32_e32 v1, 0, v1, vcc
	v_cndmask_b32_e32 v0, 3, v0, vcc
	v_cmp_eq_u64_e64 s[28:29], 0, v[0:1]
	v_min_i32_e32 v1, 31, v2
	v_lshlrev_b32_e32 v1, 2, v1
	v_cmp_eq_u32_e32 vcc, 0, v2
	v_and_b32_e32 v1, 0xfc, v1
	v_and_or_b32 v0, v0, 3, v1
	s_and_b64 s[28:29], vcc, s[28:29]
	v_cndmask_b32_e64 v0, v0, 0, s[28:29]
	v_or_b32_e32 v21, v0, v36
.LBB4_743:                              ;   in Loop: Header=BB4_357 Depth=4
	s_or_b64 exec, exec, s[36:37]
                                        ; implicit-def: $vgpr36
.LBB4_744:                              ;   in Loop: Header=BB4_357 Depth=4
	s_andn2_saveexec_b64 s[28:29], s[34:35]
; %bb.745:                              ;   in Loop: Header=BB4_357 Depth=4
	v_or_b32_e32 v21, 0x7b, v36
; %bb.746:                              ;   in Loop: Header=BB4_357 Depth=4
	s_or_b64 exec, exec, s[28:29]
                                        ; implicit-def: $vgpr0
.LBB4_747:                              ;   in Loop: Header=BB4_357 Depth=4
	s_andn2_saveexec_b64 s[28:29], s[30:31]
	s_cbranch_execz .LBB4_753
; %bb.748:                              ;   in Loop: Header=BB4_357 Depth=4
	v_cmp_ne_u64_e32 vcc, 0, v[60:61]
                                        ; implicit-def: $vgpr21
	s_and_saveexec_b64 s[30:31], vcc
	s_xor_b64 vcc, exec, s[30:31]
; %bb.749:                              ;   in Loop: Header=BB4_357 Depth=4
	v_or_b32_sdwa v21, v0, s44 dst_sel:DWORD dst_unused:UNUSED_PAD src0_sel:BYTE_3 src1_sel:DWORD
                                        ; implicit-def: $vgpr0
; %bb.750:                              ;   in Loop: Header=BB4_357 Depth=4
	s_andn2_saveexec_b64 s[30:31], vcc
; %bb.751:                              ;   in Loop: Header=BB4_357 Depth=4
	v_cmp_lt_i32_e32 vcc, -1, v0
	v_bfrev_b32_e32 v0, 0.5
	v_mov_b32_e32 v1, 0x7c
	v_cndmask_b32_e32 v21, v0, v1, vcc
; %bb.752:                              ;   in Loop: Header=BB4_357 Depth=4
	s_or_b64 exec, exec, s[30:31]
.LBB4_753:                              ;   in Loop: Header=BB4_357 Depth=4
	s_or_b64 exec, exec, s[28:29]
	v_cmp_lt_u32_e32 vcc, s57, v22
	v_mov_b32_e32 v1, 0
	v_mov_b32_e32 v2, 0
	s_and_saveexec_b64 s[28:29], vcc
	s_cbranch_execz .LBB4_761
; %bb.754:                              ;   in Loop: Header=BB4_357 Depth=4
	v_lshrrev_b32_e32 v0, 24, v22
	v_cmp_ne_u32_e32 vcc, s81, v0
	v_bfrev_b32_e32 v2, 1
	s_and_saveexec_b64 s[30:31], vcc
	s_cbranch_execz .LBB4_760
; %bb.755:                              ;   in Loop: Header=BB4_357 Depth=4
	v_and_b32_e32 v2, 0x7c000000, v22
	v_bfe_u32 v4, v22, 24, 2
	v_cmp_ne_u32_e32 vcc, s82, v2
                                        ; implicit-def: $vgpr2
	s_and_saveexec_b64 s[34:35], vcc
	s_xor_b64 s[34:35], exec, s[34:35]
	s_cbranch_execz .LBB4_757
; %bb.756:                              ;   in Loop: Header=BB4_357 Depth=4
	v_ffbh_u32_e32 v36, v4
	v_min_u32_e32 v39, 32, v36
	v_subrev_u32_e32 v36, 29, v39
	v_lshlrev_b64 v[36:37], v36, v[0:1]
	v_bfe_u32 v2, v22, 26, 5
	v_sub_u32_e32 v0, 30, v39
	v_and_b32_e32 v36, 3, v36
	v_cmp_eq_u32_e32 vcc, 0, v2
	v_cndmask_b32_e32 v0, v2, v0, vcc
	v_cndmask_b32_e32 v2, v4, v36, vcc
	v_and_b32_e32 v4, 0x80000000, v22
	v_lshl_add_u32 v0, v0, 23, v4
	v_lshl_or_b32 v0, v2, 21, v0
	v_add_u32_e32 v2, 0x38000000, v0
                                        ; implicit-def: $vgpr4
.LBB4_757:                              ;   in Loop: Header=BB4_357 Depth=4
	s_andn2_saveexec_b64 s[34:35], s[34:35]
; %bb.758:                              ;   in Loop: Header=BB4_357 Depth=4
	v_cmp_lt_i32_e32 vcc, -1, v22
	v_mov_b32_e32 v0, 0xff800000
	v_cndmask_b32_e32 v0, v0, v47, vcc
	v_cmp_eq_u32_e32 vcc, 0, v4
	v_mov_b32_e32 v2, 0x7f800001
	v_cndmask_b32_e32 v2, v2, v0, vcc
; %bb.759:                              ;   in Loop: Header=BB4_357 Depth=4
	s_or_b64 exec, exec, s[34:35]
.LBB4_760:                              ;   in Loop: Header=BB4_357 Depth=4
	s_or_b64 exec, exec, s[30:31]
.LBB4_761:                              ;   in Loop: Header=BB4_357 Depth=4
	s_or_b64 exec, exec, s[28:29]
	v_cmp_lt_u32_e32 vcc, s57, v18
	s_and_saveexec_b64 s[28:29], vcc
	s_cbranch_execz .LBB4_769
; %bb.762:                              ;   in Loop: Header=BB4_357 Depth=4
	v_lshrrev_b32_e32 v0, 24, v18
	v_cmp_ne_u32_e32 vcc, s81, v0
	v_bfrev_b32_e32 v1, 1
	s_and_saveexec_b64 s[30:31], vcc
	s_cbranch_execz .LBB4_768
; %bb.763:                              ;   in Loop: Header=BB4_357 Depth=4
	v_and_b32_e32 v1, 0x7c000000, v18
	v_bfe_u32 v4, v18, 24, 2
	v_cmp_ne_u32_e32 vcc, s82, v1
                                        ; implicit-def: $vgpr1
	s_and_saveexec_b64 s[34:35], vcc
	s_xor_b64 s[34:35], exec, s[34:35]
	s_cbranch_execz .LBB4_765
; %bb.764:                              ;   in Loop: Header=BB4_357 Depth=4
	v_ffbh_u32_e32 v1, v4
	v_min_u32_e32 v37, 32, v1
	v_subrev_u32_e32 v1, 29, v37
	v_lshlrev_b64 v[0:1], v1, v[0:1]
	v_bfe_u32 v36, v18, 26, 5
	v_sub_u32_e32 v1, 30, v37
	v_and_b32_e32 v0, 3, v0
	v_cmp_eq_u32_e32 vcc, 0, v36
	v_cndmask_b32_e32 v1, v36, v1, vcc
	v_cndmask_b32_e32 v0, v4, v0, vcc
	v_and_b32_e32 v4, 0x80000000, v18
	v_lshl_add_u32 v1, v1, 23, v4
	v_lshl_or_b32 v0, v0, 21, v1
	v_add_u32_e32 v1, 0x38000000, v0
                                        ; implicit-def: $vgpr4
.LBB4_765:                              ;   in Loop: Header=BB4_357 Depth=4
	s_andn2_saveexec_b64 s[34:35], s[34:35]
; %bb.766:                              ;   in Loop: Header=BB4_357 Depth=4
	v_cmp_lt_i32_e32 vcc, -1, v18
	v_mov_b32_e32 v0, 0xff800000
	v_cndmask_b32_e32 v0, v0, v47, vcc
	v_cmp_eq_u32_e32 vcc, 0, v4
	v_mov_b32_e32 v1, 0x7f800001
	v_cndmask_b32_e32 v1, v1, v0, vcc
; %bb.767:                              ;   in Loop: Header=BB4_357 Depth=4
	s_or_b64 exec, exec, s[34:35]
.LBB4_768:                              ;   in Loop: Header=BB4_357 Depth=4
	s_or_b64 exec, exec, s[30:31]
.LBB4_769:                              ;   in Loop: Header=BB4_357 Depth=4
	s_or_b64 exec, exec, s[28:29]
	v_mul_f32_e32 v0, v2, v1
	v_and_b32_e32 v1, 0x7f800000, v0
	v_mov_b32_e32 v2, v61
	v_cmp_ne_u64_e32 vcc, s[62:63], v[1:2]
	v_and_b32_e32 v60, 0x7fffff, v0
                                        ; implicit-def: $vgpr36
	s_and_saveexec_b64 s[28:29], vcc
	s_xor_b64 s[30:31], exec, s[28:29]
	s_cbranch_execz .LBB4_783
; %bb.770:                              ;   in Loop: Header=BB4_357 Depth=4
	v_and_b32_e32 v1, 0x7fffffff, v0
	v_mov_b32_e32 v2, v61
	v_cmp_gt_u64_e32 vcc, s[78:79], v[1:2]
	v_and_b32_sdwa v37, v0, s81 dst_sel:DWORD dst_unused:UNUSED_PAD src0_sel:BYTE_3 src1_sel:DWORD
                                        ; implicit-def: $vgpr36
	s_and_saveexec_b64 s[28:29], vcc
	s_xor_b64 s[34:35], exec, s[28:29]
	s_cbranch_execz .LBB4_780
; %bb.771:                              ;   in Loop: Header=BB4_357 Depth=4
	v_mov_b32_e32 v36, 0
	v_cmp_ne_u32_e32 vcc, 0, v0
	s_and_saveexec_b64 s[36:37], vcc
	s_cbranch_execz .LBB4_779
; %bb.772:                              ;   in Loop: Header=BB4_357 Depth=4
	v_bfe_u32 v4, v0, 23, 8
	v_cmp_gt_u32_e64 s[28:29], s47, v4
	v_sub_u32_e32 v0, 0x71, v4
	v_cmp_eq_u32_e32 vcc, 0, v4
	v_cndmask_b32_e64 v0, 0, v0, s[28:29]
	v_mov_b32_e32 v2, 0x70
	v_cndmask_b32_e32 v36, v0, v2, vcc
	v_or_b32_e32 v1, 0x800000, v60
	v_add_u32_e32 v0, 21, v36
	v_cndmask_b32_e32 v60, v1, v60, vcc
	v_lshlrev_b64 v[0:1], v0, -1
	v_add_u32_e32 v2, 20, v36
	v_lshlrev_b64 v[50:51], v2, 1
	v_bfi_b32 v1, v1, 0, 0
	v_bfi_b32 v0, v0, 0, v60
	v_cmp_eq_u64_e64 s[28:29], v[0:1], v[50:51]
	v_lshrrev_b64 v[0:1], v36, v[60:61]
	v_mov_b32_e32 v2, v1
	v_mov_b32_e32 v1, v0
	s_and_saveexec_b64 s[38:39], s[28:29]
; %bb.773:                              ;   in Loop: Header=BB4_357 Depth=4
	v_bfe_u32 v1, v0, 21, 1
	v_add_co_u32_e64 v1, s[28:29], v0, v1
	v_add_co_u32_e64 v1, s[28:29], -1, v1
; %bb.774:                              ;   in Loop: Header=BB4_357 Depth=4
	s_or_b64 exec, exec, s[38:39]
	v_add_u32_e32 v2, 0xffffff81, v4
	v_mov_b32_e32 v4, 0xffffff82
	v_cndmask_b32_e32 v2, v2, v4, vcc
	v_lshrrev_b32_e32 v4, 23, v0
	v_add3_u32 v36, v36, v2, v4
	v_add_u32_e32 v4, 14, v36
	v_and_b32_e32 v1, 0x1fffff, v1
	v_add_u32_e32 v60, v1, v0
	v_cmp_ne_u32_e32 vcc, 0, v4
                                        ; implicit-def: $vgpr0_vgpr1
                                        ; implicit-def: $vgpr2
	s_and_saveexec_b64 s[28:29], vcc
	s_xor_b64 s[28:29], exec, s[28:29]
; %bb.775:                              ;   in Loop: Header=BB4_357 Depth=4
	v_cmp_lt_u64_e32 vcc, s[88:89], v[60:61]
	v_add_u32_e32 v0, 15, v36
	v_cndmask_b32_e32 v2, v4, v0, vcc
	v_cndmask_b32_e64 v0, 0, 1, vcc
	v_lshrrev_b64 v[0:1], v0, v[60:61]
; %bb.776:                              ;   in Loop: Header=BB4_357 Depth=4
	s_andn2_saveexec_b64 s[28:29], s[28:29]
; %bb.777:                              ;   in Loop: Header=BB4_357 Depth=4
	v_mov_b32_e32 v0, v60
	v_bfe_u32 v2, v60, 23, 1
	v_mov_b32_e32 v1, v61
; %bb.778:                              ;   in Loop: Header=BB4_357 Depth=4
	s_or_b64 exec, exec, s[28:29]
	v_lshrrev_b64 v[0:1], 21, v[0:1]
	v_cmp_gt_i32_e32 vcc, 32, v2
	v_cndmask_b32_e32 v1, 0, v1, vcc
	v_cndmask_b32_e32 v0, 3, v0, vcc
	v_cmp_eq_u64_e64 s[28:29], 0, v[0:1]
	v_min_i32_e32 v1, 31, v2
	v_lshlrev_b32_e32 v1, 2, v1
	v_cmp_eq_u32_e32 vcc, 0, v2
	v_and_b32_e32 v1, 0xfc, v1
	v_and_or_b32 v0, v0, 3, v1
	s_and_b64 s[28:29], vcc, s[28:29]
	v_cndmask_b32_e64 v0, v0, 0, s[28:29]
	v_or_b32_e32 v36, v0, v37
.LBB4_779:                              ;   in Loop: Header=BB4_357 Depth=4
	s_or_b64 exec, exec, s[36:37]
                                        ; implicit-def: $vgpr37
.LBB4_780:                              ;   in Loop: Header=BB4_357 Depth=4
	s_andn2_saveexec_b64 s[28:29], s[34:35]
; %bb.781:                              ;   in Loop: Header=BB4_357 Depth=4
	v_or_b32_e32 v36, 0x7b, v37
; %bb.782:                              ;   in Loop: Header=BB4_357 Depth=4
	s_or_b64 exec, exec, s[28:29]
                                        ; implicit-def: $vgpr0
.LBB4_783:                              ;   in Loop: Header=BB4_357 Depth=4
	s_andn2_saveexec_b64 s[28:29], s[30:31]
	s_cbranch_execz .LBB4_789
; %bb.784:                              ;   in Loop: Header=BB4_357 Depth=4
	v_cmp_ne_u64_e32 vcc, 0, v[60:61]
                                        ; implicit-def: $vgpr36
	s_and_saveexec_b64 s[30:31], vcc
	s_xor_b64 vcc, exec, s[30:31]
; %bb.785:                              ;   in Loop: Header=BB4_357 Depth=4
	v_or_b32_sdwa v36, v0, s44 dst_sel:DWORD dst_unused:UNUSED_PAD src0_sel:BYTE_3 src1_sel:DWORD
                                        ; implicit-def: $vgpr0
; %bb.786:                              ;   in Loop: Header=BB4_357 Depth=4
	s_andn2_saveexec_b64 s[30:31], vcc
; %bb.787:                              ;   in Loop: Header=BB4_357 Depth=4
	v_cmp_lt_i32_e32 vcc, -1, v0
	v_bfrev_b32_e32 v0, 0.5
	v_mov_b32_e32 v1, 0x7c
	v_cndmask_b32_e32 v36, v0, v1, vcc
; %bb.788:                              ;   in Loop: Header=BB4_357 Depth=4
	s_or_b64 exec, exec, s[30:31]
.LBB4_789:                              ;   in Loop: Header=BB4_357 Depth=4
	s_or_b64 exec, exec, s[28:29]
	v_mov_b32_e32 v60, v23
	v_cmp_ne_u16_sdwa vcc, v23, v61 src0_sel:BYTE_0 src1_sel:DWORD
	v_mov_b32_e32 v1, 0
	v_mov_b32_e32 v0, 0
	s_and_saveexec_b64 s[28:29], vcc
	s_cbranch_execz .LBB4_797
; %bb.790:                              ;   in Loop: Header=BB4_357 Depth=4
	v_cmp_ne_u16_sdwa vcc, v23, s81 src0_sel:BYTE_0 src1_sel:DWORD
	v_bfrev_b32_e32 v0, 1
	s_and_saveexec_b64 s[30:31], vcc
	s_cbranch_execz .LBB4_796
; %bb.791:                              ;   in Loop: Header=BB4_357 Depth=4
	v_and_b32_e32 v0, 0x7c, v23
	v_and_b32_e32 v2, 3, v23
	v_cmp_ne_u32_e32 vcc, s71, v0
                                        ; implicit-def: $vgpr0
	s_and_saveexec_b64 s[34:35], vcc
	s_xor_b64 s[34:35], exec, s[34:35]
	s_cbranch_execz .LBB4_793
; %bb.792:                              ;   in Loop: Header=BB4_357 Depth=4
	v_ffbh_u32_e32 v4, v2
	v_min_u32_e32 v4, 32, v4
	v_bfe_u32 v0, v23, 2, 5
	v_subrev_u32_e32 v37, 29, v4
	v_lshlrev_b64 v[50:51], v37, v[60:61]
	v_sub_u32_e32 v4, 30, v4
	v_cmp_eq_u32_e32 vcc, 0, v0
	v_cndmask_b32_e32 v0, v0, v4, vcc
	v_lshlrev_b32_e32 v4, 24, v23
	v_and_b32_e32 v37, 3, v50
	v_and_b32_e32 v4, 0x80000000, v4
	v_cndmask_b32_e32 v2, v2, v37, vcc
	v_lshl_add_u32 v0, v0, 23, v4
	v_lshl_or_b32 v0, v2, 21, v0
	v_add_u32_e32 v0, 0x38000000, v0
                                        ; implicit-def: $vgpr2
.LBB4_793:                              ;   in Loop: Header=BB4_357 Depth=4
	s_andn2_saveexec_b64 s[34:35], s[34:35]
; %bb.794:                              ;   in Loop: Header=BB4_357 Depth=4
	v_mov_b32_e32 v0, -1
	v_cmp_gt_i16_sdwa vcc, sext(v23), v0 src0_sel:BYTE_0 src1_sel:DWORD
	v_mov_b32_e32 v0, 0xff800000
	v_cndmask_b32_e32 v0, v0, v47, vcc
	v_cmp_eq_u32_e32 vcc, 0, v2
	v_mov_b32_e32 v2, 0x7f800001
	v_cndmask_b32_e32 v0, v2, v0, vcc
; %bb.795:                              ;   in Loop: Header=BB4_357 Depth=4
	s_or_b64 exec, exec, s[34:35]
.LBB4_796:                              ;   in Loop: Header=BB4_357 Depth=4
	s_or_b64 exec, exec, s[30:31]
.LBB4_797:                              ;   in Loop: Header=BB4_357 Depth=4
	s_or_b64 exec, exec, s[28:29]
	v_cmp_ne_u16_sdwa vcc, v19, v61 src0_sel:BYTE_0 src1_sel:DWORD
	s_and_saveexec_b64 s[28:29], vcc
	s_cbranch_execz .LBB4_805
; %bb.798:                              ;   in Loop: Header=BB4_357 Depth=4
	v_cmp_ne_u16_sdwa vcc, v19, s81 src0_sel:BYTE_0 src1_sel:DWORD
	v_bfrev_b32_e32 v1, 1
	s_and_saveexec_b64 s[30:31], vcc
	s_cbranch_execz .LBB4_804
; %bb.799:                              ;   in Loop: Header=BB4_357 Depth=4
	v_and_b32_e32 v1, 0x7c, v19
	v_and_b32_e32 v2, 3, v19
	v_cmp_ne_u32_e32 vcc, s71, v1
                                        ; implicit-def: $vgpr1
	s_and_saveexec_b64 s[34:35], vcc
	s_xor_b64 s[34:35], exec, s[34:35]
	s_cbranch_execz .LBB4_801
; %bb.800:                              ;   in Loop: Header=BB4_357 Depth=4
	v_ffbh_u32_e32 v4, v2
	v_min_u32_e32 v4, 32, v4
	v_mov_b32_e32 v50, v19
	v_mov_b32_e32 v51, v61
	v_bfe_u32 v1, v19, 2, 5
	v_subrev_u32_e32 v37, 29, v4
	v_lshlrev_b64 v[50:51], v37, v[50:51]
	v_sub_u32_e32 v4, 30, v4
	v_cmp_eq_u32_e32 vcc, 0, v1
	v_cndmask_b32_e32 v1, v1, v4, vcc
	v_lshlrev_b32_e32 v4, 24, v19
	v_and_b32_e32 v37, 3, v50
	v_and_b32_e32 v4, 0x80000000, v4
	v_cndmask_b32_e32 v2, v2, v37, vcc
	v_lshl_add_u32 v1, v1, 23, v4
	v_lshl_or_b32 v1, v2, 21, v1
	v_add_u32_e32 v1, 0x38000000, v1
                                        ; implicit-def: $vgpr2
.LBB4_801:                              ;   in Loop: Header=BB4_357 Depth=4
	s_andn2_saveexec_b64 s[34:35], s[34:35]
; %bb.802:                              ;   in Loop: Header=BB4_357 Depth=4
	v_mov_b32_e32 v1, -1
	v_cmp_gt_i16_sdwa vcc, sext(v19), v1 src0_sel:BYTE_0 src1_sel:DWORD
	v_mov_b32_e32 v1, 0xff800000
	v_cndmask_b32_e32 v1, v1, v47, vcc
	v_cmp_eq_u32_e32 vcc, 0, v2
	v_mov_b32_e32 v2, 0x7f800001
	v_cndmask_b32_e32 v1, v2, v1, vcc
; %bb.803:                              ;   in Loop: Header=BB4_357 Depth=4
	s_or_b64 exec, exec, s[34:35]
.LBB4_804:                              ;   in Loop: Header=BB4_357 Depth=4
	s_or_b64 exec, exec, s[30:31]
.LBB4_805:                              ;   in Loop: Header=BB4_357 Depth=4
	s_or_b64 exec, exec, s[28:29]
	v_mul_f32_e32 v2, v0, v1
	v_and_b32_e32 v50, 0x7f800000, v2
	v_mov_b32_e32 v51, v61
	v_cmp_ne_u64_e32 vcc, s[62:63], v[50:51]
	v_and_b32_e32 v0, 0x7fffff, v2
	v_mov_b32_e32 v1, v61
                                        ; implicit-def: $vgpr37
	s_and_saveexec_b64 s[28:29], vcc
	s_xor_b64 s[30:31], exec, s[28:29]
	s_cbranch_execz .LBB4_819
; %bb.806:                              ;   in Loop: Header=BB4_357 Depth=4
	v_and_b32_e32 v50, 0x7fffffff, v2
	v_mov_b32_e32 v51, v61
	v_cmp_gt_u64_e32 vcc, s[78:79], v[50:51]
	v_and_b32_sdwa v39, v2, s81 dst_sel:DWORD dst_unused:UNUSED_PAD src0_sel:BYTE_3 src1_sel:DWORD
                                        ; implicit-def: $vgpr37
	s_and_saveexec_b64 s[28:29], vcc
	s_xor_b64 s[34:35], exec, s[28:29]
	s_cbranch_execz .LBB4_816
; %bb.807:                              ;   in Loop: Header=BB4_357 Depth=4
	v_mov_b32_e32 v37, 0
	v_cmp_ne_u32_e32 vcc, 0, v2
	s_and_saveexec_b64 s[36:37], vcc
	s_cbranch_execz .LBB4_815
; %bb.808:                              ;   in Loop: Header=BB4_357 Depth=4
	v_bfe_u32 v4, v2, 23, 8
	v_cmp_gt_u32_e64 s[28:29], s47, v4
	v_sub_u32_e32 v2, 0x71, v4
	v_cmp_eq_u32_e32 vcc, 0, v4
	v_cndmask_b32_e64 v2, 0, v2, s[28:29]
	v_mov_b32_e32 v37, 0x70
	v_cndmask_b32_e32 v37, v2, v37, vcc
	v_or_b32_e32 v50, 0x800000, v0
	v_add_u32_e32 v2, 21, v37
	v_cndmask_b32_e32 v0, v50, v0, vcc
	v_lshlrev_b64 v[50:51], v2, -1
	v_add_u32_e32 v2, 20, v37
	v_bfi_b32 v50, v50, 0, v0
	v_lshlrev_b64 v[52:53], v2, 1
	v_lshrrev_b64 v[0:1], v37, v[0:1]
	v_bfi_b32 v51, v51, 0, 0
	v_cmp_eq_u64_e64 s[28:29], v[50:51], v[52:53]
	v_mov_b32_e32 v2, v1
	v_mov_b32_e32 v1, v0
	s_and_saveexec_b64 s[38:39], s[28:29]
; %bb.809:                              ;   in Loop: Header=BB4_357 Depth=4
	v_bfe_u32 v1, v0, 21, 1
	v_add_co_u32_e64 v1, s[28:29], v0, v1
	v_add_co_u32_e64 v1, s[28:29], -1, v1
; %bb.810:                              ;   in Loop: Header=BB4_357 Depth=4
	s_or_b64 exec, exec, s[38:39]
	v_add_u32_e32 v2, 0xffffff81, v4
	v_mov_b32_e32 v4, 0xffffff82
	v_cndmask_b32_e32 v2, v2, v4, vcc
	v_lshrrev_b32_e32 v4, 23, v0
	v_add3_u32 v37, v37, v2, v4
	v_add_u32_e32 v4, 14, v37
	v_and_b32_e32 v1, 0x1fffff, v1
	v_add_u32_e32 v0, v1, v0
	v_mov_b32_e32 v1, v61
	v_cmp_ne_u32_e32 vcc, 0, v4
                                        ; implicit-def: $vgpr2
	s_and_saveexec_b64 s[28:29], vcc
	s_xor_b64 s[28:29], exec, s[28:29]
; %bb.811:                              ;   in Loop: Header=BB4_357 Depth=4
	v_cmp_lt_u64_e32 vcc, s[88:89], v[0:1]
	v_add_u32_e32 v2, 15, v37
	v_cndmask_b32_e32 v2, v4, v2, vcc
	v_cndmask_b32_e64 v4, 0, 1, vcc
	v_lshrrev_b64 v[0:1], v4, v[0:1]
; %bb.812:                              ;   in Loop: Header=BB4_357 Depth=4
	s_andn2_saveexec_b64 s[28:29], s[28:29]
; %bb.813:                              ;   in Loop: Header=BB4_357 Depth=4
	v_bfe_u32 v2, v0, 23, 1
; %bb.814:                              ;   in Loop: Header=BB4_357 Depth=4
	s_or_b64 exec, exec, s[28:29]
	v_lshrrev_b64 v[0:1], 21, v[0:1]
	v_cmp_gt_i32_e32 vcc, 32, v2
	v_cndmask_b32_e32 v1, 0, v1, vcc
	v_cndmask_b32_e32 v0, 3, v0, vcc
	v_cmp_eq_u64_e64 s[28:29], 0, v[0:1]
	v_min_i32_e32 v1, 31, v2
	v_lshlrev_b32_e32 v1, 2, v1
	v_cmp_eq_u32_e32 vcc, 0, v2
	v_and_b32_e32 v1, 0xfc, v1
	v_and_or_b32 v0, v0, 3, v1
	s_and_b64 s[28:29], vcc, s[28:29]
	v_cndmask_b32_e64 v0, v0, 0, s[28:29]
	v_or_b32_e32 v37, v0, v39
.LBB4_815:                              ;   in Loop: Header=BB4_357 Depth=4
	s_or_b64 exec, exec, s[36:37]
                                        ; implicit-def: $vgpr39
.LBB4_816:                              ;   in Loop: Header=BB4_357 Depth=4
	s_andn2_saveexec_b64 s[28:29], s[34:35]
; %bb.817:                              ;   in Loop: Header=BB4_357 Depth=4
	v_or_b32_e32 v37, 0x7b, v39
; %bb.818:                              ;   in Loop: Header=BB4_357 Depth=4
	s_or_b64 exec, exec, s[28:29]
                                        ; implicit-def: $vgpr2
                                        ; implicit-def: $vgpr0_vgpr1
.LBB4_819:                              ;   in Loop: Header=BB4_357 Depth=4
	s_andn2_saveexec_b64 s[28:29], s[30:31]
	s_cbranch_execz .LBB4_825
; %bb.820:                              ;   in Loop: Header=BB4_357 Depth=4
	v_cmp_ne_u64_e32 vcc, 0, v[0:1]
                                        ; implicit-def: $vgpr37
	s_and_saveexec_b64 s[30:31], vcc
	s_xor_b64 vcc, exec, s[30:31]
; %bb.821:                              ;   in Loop: Header=BB4_357 Depth=4
	v_or_b32_sdwa v37, v2, s44 dst_sel:DWORD dst_unused:UNUSED_PAD src0_sel:BYTE_3 src1_sel:DWORD
                                        ; implicit-def: $vgpr2
; %bb.822:                              ;   in Loop: Header=BB4_357 Depth=4
	s_andn2_saveexec_b64 s[30:31], vcc
; %bb.823:                              ;   in Loop: Header=BB4_357 Depth=4
	v_cmp_lt_i32_e32 vcc, -1, v2
	v_bfrev_b32_e32 v0, 0.5
	v_mov_b32_e32 v1, 0x7c
	v_cndmask_b32_e32 v37, v0, v1, vcc
; %bb.824:                              ;   in Loop: Header=BB4_357 Depth=4
	s_or_b64 exec, exec, s[30:31]
.LBB4_825:                              ;   in Loop: Header=BB4_357 Depth=4
	s_or_b64 exec, exec, s[28:29]
	v_lshrrev_b16_e32 v0, 8, v60
	v_cmp_ne_u16_e32 vcc, 0, v0
	v_mov_b32_e32 v2, 0
	v_mov_b32_e32 v1, 0
	s_and_saveexec_b64 s[28:29], vcc
	s_cbranch_execz .LBB4_833
; %bb.826:                              ;   in Loop: Header=BB4_357 Depth=4
	v_cmp_ne_u16_e32 vcc, s81, v0
	v_bfrev_b32_e32 v1, 1
	s_and_saveexec_b64 s[30:31], vcc
	s_cbranch_execz .LBB4_832
; %bb.827:                              ;   in Loop: Header=BB4_357 Depth=4
	v_and_b32_e32 v1, 0x7c, v0
	v_and_b32_e32 v4, 3, v0
	v_cmp_ne_u32_e32 vcc, s71, v1
                                        ; implicit-def: $vgpr1
	s_and_saveexec_b64 s[34:35], vcc
	s_xor_b64 s[34:35], exec, s[34:35]
	s_cbranch_execz .LBB4_829
; %bb.828:                              ;   in Loop: Header=BB4_357 Depth=4
	v_ffbh_u32_e32 v50, v4
	v_min_u32_e32 v50, 32, v50
	v_mov_b32_e32 v1, v61
	v_subrev_u32_e32 v51, 29, v50
	v_bfe_u32 v39, v0, 2, 5
	v_lshlrev_b64 v[0:1], v51, v[0:1]
	v_cmp_eq_u32_e32 vcc, 0, v39
	v_and_b32_e32 v0, 3, v0
	v_sub_u32_e32 v1, 30, v50
	v_cndmask_b32_e32 v0, v4, v0, vcc
	v_lshlrev_b32_e32 v4, 16, v60
	v_cndmask_b32_e32 v1, v39, v1, vcc
	v_and_b32_e32 v4, 0x80000000, v4
	v_lshl_add_u32 v1, v1, 23, v4
	v_lshl_or_b32 v0, v0, 21, v1
	v_add_u32_e32 v1, 0x38000000, v0
                                        ; implicit-def: $vgpr4
.LBB4_829:                              ;   in Loop: Header=BB4_357 Depth=4
	s_andn2_saveexec_b64 s[34:35], s[34:35]
; %bb.830:                              ;   in Loop: Header=BB4_357 Depth=4
	v_cmp_lt_i16_e32 vcc, -1, v60
	v_mov_b32_e32 v0, 0xff800000
	v_cndmask_b32_e32 v0, v0, v47, vcc
	v_cmp_eq_u32_e32 vcc, 0, v4
	v_mov_b32_e32 v1, 0x7f800001
	v_cndmask_b32_e32 v1, v1, v0, vcc
; %bb.831:                              ;   in Loop: Header=BB4_357 Depth=4
	s_or_b64 exec, exec, s[34:35]
.LBB4_832:                              ;   in Loop: Header=BB4_357 Depth=4
	s_or_b64 exec, exec, s[30:31]
.LBB4_833:                              ;   in Loop: Header=BB4_357 Depth=4
	s_or_b64 exec, exec, s[28:29]
	v_lshrrev_b16_e32 v60, 8, v19
	v_cmp_ne_u16_e32 vcc, 0, v60
	s_and_saveexec_b64 s[28:29], vcc
	s_cbranch_execz .LBB4_841
; %bb.834:                              ;   in Loop: Header=BB4_357 Depth=4
	v_cmp_ne_u16_e32 vcc, s81, v60
	v_bfrev_b32_e32 v2, 1
	s_and_saveexec_b64 s[30:31], vcc
	s_cbranch_execz .LBB4_840
; %bb.835:                              ;   in Loop: Header=BB4_357 Depth=4
	v_and_b32_e32 v2, 0x7c, v60
	v_and_b32_e32 v0, 3, v60
	v_cmp_ne_u32_e32 vcc, s71, v2
                                        ; implicit-def: $vgpr2
	s_and_saveexec_b64 s[34:35], vcc
	s_xor_b64 s[34:35], exec, s[34:35]
	s_cbranch_execz .LBB4_837
; %bb.836:                              ;   in Loop: Header=BB4_357 Depth=4
	v_ffbh_u32_e32 v4, v0
	v_min_u32_e32 v4, 32, v4
	v_bfe_u32 v2, v60, 2, 5
	v_subrev_u32_e32 v39, 29, v4
	v_lshlrev_b64 v[50:51], v39, v[60:61]
	v_sub_u32_e32 v4, 30, v4
	v_cmp_eq_u32_e32 vcc, 0, v2
	v_cndmask_b32_e32 v2, v2, v4, vcc
	v_lshlrev_b32_e32 v4, 16, v19
	v_and_b32_e32 v39, 3, v50
	v_and_b32_e32 v4, 0x80000000, v4
	v_cndmask_b32_e32 v0, v0, v39, vcc
	v_lshl_add_u32 v2, v2, 23, v4
	v_lshl_or_b32 v0, v0, 21, v2
	v_add_u32_e32 v2, 0x38000000, v0
                                        ; implicit-def: $vgpr0
.LBB4_837:                              ;   in Loop: Header=BB4_357 Depth=4
	s_andn2_saveexec_b64 s[34:35], s[34:35]
; %bb.838:                              ;   in Loop: Header=BB4_357 Depth=4
	v_cmp_lt_i16_e32 vcc, -1, v19
	v_mov_b32_e32 v2, 0xff800000
	v_cndmask_b32_e32 v2, v2, v47, vcc
	v_cmp_eq_u32_e32 vcc, 0, v0
	v_mov_b32_e32 v0, 0x7f800001
	v_cndmask_b32_e32 v2, v0, v2, vcc
; %bb.839:                              ;   in Loop: Header=BB4_357 Depth=4
	s_or_b64 exec, exec, s[34:35]
.LBB4_840:                              ;   in Loop: Header=BB4_357 Depth=4
	s_or_b64 exec, exec, s[30:31]
.LBB4_841:                              ;   in Loop: Header=BB4_357 Depth=4
	s_or_b64 exec, exec, s[28:29]
	v_mul_f32_e32 v0, v1, v2
	v_and_b32_e32 v1, 0x7f800000, v0
	v_mov_b32_e32 v2, v61
	v_cmp_ne_u64_e32 vcc, s[62:63], v[1:2]
	v_and_b32_e32 v60, 0x7fffff, v0
                                        ; implicit-def: $vgpr50
	s_and_saveexec_b64 s[28:29], vcc
	s_xor_b64 s[30:31], exec, s[28:29]
	s_cbranch_execz .LBB4_855
; %bb.842:                              ;   in Loop: Header=BB4_357 Depth=4
	v_and_b32_e32 v1, 0x7fffffff, v0
	v_mov_b32_e32 v2, v61
	v_cmp_gt_u64_e32 vcc, s[78:79], v[1:2]
	v_and_b32_sdwa v39, v0, s81 dst_sel:DWORD dst_unused:UNUSED_PAD src0_sel:BYTE_3 src1_sel:DWORD
                                        ; implicit-def: $vgpr50
	s_and_saveexec_b64 s[28:29], vcc
	s_xor_b64 s[34:35], exec, s[28:29]
	s_cbranch_execz .LBB4_852
; %bb.843:                              ;   in Loop: Header=BB4_357 Depth=4
	v_mov_b32_e32 v50, 0
	v_cmp_ne_u32_e32 vcc, 0, v0
	s_and_saveexec_b64 s[36:37], vcc
	s_cbranch_execz .LBB4_851
; %bb.844:                              ;   in Loop: Header=BB4_357 Depth=4
	v_bfe_u32 v4, v0, 23, 8
	v_cmp_gt_u32_e64 s[28:29], s47, v4
	v_sub_u32_e32 v0, 0x71, v4
	v_cmp_eq_u32_e32 vcc, 0, v4
	v_cndmask_b32_e64 v0, 0, v0, s[28:29]
	v_mov_b32_e32 v2, 0x70
	v_cndmask_b32_e32 v50, v0, v2, vcc
	v_or_b32_e32 v1, 0x800000, v60
	v_add_u32_e32 v0, 21, v50
	v_cndmask_b32_e32 v60, v1, v60, vcc
	v_lshlrev_b64 v[0:1], v0, -1
	v_add_u32_e32 v2, 20, v50
	v_lshlrev_b64 v[51:52], v2, 1
	v_bfi_b32 v1, v1, 0, 0
	v_bfi_b32 v0, v0, 0, v60
	v_cmp_eq_u64_e64 s[28:29], v[0:1], v[51:52]
	v_lshrrev_b64 v[0:1], v50, v[60:61]
	v_mov_b32_e32 v2, v1
	v_mov_b32_e32 v1, v0
	s_and_saveexec_b64 s[38:39], s[28:29]
; %bb.845:                              ;   in Loop: Header=BB4_357 Depth=4
	v_bfe_u32 v1, v0, 21, 1
	v_add_co_u32_e64 v1, s[28:29], v0, v1
	v_add_co_u32_e64 v1, s[28:29], -1, v1
; %bb.846:                              ;   in Loop: Header=BB4_357 Depth=4
	s_or_b64 exec, exec, s[38:39]
	v_add_u32_e32 v2, 0xffffff81, v4
	v_mov_b32_e32 v4, 0xffffff82
	v_cndmask_b32_e32 v2, v2, v4, vcc
	v_lshrrev_b32_e32 v4, 23, v0
	v_add3_u32 v50, v50, v2, v4
	v_add_u32_e32 v4, 14, v50
	v_and_b32_e32 v1, 0x1fffff, v1
	v_add_u32_e32 v60, v1, v0
	v_cmp_ne_u32_e32 vcc, 0, v4
                                        ; implicit-def: $vgpr0_vgpr1
                                        ; implicit-def: $vgpr2
	s_and_saveexec_b64 s[28:29], vcc
	s_xor_b64 s[28:29], exec, s[28:29]
; %bb.847:                              ;   in Loop: Header=BB4_357 Depth=4
	v_cmp_lt_u64_e32 vcc, s[88:89], v[60:61]
	v_add_u32_e32 v0, 15, v50
	v_cndmask_b32_e32 v2, v4, v0, vcc
	v_cndmask_b32_e64 v0, 0, 1, vcc
	v_lshrrev_b64 v[0:1], v0, v[60:61]
; %bb.848:                              ;   in Loop: Header=BB4_357 Depth=4
	s_andn2_saveexec_b64 s[28:29], s[28:29]
; %bb.849:                              ;   in Loop: Header=BB4_357 Depth=4
	v_mov_b32_e32 v0, v60
	v_bfe_u32 v2, v60, 23, 1
	v_mov_b32_e32 v1, v61
; %bb.850:                              ;   in Loop: Header=BB4_357 Depth=4
	s_or_b64 exec, exec, s[28:29]
	v_lshrrev_b64 v[0:1], 21, v[0:1]
	v_cmp_gt_i32_e32 vcc, 32, v2
	v_cndmask_b32_e32 v1, 0, v1, vcc
	v_cndmask_b32_e32 v0, 3, v0, vcc
	v_cmp_eq_u64_e64 s[28:29], 0, v[0:1]
	v_min_i32_e32 v1, 31, v2
	v_lshlrev_b32_e32 v1, 2, v1
	v_cmp_eq_u32_e32 vcc, 0, v2
	v_and_b32_e32 v1, 0xfc, v1
	v_and_or_b32 v0, v0, 3, v1
	s_and_b64 s[28:29], vcc, s[28:29]
	v_cndmask_b32_e64 v0, v0, 0, s[28:29]
	v_or_b32_e32 v50, v0, v39
.LBB4_851:                              ;   in Loop: Header=BB4_357 Depth=4
	s_or_b64 exec, exec, s[36:37]
                                        ; implicit-def: $vgpr39
.LBB4_852:                              ;   in Loop: Header=BB4_357 Depth=4
	s_andn2_saveexec_b64 s[28:29], s[34:35]
; %bb.853:                              ;   in Loop: Header=BB4_357 Depth=4
	v_or_b32_e32 v50, 0x7b, v39
; %bb.854:                              ;   in Loop: Header=BB4_357 Depth=4
	s_or_b64 exec, exec, s[28:29]
                                        ; implicit-def: $vgpr0
.LBB4_855:                              ;   in Loop: Header=BB4_357 Depth=4
	s_andn2_saveexec_b64 s[28:29], s[30:31]
	s_cbranch_execz .LBB4_861
; %bb.856:                              ;   in Loop: Header=BB4_357 Depth=4
	v_cmp_ne_u64_e32 vcc, 0, v[60:61]
                                        ; implicit-def: $vgpr50
	s_and_saveexec_b64 s[30:31], vcc
	s_xor_b64 vcc, exec, s[30:31]
; %bb.857:                              ;   in Loop: Header=BB4_357 Depth=4
	v_or_b32_sdwa v50, v0, s44 dst_sel:DWORD dst_unused:UNUSED_PAD src0_sel:BYTE_3 src1_sel:DWORD
                                        ; implicit-def: $vgpr0
; %bb.858:                              ;   in Loop: Header=BB4_357 Depth=4
	s_andn2_saveexec_b64 s[30:31], vcc
; %bb.859:                              ;   in Loop: Header=BB4_357 Depth=4
	v_cmp_lt_i32_e32 vcc, -1, v0
	v_bfrev_b32_e32 v0, 0.5
	v_mov_b32_e32 v1, 0x7c
	v_cndmask_b32_e32 v50, v0, v1, vcc
; %bb.860:                              ;   in Loop: Header=BB4_357 Depth=4
	s_or_b64 exec, exec, s[30:31]
.LBB4_861:                              ;   in Loop: Header=BB4_357 Depth=4
	s_or_b64 exec, exec, s[28:29]
	v_lshrrev_b32_e32 v0, 16, v23
	v_cmp_ne_u16_sdwa vcc, v0, v61 src0_sel:BYTE_0 src1_sel:DWORD
	v_mov_b32_e32 v1, 0
	v_mov_b32_e32 v2, 0
	s_and_saveexec_b64 s[28:29], vcc
	s_cbranch_execz .LBB4_869
; %bb.862:                              ;   in Loop: Header=BB4_357 Depth=4
	v_cmp_ne_u16_sdwa vcc, v0, s81 src0_sel:BYTE_0 src1_sel:DWORD
	v_bfrev_b32_e32 v2, 1
	s_and_saveexec_b64 s[30:31], vcc
	s_cbranch_execz .LBB4_868
; %bb.863:                              ;   in Loop: Header=BB4_357 Depth=4
	v_and_b32_e32 v2, 0x7c0000, v23
	v_bfe_u32 v4, v23, 16, 2
	v_cmp_ne_u32_e32 vcc, s45, v2
                                        ; implicit-def: $vgpr2
	s_and_saveexec_b64 s[34:35], vcc
	s_xor_b64 s[34:35], exec, s[34:35]
	s_cbranch_execz .LBB4_865
; %bb.864:                              ;   in Loop: Header=BB4_357 Depth=4
	v_ffbh_u32_e32 v39, v4
	v_min_u32_e32 v39, 32, v39
	v_subrev_u32_e32 v51, 29, v39
	v_lshlrev_b64 v[51:52], v51, v[0:1]
	v_bfe_u32 v2, v23, 18, 5
	v_sub_u32_e32 v0, 30, v39
	v_and_b32_e32 v39, 3, v51
	v_cmp_eq_u32_e32 vcc, 0, v2
	v_cndmask_b32_e32 v0, v2, v0, vcc
	v_cndmask_b32_e32 v2, v4, v39, vcc
	v_lshlrev_b32_e32 v4, 8, v23
	v_and_b32_e32 v4, 0x80000000, v4
	v_lshl_add_u32 v0, v0, 23, v4
	v_lshl_or_b32 v0, v2, 21, v0
	v_add_u32_e32 v2, 0x38000000, v0
                                        ; implicit-def: $vgpr4
                                        ; implicit-def: $vgpr0
.LBB4_865:                              ;   in Loop: Header=BB4_357 Depth=4
	s_andn2_saveexec_b64 s[34:35], s[34:35]
; %bb.866:                              ;   in Loop: Header=BB4_357 Depth=4
	v_mov_b32_e32 v2, -1
	v_cmp_gt_i16_sdwa vcc, sext(v0), v2 src0_sel:BYTE_0 src1_sel:DWORD
	v_mov_b32_e32 v0, 0xff800000
	v_cndmask_b32_e32 v0, v0, v47, vcc
	v_cmp_eq_u32_e32 vcc, 0, v4
	v_mov_b32_e32 v2, 0x7f800001
	v_cndmask_b32_e32 v2, v2, v0, vcc
; %bb.867:                              ;   in Loop: Header=BB4_357 Depth=4
	s_or_b64 exec, exec, s[34:35]
.LBB4_868:                              ;   in Loop: Header=BB4_357 Depth=4
	s_or_b64 exec, exec, s[30:31]
.LBB4_869:                              ;   in Loop: Header=BB4_357 Depth=4
	s_or_b64 exec, exec, s[28:29]
	v_lshrrev_b32_e32 v0, 16, v19
	v_cmp_ne_u16_sdwa vcc, v0, v61 src0_sel:BYTE_0 src1_sel:DWORD
	s_and_saveexec_b64 s[28:29], vcc
	s_cbranch_execz .LBB4_877
; %bb.870:                              ;   in Loop: Header=BB4_357 Depth=4
	v_cmp_ne_u16_sdwa vcc, v0, s81 src0_sel:BYTE_0 src1_sel:DWORD
	v_bfrev_b32_e32 v1, 1
	s_and_saveexec_b64 s[30:31], vcc
	s_cbranch_execz .LBB4_876
; %bb.871:                              ;   in Loop: Header=BB4_357 Depth=4
	v_and_b32_e32 v1, 0x7c0000, v19
	v_bfe_u32 v4, v19, 16, 2
	v_cmp_ne_u32_e32 vcc, s45, v1
                                        ; implicit-def: $vgpr1
	s_and_saveexec_b64 s[34:35], vcc
	s_xor_b64 s[34:35], exec, s[34:35]
	s_cbranch_execz .LBB4_873
; %bb.872:                              ;   in Loop: Header=BB4_357 Depth=4
	v_ffbh_u32_e32 v1, v4
	v_min_u32_e32 v51, 32, v1
	v_subrev_u32_e32 v1, 29, v51
	v_lshlrev_b64 v[0:1], v1, v[0:1]
	v_bfe_u32 v39, v19, 18, 5
	v_and_b32_e32 v0, 3, v0
	v_cmp_eq_u32_e32 vcc, 0, v39
	v_sub_u32_e32 v1, 30, v51
	v_cndmask_b32_e32 v0, v4, v0, vcc
	v_lshlrev_b32_e32 v4, 8, v19
	v_cndmask_b32_e32 v1, v39, v1, vcc
	v_and_b32_e32 v4, 0x80000000, v4
	v_lshl_add_u32 v1, v1, 23, v4
	v_lshl_or_b32 v0, v0, 21, v1
	v_add_u32_e32 v1, 0x38000000, v0
                                        ; implicit-def: $vgpr4
                                        ; implicit-def: $vgpr0
.LBB4_873:                              ;   in Loop: Header=BB4_357 Depth=4
	s_andn2_saveexec_b64 s[34:35], s[34:35]
; %bb.874:                              ;   in Loop: Header=BB4_357 Depth=4
	v_mov_b32_e32 v1, -1
	v_cmp_gt_i16_sdwa vcc, sext(v0), v1 src0_sel:BYTE_0 src1_sel:DWORD
	v_mov_b32_e32 v0, 0xff800000
	v_cndmask_b32_e32 v0, v0, v47, vcc
	v_cmp_eq_u32_e32 vcc, 0, v4
	v_mov_b32_e32 v1, 0x7f800001
	v_cndmask_b32_e32 v1, v1, v0, vcc
; %bb.875:                              ;   in Loop: Header=BB4_357 Depth=4
	s_or_b64 exec, exec, s[34:35]
.LBB4_876:                              ;   in Loop: Header=BB4_357 Depth=4
	s_or_b64 exec, exec, s[30:31]
.LBB4_877:                              ;   in Loop: Header=BB4_357 Depth=4
	s_or_b64 exec, exec, s[28:29]
	v_mul_f32_e32 v0, v2, v1
	v_and_b32_e32 v1, 0x7f800000, v0
	v_mov_b32_e32 v2, v61
	v_cmp_ne_u64_e32 vcc, s[62:63], v[1:2]
	v_and_b32_e32 v60, 0x7fffff, v0
                                        ; implicit-def: $vgpr39
	s_and_saveexec_b64 s[28:29], vcc
	s_xor_b64 s[30:31], exec, s[28:29]
	s_cbranch_execz .LBB4_891
; %bb.878:                              ;   in Loop: Header=BB4_357 Depth=4
	v_and_b32_e32 v1, 0x7fffffff, v0
	v_mov_b32_e32 v2, v61
	v_cmp_gt_u64_e32 vcc, s[78:79], v[1:2]
	v_and_b32_sdwa v51, v0, s81 dst_sel:DWORD dst_unused:UNUSED_PAD src0_sel:BYTE_3 src1_sel:DWORD
                                        ; implicit-def: $vgpr39
	s_and_saveexec_b64 s[28:29], vcc
	s_xor_b64 s[34:35], exec, s[28:29]
	s_cbranch_execz .LBB4_888
; %bb.879:                              ;   in Loop: Header=BB4_357 Depth=4
	v_mov_b32_e32 v39, 0
	v_cmp_ne_u32_e32 vcc, 0, v0
	s_and_saveexec_b64 s[36:37], vcc
	s_cbranch_execz .LBB4_887
; %bb.880:                              ;   in Loop: Header=BB4_357 Depth=4
	v_bfe_u32 v4, v0, 23, 8
	v_cmp_gt_u32_e64 s[28:29], s47, v4
	v_sub_u32_e32 v0, 0x71, v4
	v_cmp_eq_u32_e32 vcc, 0, v4
	v_cndmask_b32_e64 v0, 0, v0, s[28:29]
	v_mov_b32_e32 v2, 0x70
	v_cndmask_b32_e32 v39, v0, v2, vcc
	v_or_b32_e32 v1, 0x800000, v60
	v_add_u32_e32 v0, 21, v39
	v_cndmask_b32_e32 v60, v1, v60, vcc
	v_lshlrev_b64 v[0:1], v0, -1
	v_add_u32_e32 v2, 20, v39
	v_lshlrev_b64 v[52:53], v2, 1
	v_bfi_b32 v1, v1, 0, 0
	v_bfi_b32 v0, v0, 0, v60
	v_cmp_eq_u64_e64 s[28:29], v[0:1], v[52:53]
	v_lshrrev_b64 v[0:1], v39, v[60:61]
	v_mov_b32_e32 v2, v1
	v_mov_b32_e32 v1, v0
	s_and_saveexec_b64 s[38:39], s[28:29]
; %bb.881:                              ;   in Loop: Header=BB4_357 Depth=4
	v_bfe_u32 v1, v0, 21, 1
	v_add_co_u32_e64 v1, s[28:29], v0, v1
	v_add_co_u32_e64 v1, s[28:29], -1, v1
; %bb.882:                              ;   in Loop: Header=BB4_357 Depth=4
	s_or_b64 exec, exec, s[38:39]
	v_add_u32_e32 v2, 0xffffff81, v4
	v_mov_b32_e32 v4, 0xffffff82
	v_cndmask_b32_e32 v2, v2, v4, vcc
	v_lshrrev_b32_e32 v4, 23, v0
	v_add3_u32 v39, v39, v2, v4
	v_add_u32_e32 v4, 14, v39
	v_and_b32_e32 v1, 0x1fffff, v1
	v_add_u32_e32 v60, v1, v0
	v_cmp_ne_u32_e32 vcc, 0, v4
                                        ; implicit-def: $vgpr0_vgpr1
                                        ; implicit-def: $vgpr2
	s_and_saveexec_b64 s[28:29], vcc
	s_xor_b64 s[28:29], exec, s[28:29]
; %bb.883:                              ;   in Loop: Header=BB4_357 Depth=4
	v_cmp_lt_u64_e32 vcc, s[88:89], v[60:61]
	v_add_u32_e32 v0, 15, v39
	v_cndmask_b32_e32 v2, v4, v0, vcc
	v_cndmask_b32_e64 v0, 0, 1, vcc
	v_lshrrev_b64 v[0:1], v0, v[60:61]
; %bb.884:                              ;   in Loop: Header=BB4_357 Depth=4
	s_andn2_saveexec_b64 s[28:29], s[28:29]
; %bb.885:                              ;   in Loop: Header=BB4_357 Depth=4
	v_mov_b32_e32 v0, v60
	v_bfe_u32 v2, v60, 23, 1
	v_mov_b32_e32 v1, v61
; %bb.886:                              ;   in Loop: Header=BB4_357 Depth=4
	s_or_b64 exec, exec, s[28:29]
	v_lshrrev_b64 v[0:1], 21, v[0:1]
	v_cmp_gt_i32_e32 vcc, 32, v2
	v_cndmask_b32_e32 v1, 0, v1, vcc
	v_cndmask_b32_e32 v0, 3, v0, vcc
	v_cmp_eq_u64_e64 s[28:29], 0, v[0:1]
	v_min_i32_e32 v1, 31, v2
	v_lshlrev_b32_e32 v1, 2, v1
	v_cmp_eq_u32_e32 vcc, 0, v2
	v_and_b32_e32 v1, 0xfc, v1
	v_and_or_b32 v0, v0, 3, v1
	s_and_b64 s[28:29], vcc, s[28:29]
	v_cndmask_b32_e64 v0, v0, 0, s[28:29]
	v_or_b32_e32 v39, v0, v51
.LBB4_887:                              ;   in Loop: Header=BB4_357 Depth=4
	s_or_b64 exec, exec, s[36:37]
                                        ; implicit-def: $vgpr51
.LBB4_888:                              ;   in Loop: Header=BB4_357 Depth=4
	s_andn2_saveexec_b64 s[28:29], s[34:35]
; %bb.889:                              ;   in Loop: Header=BB4_357 Depth=4
	v_or_b32_e32 v39, 0x7b, v51
; %bb.890:                              ;   in Loop: Header=BB4_357 Depth=4
	s_or_b64 exec, exec, s[28:29]
                                        ; implicit-def: $vgpr0
.LBB4_891:                              ;   in Loop: Header=BB4_357 Depth=4
	s_andn2_saveexec_b64 s[28:29], s[30:31]
	s_cbranch_execz .LBB4_897
; %bb.892:                              ;   in Loop: Header=BB4_357 Depth=4
	v_cmp_ne_u64_e32 vcc, 0, v[60:61]
                                        ; implicit-def: $vgpr39
	s_and_saveexec_b64 s[30:31], vcc
	s_xor_b64 vcc, exec, s[30:31]
; %bb.893:                              ;   in Loop: Header=BB4_357 Depth=4
	v_or_b32_sdwa v39, v0, s44 dst_sel:DWORD dst_unused:UNUSED_PAD src0_sel:BYTE_3 src1_sel:DWORD
                                        ; implicit-def: $vgpr0
; %bb.894:                              ;   in Loop: Header=BB4_357 Depth=4
	s_andn2_saveexec_b64 s[30:31], vcc
; %bb.895:                              ;   in Loop: Header=BB4_357 Depth=4
	v_cmp_lt_i32_e32 vcc, -1, v0
	v_bfrev_b32_e32 v0, 0.5
	v_mov_b32_e32 v1, 0x7c
	v_cndmask_b32_e32 v39, v0, v1, vcc
; %bb.896:                              ;   in Loop: Header=BB4_357 Depth=4
	s_or_b64 exec, exec, s[30:31]
.LBB4_897:                              ;   in Loop: Header=BB4_357 Depth=4
	s_or_b64 exec, exec, s[28:29]
	v_cmp_lt_u64_e32 vcc, s[56:57], v[22:23]
	v_mov_b32_e32 v1, 0
	v_mov_b32_e32 v2, 0
	s_and_saveexec_b64 s[28:29], vcc
	s_cbranch_execz .LBB4_905
; %bb.898:                              ;   in Loop: Header=BB4_357 Depth=4
	v_lshrrev_b32_e32 v0, 24, v23
	v_cmp_ne_u32_e32 vcc, s81, v0
	v_bfrev_b32_e32 v2, 1
	s_and_saveexec_b64 s[30:31], vcc
	s_cbranch_execz .LBB4_904
; %bb.899:                              ;   in Loop: Header=BB4_357 Depth=4
	v_and_b32_e32 v2, 0x7c000000, v23
	v_bfe_u32 v4, v23, 24, 2
	v_cmp_ne_u32_e32 vcc, s82, v2
                                        ; implicit-def: $vgpr2
	s_and_saveexec_b64 s[34:35], vcc
	s_xor_b64 s[34:35], exec, s[34:35]
	s_cbranch_execz .LBB4_901
; %bb.900:                              ;   in Loop: Header=BB4_357 Depth=4
	v_ffbh_u32_e32 v22, v4
	v_min_u32_e32 v22, 32, v22
	v_subrev_u32_e32 v51, 29, v22
	v_lshlrev_b64 v[51:52], v51, v[0:1]
	v_bfe_u32 v2, v23, 26, 5
	v_sub_u32_e32 v0, 30, v22
	v_and_b32_e32 v22, 3, v51
	v_cmp_eq_u32_e32 vcc, 0, v2
	v_cndmask_b32_e32 v0, v2, v0, vcc
	v_cndmask_b32_e32 v2, v4, v22, vcc
	v_and_b32_e32 v4, 0x80000000, v23
	v_lshl_add_u32 v0, v0, 23, v4
	v_lshl_or_b32 v0, v2, 21, v0
	v_add_u32_e32 v2, 0x38000000, v0
                                        ; implicit-def: $vgpr4
                                        ; implicit-def: $vgpr22_vgpr23
.LBB4_901:                              ;   in Loop: Header=BB4_357 Depth=4
	s_andn2_saveexec_b64 s[34:35], s[34:35]
; %bb.902:                              ;   in Loop: Header=BB4_357 Depth=4
	v_cmp_lt_i64_e32 vcc, -1, v[22:23]
	v_mov_b32_e32 v0, 0xff800000
	v_cndmask_b32_e32 v0, v0, v47, vcc
	v_cmp_eq_u32_e32 vcc, 0, v4
	v_mov_b32_e32 v2, 0x7f800001
	v_cndmask_b32_e32 v2, v2, v0, vcc
; %bb.903:                              ;   in Loop: Header=BB4_357 Depth=4
	s_or_b64 exec, exec, s[34:35]
.LBB4_904:                              ;   in Loop: Header=BB4_357 Depth=4
	s_or_b64 exec, exec, s[30:31]
.LBB4_905:                              ;   in Loop: Header=BB4_357 Depth=4
	s_or_b64 exec, exec, s[28:29]
	v_cmp_lt_u64_e32 vcc, s[56:57], v[18:19]
	s_and_saveexec_b64 s[28:29], vcc
	s_cbranch_execz .LBB4_913
; %bb.906:                              ;   in Loop: Header=BB4_357 Depth=4
	v_lshrrev_b32_e32 v0, 24, v19
	v_cmp_ne_u32_e32 vcc, s81, v0
	v_bfrev_b32_e32 v1, 1
	s_and_saveexec_b64 s[30:31], vcc
	s_cbranch_execz .LBB4_912
; %bb.907:                              ;   in Loop: Header=BB4_357 Depth=4
	v_and_b32_e32 v1, 0x7c000000, v19
	v_bfe_u32 v4, v19, 24, 2
	v_cmp_ne_u32_e32 vcc, s82, v1
                                        ; implicit-def: $vgpr1
	s_and_saveexec_b64 s[34:35], vcc
	s_xor_b64 s[34:35], exec, s[34:35]
	s_cbranch_execz .LBB4_909
; %bb.908:                              ;   in Loop: Header=BB4_357 Depth=4
	v_ffbh_u32_e32 v1, v4
	v_min_u32_e32 v22, 32, v1
	v_subrev_u32_e32 v1, 29, v22
	v_lshlrev_b64 v[0:1], v1, v[0:1]
	v_bfe_u32 v18, v19, 26, 5
	v_sub_u32_e32 v1, 30, v22
	v_and_b32_e32 v0, 3, v0
	v_cmp_eq_u32_e32 vcc, 0, v18
	v_cndmask_b32_e32 v1, v18, v1, vcc
	v_cndmask_b32_e32 v0, v4, v0, vcc
	v_and_b32_e32 v4, 0x80000000, v19
	v_lshl_add_u32 v1, v1, 23, v4
	v_lshl_or_b32 v0, v0, 21, v1
	v_add_u32_e32 v1, 0x38000000, v0
                                        ; implicit-def: $vgpr4
                                        ; implicit-def: $vgpr18_vgpr19
.LBB4_909:                              ;   in Loop: Header=BB4_357 Depth=4
	s_andn2_saveexec_b64 s[34:35], s[34:35]
; %bb.910:                              ;   in Loop: Header=BB4_357 Depth=4
	v_cmp_lt_i64_e32 vcc, -1, v[18:19]
	v_mov_b32_e32 v0, 0xff800000
	v_cndmask_b32_e32 v0, v0, v47, vcc
	v_cmp_eq_u32_e32 vcc, 0, v4
	v_mov_b32_e32 v1, 0x7f800001
	v_cndmask_b32_e32 v1, v1, v0, vcc
; %bb.911:                              ;   in Loop: Header=BB4_357 Depth=4
	s_or_b64 exec, exec, s[34:35]
.LBB4_912:                              ;   in Loop: Header=BB4_357 Depth=4
	s_or_b64 exec, exec, s[30:31]
.LBB4_913:                              ;   in Loop: Header=BB4_357 Depth=4
	s_or_b64 exec, exec, s[28:29]
	v_mul_f32_e32 v0, v2, v1
	v_and_b32_e32 v1, 0x7f800000, v0
	v_mov_b32_e32 v2, v61
	v_cmp_ne_u64_e32 vcc, s[62:63], v[1:2]
	v_and_b32_e32 v60, 0x7fffff, v0
                                        ; implicit-def: $vgpr18
	s_and_saveexec_b64 s[28:29], vcc
	s_xor_b64 s[30:31], exec, s[28:29]
	s_cbranch_execz .LBB4_927
; %bb.914:                              ;   in Loop: Header=BB4_357 Depth=4
	v_and_b32_e32 v1, 0x7fffffff, v0
	v_mov_b32_e32 v2, v61
	v_cmp_gt_u64_e32 vcc, s[78:79], v[1:2]
	v_and_b32_sdwa v19, v0, s81 dst_sel:DWORD dst_unused:UNUSED_PAD src0_sel:BYTE_3 src1_sel:DWORD
                                        ; implicit-def: $vgpr18
	s_and_saveexec_b64 s[28:29], vcc
	s_xor_b64 s[34:35], exec, s[28:29]
	s_cbranch_execz .LBB4_924
; %bb.915:                              ;   in Loop: Header=BB4_357 Depth=4
	v_mov_b32_e32 v18, 0
	v_cmp_ne_u32_e32 vcc, 0, v0
	s_and_saveexec_b64 s[36:37], vcc
	s_cbranch_execz .LBB4_923
; %bb.916:                              ;   in Loop: Header=BB4_357 Depth=4
	v_bfe_u32 v4, v0, 23, 8
	v_cmp_gt_u32_e64 s[28:29], s47, v4
	v_sub_u32_e32 v0, 0x71, v4
	v_cmp_eq_u32_e32 vcc, 0, v4
	v_cndmask_b32_e64 v0, 0, v0, s[28:29]
	v_mov_b32_e32 v2, 0x70
	v_cndmask_b32_e32 v18, v0, v2, vcc
	v_or_b32_e32 v1, 0x800000, v60
	v_add_u32_e32 v0, 21, v18
	v_cndmask_b32_e32 v60, v1, v60, vcc
	v_lshlrev_b64 v[0:1], v0, -1
	v_add_u32_e32 v2, 20, v18
	v_lshlrev_b64 v[22:23], v2, 1
	v_bfi_b32 v1, v1, 0, 0
	v_bfi_b32 v0, v0, 0, v60
	v_cmp_eq_u64_e64 s[28:29], v[0:1], v[22:23]
	v_lshrrev_b64 v[0:1], v18, v[60:61]
	v_mov_b32_e32 v2, v1
	v_mov_b32_e32 v1, v0
	s_and_saveexec_b64 s[38:39], s[28:29]
; %bb.917:                              ;   in Loop: Header=BB4_357 Depth=4
	v_bfe_u32 v1, v0, 21, 1
	v_add_co_u32_e64 v1, s[28:29], v0, v1
	v_add_co_u32_e64 v1, s[28:29], -1, v1
; %bb.918:                              ;   in Loop: Header=BB4_357 Depth=4
	s_or_b64 exec, exec, s[38:39]
	v_add_u32_e32 v2, 0xffffff81, v4
	v_mov_b32_e32 v4, 0xffffff82
	v_cndmask_b32_e32 v2, v2, v4, vcc
	v_lshrrev_b32_e32 v4, 23, v0
	v_add3_u32 v18, v18, v2, v4
	v_add_u32_e32 v4, 14, v18
	v_and_b32_e32 v1, 0x1fffff, v1
	v_add_u32_e32 v60, v1, v0
	v_cmp_ne_u32_e32 vcc, 0, v4
                                        ; implicit-def: $vgpr0_vgpr1
                                        ; implicit-def: $vgpr2
	s_and_saveexec_b64 s[28:29], vcc
	s_xor_b64 s[28:29], exec, s[28:29]
; %bb.919:                              ;   in Loop: Header=BB4_357 Depth=4
	v_cmp_lt_u64_e32 vcc, s[88:89], v[60:61]
	v_add_u32_e32 v0, 15, v18
	v_cndmask_b32_e32 v2, v4, v0, vcc
	v_cndmask_b32_e64 v0, 0, 1, vcc
	v_lshrrev_b64 v[0:1], v0, v[60:61]
; %bb.920:                              ;   in Loop: Header=BB4_357 Depth=4
	s_andn2_saveexec_b64 s[28:29], s[28:29]
; %bb.921:                              ;   in Loop: Header=BB4_357 Depth=4
	v_mov_b32_e32 v0, v60
	v_bfe_u32 v2, v60, 23, 1
	v_mov_b32_e32 v1, v61
; %bb.922:                              ;   in Loop: Header=BB4_357 Depth=4
	s_or_b64 exec, exec, s[28:29]
	v_lshrrev_b64 v[0:1], 21, v[0:1]
	v_cmp_gt_i32_e32 vcc, 32, v2
	v_cndmask_b32_e32 v1, 0, v1, vcc
	v_cndmask_b32_e32 v0, 3, v0, vcc
	v_cmp_eq_u64_e64 s[28:29], 0, v[0:1]
	v_min_i32_e32 v1, 31, v2
	v_lshlrev_b32_e32 v1, 2, v1
	v_cmp_eq_u32_e32 vcc, 0, v2
	v_and_b32_e32 v1, 0xfc, v1
	v_and_or_b32 v0, v0, 3, v1
	s_and_b64 s[28:29], vcc, s[28:29]
	v_cndmask_b32_e64 v0, v0, 0, s[28:29]
	v_or_b32_e32 v18, v0, v19
.LBB4_923:                              ;   in Loop: Header=BB4_357 Depth=4
	s_or_b64 exec, exec, s[36:37]
                                        ; implicit-def: $vgpr19
.LBB4_924:                              ;   in Loop: Header=BB4_357 Depth=4
	s_andn2_saveexec_b64 s[28:29], s[34:35]
; %bb.925:                              ;   in Loop: Header=BB4_357 Depth=4
	v_or_b32_e32 v18, 0x7b, v19
; %bb.926:                              ;   in Loop: Header=BB4_357 Depth=4
	s_or_b64 exec, exec, s[28:29]
                                        ; implicit-def: $vgpr0
.LBB4_927:                              ;   in Loop: Header=BB4_357 Depth=4
	s_andn2_saveexec_b64 s[28:29], s[30:31]
	s_cbranch_execz .LBB4_933
; %bb.928:                              ;   in Loop: Header=BB4_357 Depth=4
	v_cmp_ne_u64_e32 vcc, 0, v[60:61]
                                        ; implicit-def: $vgpr18
	s_and_saveexec_b64 s[30:31], vcc
	s_xor_b64 vcc, exec, s[30:31]
; %bb.929:                              ;   in Loop: Header=BB4_357 Depth=4
	v_or_b32_sdwa v18, v0, s44 dst_sel:DWORD dst_unused:UNUSED_PAD src0_sel:BYTE_3 src1_sel:DWORD
                                        ; implicit-def: $vgpr0
; %bb.930:                              ;   in Loop: Header=BB4_357 Depth=4
	s_andn2_saveexec_b64 s[30:31], vcc
; %bb.931:                              ;   in Loop: Header=BB4_357 Depth=4
	v_cmp_lt_i32_e32 vcc, -1, v0
	v_bfrev_b32_e32 v0, 0.5
	v_mov_b32_e32 v1, 0x7c
	v_cndmask_b32_e32 v18, v0, v1, vcc
; %bb.932:                              ;   in Loop: Header=BB4_357 Depth=4
	s_or_b64 exec, exec, s[30:31]
.LBB4_933:                              ;   in Loop: Header=BB4_357 Depth=4
	s_or_b64 exec, exec, s[28:29]
	v_cmp_ne_u16_sdwa vcc, v12, v61 src0_sel:BYTE_0 src1_sel:DWORD
	v_mov_b32_e32 v0, 0
	v_mov_b32_e32 v1, 0
	s_and_saveexec_b64 s[28:29], vcc
	s_cbranch_execz .LBB4_941
; %bb.934:                              ;   in Loop: Header=BB4_357 Depth=4
	v_cmp_ne_u16_sdwa vcc, sext(v12), s70 src0_sel:BYTE_0 src1_sel:DWORD
	v_bfrev_b32_e32 v1, 1
	s_and_saveexec_b64 s[30:31], vcc
	s_cbranch_execz .LBB4_940
; %bb.935:                              ;   in Loop: Header=BB4_357 Depth=4
	v_and_b32_e32 v1, 0x7c, v12
	v_and_b32_e32 v2, 3, v12
	v_cmp_ne_u32_e32 vcc, s71, v1
                                        ; implicit-def: $vgpr1
	s_and_saveexec_b64 s[34:35], vcc
	s_xor_b64 s[34:35], exec, s[34:35]
	s_cbranch_execz .LBB4_937
; %bb.936:                              ;   in Loop: Header=BB4_357 Depth=4
	v_ffbh_u32_e32 v4, v2
	v_min_u32_e32 v4, 32, v4
	v_bfe_u32 v1, v12, 2, 5
	v_subrev_u32_e32 v19, 29, v4
	v_lshlrev_b64 v[22:23], v19, v[12:13]
	v_sub_u32_e32 v4, 30, v4
	v_cmp_eq_u32_e32 vcc, 0, v1
	v_cndmask_b32_e32 v1, v1, v4, vcc
	v_lshlrev_b32_e32 v4, 24, v12
	v_and_b32_e32 v19, 3, v22
	v_and_b32_e32 v4, 0x80000000, v4
	v_cndmask_b32_e32 v2, v2, v19, vcc
	v_lshl_add_u32 v1, v1, 23, v4
	v_lshl_or_b32 v1, v2, 21, v1
	v_add_u32_e32 v1, 0x38000000, v1
                                        ; implicit-def: $vgpr2
.LBB4_937:                              ;   in Loop: Header=BB4_357 Depth=4
	s_andn2_saveexec_b64 s[34:35], s[34:35]
; %bb.938:                              ;   in Loop: Header=BB4_357 Depth=4
	v_mov_b32_e32 v1, -1
	v_cmp_gt_i16_sdwa vcc, sext(v12), v1 src0_sel:BYTE_0 src1_sel:DWORD
	v_mov_b32_e32 v1, 0xff800000
	v_cndmask_b32_e32 v1, v1, v47, vcc
	v_cmp_eq_u32_e32 vcc, 0, v2
	v_mov_b32_e32 v2, 0x7f800001
	v_cndmask_b32_e32 v1, v2, v1, vcc
; %bb.939:                              ;   in Loop: Header=BB4_357 Depth=4
	s_or_b64 exec, exec, s[34:35]
.LBB4_940:                              ;   in Loop: Header=BB4_357 Depth=4
	s_or_b64 exec, exec, s[30:31]
.LBB4_941:                              ;   in Loop: Header=BB4_357 Depth=4
	s_or_b64 exec, exec, s[28:29]
	s_waitcnt vmcnt(0)
	v_cmp_ne_u16_sdwa vcc, v8, v61 src0_sel:BYTE_0 src1_sel:DWORD
	s_and_saveexec_b64 s[28:29], vcc
	s_cbranch_execz .LBB4_949
; %bb.942:                              ;   in Loop: Header=BB4_357 Depth=4
	v_cmp_ne_u16_sdwa vcc, sext(v8), s70 src0_sel:BYTE_0 src1_sel:DWORD
	v_bfrev_b32_e32 v0, 1
	s_and_saveexec_b64 s[30:31], vcc
	s_cbranch_execz .LBB4_948
; %bb.943:                              ;   in Loop: Header=BB4_357 Depth=4
	v_and_b32_e32 v0, 0x7c, v8
	v_and_b32_e32 v2, 3, v8
	v_cmp_ne_u32_e32 vcc, s71, v0
                                        ; implicit-def: $vgpr0
	s_and_saveexec_b64 s[34:35], vcc
	s_xor_b64 s[34:35], exec, s[34:35]
	s_cbranch_execz .LBB4_945
; %bb.944:                              ;   in Loop: Header=BB4_357 Depth=4
	v_ffbh_u32_e32 v4, v2
	v_min_u32_e32 v4, 32, v4
	v_bfe_u32 v0, v8, 2, 5
	v_subrev_u32_e32 v19, 29, v4
	v_lshlrev_b64 v[22:23], v19, v[8:9]
	v_sub_u32_e32 v4, 30, v4
	v_cmp_eq_u32_e32 vcc, 0, v0
	v_cndmask_b32_e32 v0, v0, v4, vcc
	v_lshlrev_b32_e32 v4, 24, v8
	v_and_b32_e32 v19, 3, v22
	v_and_b32_e32 v4, 0x80000000, v4
	v_cndmask_b32_e32 v2, v2, v19, vcc
	v_lshl_add_u32 v0, v0, 23, v4
	v_lshl_or_b32 v0, v2, 21, v0
	v_add_u32_e32 v0, 0x38000000, v0
                                        ; implicit-def: $vgpr2
.LBB4_945:                              ;   in Loop: Header=BB4_357 Depth=4
	s_andn2_saveexec_b64 s[34:35], s[34:35]
; %bb.946:                              ;   in Loop: Header=BB4_357 Depth=4
	v_mov_b32_e32 v0, -1
	v_cmp_gt_i16_sdwa vcc, sext(v8), v0 src0_sel:BYTE_0 src1_sel:DWORD
	v_mov_b32_e32 v0, 0xff800000
	v_cndmask_b32_e32 v0, v0, v47, vcc
	v_cmp_eq_u32_e32 vcc, 0, v2
	v_mov_b32_e32 v2, 0x7f800001
	v_cndmask_b32_e32 v0, v2, v0, vcc
; %bb.947:                              ;   in Loop: Header=BB4_357 Depth=4
	s_or_b64 exec, exec, s[34:35]
.LBB4_948:                              ;   in Loop: Header=BB4_357 Depth=4
	s_or_b64 exec, exec, s[30:31]
.LBB4_949:                              ;   in Loop: Header=BB4_357 Depth=4
	s_or_b64 exec, exec, s[28:29]
	v_mul_f32_e32 v0, v1, v0
	v_and_b32_e32 v1, 0x7f800000, v0
	v_mov_b32_e32 v2, v61
	v_cmp_ne_u64_e32 vcc, s[62:63], v[1:2]
	v_and_b32_e32 v60, 0x7fffff, v0
                                        ; implicit-def: $vgpr19
	s_and_saveexec_b64 s[28:29], vcc
	s_xor_b64 s[30:31], exec, s[28:29]
	s_cbranch_execz .LBB4_963
; %bb.950:                              ;   in Loop: Header=BB4_357 Depth=4
	v_and_b32_e32 v1, 0x7fffffff, v0
	v_mov_b32_e32 v2, v61
	v_cmp_gt_u64_e32 vcc, s[78:79], v[1:2]
	v_and_b32_sdwa v22, v0, s81 dst_sel:DWORD dst_unused:UNUSED_PAD src0_sel:BYTE_3 src1_sel:DWORD
                                        ; implicit-def: $vgpr19
	s_and_saveexec_b64 s[28:29], vcc
	s_xor_b64 s[34:35], exec, s[28:29]
	s_cbranch_execz .LBB4_960
; %bb.951:                              ;   in Loop: Header=BB4_357 Depth=4
	v_mov_b32_e32 v19, 0
	v_cmp_ne_u32_e32 vcc, 0, v0
	s_and_saveexec_b64 s[36:37], vcc
	s_cbranch_execz .LBB4_959
; %bb.952:                              ;   in Loop: Header=BB4_357 Depth=4
	v_bfe_u32 v4, v0, 23, 8
	v_cmp_gt_u32_e64 s[28:29], s47, v4
	v_sub_u32_e32 v0, 0x71, v4
	v_cmp_eq_u32_e32 vcc, 0, v4
	v_cndmask_b32_e64 v0, 0, v0, s[28:29]
	v_mov_b32_e32 v2, 0x70
	v_cndmask_b32_e32 v19, v0, v2, vcc
	v_or_b32_e32 v1, 0x800000, v60
	v_add_u32_e32 v0, 21, v19
	v_cndmask_b32_e32 v60, v1, v60, vcc
	v_lshlrev_b64 v[0:1], v0, -1
	v_add_u32_e32 v2, 20, v19
	v_lshlrev_b64 v[51:52], v2, 1
	v_bfi_b32 v1, v1, 0, 0
	v_bfi_b32 v0, v0, 0, v60
	v_cmp_eq_u64_e64 s[28:29], v[0:1], v[51:52]
	v_lshrrev_b64 v[0:1], v19, v[60:61]
	v_mov_b32_e32 v2, v1
	v_mov_b32_e32 v1, v0
	s_and_saveexec_b64 s[38:39], s[28:29]
; %bb.953:                              ;   in Loop: Header=BB4_357 Depth=4
	v_bfe_u32 v1, v0, 21, 1
	v_add_co_u32_e64 v1, s[28:29], v0, v1
	v_add_co_u32_e64 v1, s[28:29], -1, v1
; %bb.954:                              ;   in Loop: Header=BB4_357 Depth=4
	s_or_b64 exec, exec, s[38:39]
	v_add_u32_e32 v2, 0xffffff81, v4
	v_mov_b32_e32 v4, 0xffffff82
	v_cndmask_b32_e32 v2, v2, v4, vcc
	v_lshrrev_b32_e32 v4, 23, v0
	v_add3_u32 v19, v19, v2, v4
	v_add_u32_e32 v4, 14, v19
	v_and_b32_e32 v1, 0x1fffff, v1
	v_add_u32_e32 v60, v1, v0
	v_cmp_ne_u32_e32 vcc, 0, v4
                                        ; implicit-def: $vgpr0_vgpr1
                                        ; implicit-def: $vgpr2
	s_and_saveexec_b64 s[28:29], vcc
	s_xor_b64 s[28:29], exec, s[28:29]
; %bb.955:                              ;   in Loop: Header=BB4_357 Depth=4
	v_cmp_lt_u64_e32 vcc, s[88:89], v[60:61]
	v_add_u32_e32 v0, 15, v19
	v_cndmask_b32_e32 v2, v4, v0, vcc
	v_cndmask_b32_e64 v0, 0, 1, vcc
	v_lshrrev_b64 v[0:1], v0, v[60:61]
; %bb.956:                              ;   in Loop: Header=BB4_357 Depth=4
	s_andn2_saveexec_b64 s[28:29], s[28:29]
; %bb.957:                              ;   in Loop: Header=BB4_357 Depth=4
	v_mov_b32_e32 v0, v60
	v_bfe_u32 v2, v60, 23, 1
	v_mov_b32_e32 v1, v61
; %bb.958:                              ;   in Loop: Header=BB4_357 Depth=4
	s_or_b64 exec, exec, s[28:29]
	v_lshrrev_b64 v[0:1], 21, v[0:1]
	v_cmp_gt_i32_e32 vcc, 32, v2
	v_cndmask_b32_e32 v1, 0, v1, vcc
	v_cndmask_b32_e32 v0, 3, v0, vcc
	v_cmp_eq_u64_e64 s[28:29], 0, v[0:1]
	v_min_i32_e32 v1, 31, v2
	v_lshlrev_b32_e32 v1, 2, v1
	v_cmp_eq_u32_e32 vcc, 0, v2
	v_and_b32_e32 v1, 0xfc, v1
	v_and_or_b32 v0, v0, 3, v1
	s_and_b64 s[28:29], vcc, s[28:29]
	v_cndmask_b32_e64 v0, v0, 0, s[28:29]
	v_or_b32_e32 v19, v0, v22
.LBB4_959:                              ;   in Loop: Header=BB4_357 Depth=4
	s_or_b64 exec, exec, s[36:37]
                                        ; implicit-def: $vgpr22
.LBB4_960:                              ;   in Loop: Header=BB4_357 Depth=4
	s_andn2_saveexec_b64 s[28:29], s[34:35]
; %bb.961:                              ;   in Loop: Header=BB4_357 Depth=4
	v_or_b32_e32 v19, 0x7b, v22
; %bb.962:                              ;   in Loop: Header=BB4_357 Depth=4
	s_or_b64 exec, exec, s[28:29]
                                        ; implicit-def: $vgpr0
.LBB4_963:                              ;   in Loop: Header=BB4_357 Depth=4
	s_andn2_saveexec_b64 s[28:29], s[30:31]
	s_cbranch_execz .LBB4_969
; %bb.964:                              ;   in Loop: Header=BB4_357 Depth=4
	v_cmp_ne_u64_e32 vcc, 0, v[60:61]
                                        ; implicit-def: $vgpr19
	s_and_saveexec_b64 s[30:31], vcc
	s_xor_b64 vcc, exec, s[30:31]
; %bb.965:                              ;   in Loop: Header=BB4_357 Depth=4
	v_or_b32_sdwa v19, v0, s44 dst_sel:DWORD dst_unused:UNUSED_PAD src0_sel:BYTE_3 src1_sel:DWORD
                                        ; implicit-def: $vgpr0
; %bb.966:                              ;   in Loop: Header=BB4_357 Depth=4
	s_andn2_saveexec_b64 s[30:31], vcc
; %bb.967:                              ;   in Loop: Header=BB4_357 Depth=4
	v_cmp_lt_i32_e32 vcc, -1, v0
	v_bfrev_b32_e32 v0, 0.5
	v_mov_b32_e32 v1, 0x7c
	v_cndmask_b32_e32 v19, v0, v1, vcc
; %bb.968:                              ;   in Loop: Header=BB4_357 Depth=4
	s_or_b64 exec, exec, s[30:31]
.LBB4_969:                              ;   in Loop: Header=BB4_357 Depth=4
	s_or_b64 exec, exec, s[28:29]
	v_lshrrev_b16_e32 v60, 8, v12
	v_cmp_ne_u16_e32 vcc, 0, v60
	v_mov_b32_e32 v0, 0
	v_mov_b32_e32 v1, 0
	s_and_saveexec_b64 s[28:29], vcc
	s_cbranch_execz .LBB4_977
; %bb.970:                              ;   in Loop: Header=BB4_357 Depth=4
	v_cmp_ne_u16_e32 vcc, s81, v60
	v_bfrev_b32_e32 v1, 1
	s_and_saveexec_b64 s[30:31], vcc
	s_cbranch_execz .LBB4_976
; %bb.971:                              ;   in Loop: Header=BB4_357 Depth=4
	v_and_b32_e32 v1, 0x7c, v60
	v_and_b32_e32 v2, 3, v60
	v_cmp_ne_u32_e32 vcc, s71, v1
                                        ; implicit-def: $vgpr1
	s_and_saveexec_b64 s[34:35], vcc
	s_xor_b64 s[34:35], exec, s[34:35]
	s_cbranch_execz .LBB4_973
; %bb.972:                              ;   in Loop: Header=BB4_357 Depth=4
	v_ffbh_u32_e32 v4, v2
	v_min_u32_e32 v4, 32, v4
	v_bfe_u32 v1, v60, 2, 5
	v_subrev_u32_e32 v22, 29, v4
	v_lshlrev_b64 v[22:23], v22, v[60:61]
	v_sub_u32_e32 v4, 30, v4
	v_cmp_eq_u32_e32 vcc, 0, v1
	v_cndmask_b32_e32 v1, v1, v4, vcc
	v_lshlrev_b32_e32 v4, 16, v12
	v_and_b32_e32 v22, 3, v22
	v_and_b32_e32 v4, 0x80000000, v4
	v_cndmask_b32_e32 v2, v2, v22, vcc
	v_lshl_add_u32 v1, v1, 23, v4
	v_lshl_or_b32 v1, v2, 21, v1
	v_add_u32_e32 v1, 0x38000000, v1
                                        ; implicit-def: $vgpr2
.LBB4_973:                              ;   in Loop: Header=BB4_357 Depth=4
	s_andn2_saveexec_b64 s[34:35], s[34:35]
; %bb.974:                              ;   in Loop: Header=BB4_357 Depth=4
	v_cmp_lt_i16_e32 vcc, -1, v12
	v_mov_b32_e32 v1, 0xff800000
	v_cndmask_b32_e32 v1, v1, v47, vcc
	v_cmp_eq_u32_e32 vcc, 0, v2
	v_mov_b32_e32 v2, 0x7f800001
	v_cndmask_b32_e32 v1, v2, v1, vcc
; %bb.975:                              ;   in Loop: Header=BB4_357 Depth=4
	s_or_b64 exec, exec, s[34:35]
.LBB4_976:                              ;   in Loop: Header=BB4_357 Depth=4
	s_or_b64 exec, exec, s[30:31]
.LBB4_977:                              ;   in Loop: Header=BB4_357 Depth=4
	s_or_b64 exec, exec, s[28:29]
	v_lshrrev_b16_e32 v60, 8, v8
	v_cmp_ne_u16_e32 vcc, 0, v60
	s_and_saveexec_b64 s[28:29], vcc
	s_cbranch_execz .LBB4_985
; %bb.978:                              ;   in Loop: Header=BB4_357 Depth=4
	v_cmp_ne_u16_e32 vcc, s81, v60
	v_bfrev_b32_e32 v0, 1
	s_and_saveexec_b64 s[30:31], vcc
	s_cbranch_execz .LBB4_984
; %bb.979:                              ;   in Loop: Header=BB4_357 Depth=4
	v_and_b32_e32 v0, 0x7c, v60
	v_and_b32_e32 v2, 3, v60
	v_cmp_ne_u32_e32 vcc, s71, v0
                                        ; implicit-def: $vgpr0
	s_and_saveexec_b64 s[34:35], vcc
	s_xor_b64 s[34:35], exec, s[34:35]
	s_cbranch_execz .LBB4_981
; %bb.980:                              ;   in Loop: Header=BB4_357 Depth=4
	v_ffbh_u32_e32 v4, v2
	v_min_u32_e32 v4, 32, v4
	v_bfe_u32 v0, v60, 2, 5
	v_subrev_u32_e32 v22, 29, v4
	v_lshlrev_b64 v[22:23], v22, v[60:61]
	v_sub_u32_e32 v4, 30, v4
	v_cmp_eq_u32_e32 vcc, 0, v0
	v_cndmask_b32_e32 v0, v0, v4, vcc
	v_lshlrev_b32_e32 v4, 16, v8
	v_and_b32_e32 v22, 3, v22
	v_and_b32_e32 v4, 0x80000000, v4
	v_cndmask_b32_e32 v2, v2, v22, vcc
	v_lshl_add_u32 v0, v0, 23, v4
	v_lshl_or_b32 v0, v2, 21, v0
	v_add_u32_e32 v0, 0x38000000, v0
                                        ; implicit-def: $vgpr2
.LBB4_981:                              ;   in Loop: Header=BB4_357 Depth=4
	s_andn2_saveexec_b64 s[34:35], s[34:35]
; %bb.982:                              ;   in Loop: Header=BB4_357 Depth=4
	v_cmp_lt_i16_e32 vcc, -1, v8
	v_mov_b32_e32 v0, 0xff800000
	v_cndmask_b32_e32 v0, v0, v47, vcc
	v_cmp_eq_u32_e32 vcc, 0, v2
	v_mov_b32_e32 v2, 0x7f800001
	v_cndmask_b32_e32 v0, v2, v0, vcc
; %bb.983:                              ;   in Loop: Header=BB4_357 Depth=4
	s_or_b64 exec, exec, s[34:35]
.LBB4_984:                              ;   in Loop: Header=BB4_357 Depth=4
	s_or_b64 exec, exec, s[30:31]
.LBB4_985:                              ;   in Loop: Header=BB4_357 Depth=4
	s_or_b64 exec, exec, s[28:29]
	v_mul_f32_e32 v0, v1, v0
	v_and_b32_e32 v1, 0x7f800000, v0
	v_mov_b32_e32 v2, v61
	v_cmp_ne_u64_e32 vcc, s[62:63], v[1:2]
	v_and_b32_e32 v60, 0x7fffff, v0
                                        ; implicit-def: $vgpr22
	s_and_saveexec_b64 s[28:29], vcc
	s_xor_b64 s[30:31], exec, s[28:29]
	s_cbranch_execz .LBB4_999
; %bb.986:                              ;   in Loop: Header=BB4_357 Depth=4
	v_and_b32_e32 v1, 0x7fffffff, v0
	v_mov_b32_e32 v2, v61
	v_cmp_gt_u64_e32 vcc, s[78:79], v[1:2]
	v_and_b32_sdwa v23, v0, s81 dst_sel:DWORD dst_unused:UNUSED_PAD src0_sel:BYTE_3 src1_sel:DWORD
                                        ; implicit-def: $vgpr22
	s_and_saveexec_b64 s[28:29], vcc
	s_xor_b64 s[34:35], exec, s[28:29]
	s_cbranch_execz .LBB4_996
; %bb.987:                              ;   in Loop: Header=BB4_357 Depth=4
	v_mov_b32_e32 v22, 0
	v_cmp_ne_u32_e32 vcc, 0, v0
	s_and_saveexec_b64 s[36:37], vcc
	s_cbranch_execz .LBB4_995
; %bb.988:                              ;   in Loop: Header=BB4_357 Depth=4
	v_bfe_u32 v4, v0, 23, 8
	v_cmp_gt_u32_e64 s[28:29], s47, v4
	v_sub_u32_e32 v0, 0x71, v4
	v_cmp_eq_u32_e32 vcc, 0, v4
	v_cndmask_b32_e64 v0, 0, v0, s[28:29]
	v_mov_b32_e32 v2, 0x70
	v_cndmask_b32_e32 v22, v0, v2, vcc
	v_or_b32_e32 v1, 0x800000, v60
	v_add_u32_e32 v0, 21, v22
	v_cndmask_b32_e32 v60, v1, v60, vcc
	v_lshlrev_b64 v[0:1], v0, -1
	v_add_u32_e32 v2, 20, v22
	v_lshlrev_b64 v[51:52], v2, 1
	v_bfi_b32 v1, v1, 0, 0
	v_bfi_b32 v0, v0, 0, v60
	v_cmp_eq_u64_e64 s[28:29], v[0:1], v[51:52]
	v_lshrrev_b64 v[0:1], v22, v[60:61]
	v_mov_b32_e32 v2, v1
	v_mov_b32_e32 v1, v0
	s_and_saveexec_b64 s[38:39], s[28:29]
; %bb.989:                              ;   in Loop: Header=BB4_357 Depth=4
	v_bfe_u32 v1, v0, 21, 1
	v_add_co_u32_e64 v1, s[28:29], v0, v1
	v_add_co_u32_e64 v1, s[28:29], -1, v1
; %bb.990:                              ;   in Loop: Header=BB4_357 Depth=4
	s_or_b64 exec, exec, s[38:39]
	v_add_u32_e32 v2, 0xffffff81, v4
	v_mov_b32_e32 v4, 0xffffff82
	v_cndmask_b32_e32 v2, v2, v4, vcc
	v_lshrrev_b32_e32 v4, 23, v0
	v_add3_u32 v22, v22, v2, v4
	v_add_u32_e32 v4, 14, v22
	v_and_b32_e32 v1, 0x1fffff, v1
	v_add_u32_e32 v60, v1, v0
	v_cmp_ne_u32_e32 vcc, 0, v4
                                        ; implicit-def: $vgpr0_vgpr1
                                        ; implicit-def: $vgpr2
	s_and_saveexec_b64 s[28:29], vcc
	s_xor_b64 s[28:29], exec, s[28:29]
; %bb.991:                              ;   in Loop: Header=BB4_357 Depth=4
	v_cmp_lt_u64_e32 vcc, s[88:89], v[60:61]
	v_add_u32_e32 v0, 15, v22
	v_cndmask_b32_e32 v2, v4, v0, vcc
	v_cndmask_b32_e64 v0, 0, 1, vcc
	v_lshrrev_b64 v[0:1], v0, v[60:61]
; %bb.992:                              ;   in Loop: Header=BB4_357 Depth=4
	s_andn2_saveexec_b64 s[28:29], s[28:29]
; %bb.993:                              ;   in Loop: Header=BB4_357 Depth=4
	v_mov_b32_e32 v0, v60
	v_bfe_u32 v2, v60, 23, 1
	v_mov_b32_e32 v1, v61
; %bb.994:                              ;   in Loop: Header=BB4_357 Depth=4
	s_or_b64 exec, exec, s[28:29]
	v_lshrrev_b64 v[0:1], 21, v[0:1]
	v_cmp_gt_i32_e32 vcc, 32, v2
	v_cndmask_b32_e32 v1, 0, v1, vcc
	v_cndmask_b32_e32 v0, 3, v0, vcc
	v_cmp_eq_u64_e64 s[28:29], 0, v[0:1]
	v_min_i32_e32 v1, 31, v2
	v_lshlrev_b32_e32 v1, 2, v1
	v_cmp_eq_u32_e32 vcc, 0, v2
	v_and_b32_e32 v1, 0xfc, v1
	v_and_or_b32 v0, v0, 3, v1
	s_and_b64 s[28:29], vcc, s[28:29]
	v_cndmask_b32_e64 v0, v0, 0, s[28:29]
	v_or_b32_e32 v22, v0, v23
.LBB4_995:                              ;   in Loop: Header=BB4_357 Depth=4
	s_or_b64 exec, exec, s[36:37]
                                        ; implicit-def: $vgpr23
.LBB4_996:                              ;   in Loop: Header=BB4_357 Depth=4
	s_andn2_saveexec_b64 s[28:29], s[34:35]
; %bb.997:                              ;   in Loop: Header=BB4_357 Depth=4
	v_or_b32_e32 v22, 0x7b, v23
; %bb.998:                              ;   in Loop: Header=BB4_357 Depth=4
	s_or_b64 exec, exec, s[28:29]
                                        ; implicit-def: $vgpr0
.LBB4_999:                              ;   in Loop: Header=BB4_357 Depth=4
	s_andn2_saveexec_b64 s[28:29], s[30:31]
	s_cbranch_execz .LBB4_1005
; %bb.1000:                             ;   in Loop: Header=BB4_357 Depth=4
	v_cmp_ne_u64_e32 vcc, 0, v[60:61]
                                        ; implicit-def: $vgpr22
	s_and_saveexec_b64 s[30:31], vcc
	s_xor_b64 vcc, exec, s[30:31]
; %bb.1001:                             ;   in Loop: Header=BB4_357 Depth=4
	v_or_b32_sdwa v22, v0, s44 dst_sel:DWORD dst_unused:UNUSED_PAD src0_sel:BYTE_3 src1_sel:DWORD
                                        ; implicit-def: $vgpr0
; %bb.1002:                             ;   in Loop: Header=BB4_357 Depth=4
	s_andn2_saveexec_b64 s[30:31], vcc
; %bb.1003:                             ;   in Loop: Header=BB4_357 Depth=4
	v_cmp_lt_i32_e32 vcc, -1, v0
	v_bfrev_b32_e32 v0, 0.5
	v_mov_b32_e32 v1, 0x7c
	v_cndmask_b32_e32 v22, v0, v1, vcc
; %bb.1004:                             ;   in Loop: Header=BB4_357 Depth=4
	s_or_b64 exec, exec, s[30:31]
.LBB4_1005:                             ;   in Loop: Header=BB4_357 Depth=4
	s_or_b64 exec, exec, s[28:29]
	v_lshrrev_b32_e32 v0, 16, v12
	v_cmp_ne_u16_sdwa vcc, v0, v61 src0_sel:BYTE_0 src1_sel:DWORD
	v_mov_b32_e32 v1, 0
	v_mov_b32_e32 v2, 0
	s_and_saveexec_b64 s[28:29], vcc
	s_cbranch_execz .LBB4_1013
; %bb.1006:                             ;   in Loop: Header=BB4_357 Depth=4
	v_cmp_ne_u16_sdwa vcc, v0, s81 src0_sel:BYTE_0 src1_sel:DWORD
	v_bfrev_b32_e32 v2, 1
	s_and_saveexec_b64 s[30:31], vcc
	s_cbranch_execz .LBB4_1012
; %bb.1007:                             ;   in Loop: Header=BB4_357 Depth=4
	v_and_b32_e32 v2, 0x7c0000, v12
	v_bfe_u32 v4, v12, 16, 2
	v_cmp_ne_u32_e32 vcc, s45, v2
                                        ; implicit-def: $vgpr2
	s_and_saveexec_b64 s[34:35], vcc
	s_xor_b64 s[34:35], exec, s[34:35]
	s_cbranch_execz .LBB4_1009
; %bb.1008:                             ;   in Loop: Header=BB4_357 Depth=4
	v_ffbh_u32_e32 v23, v4
	v_min_u32_e32 v23, 32, v23
	v_subrev_u32_e32 v51, 29, v23
	v_lshlrev_b64 v[51:52], v51, v[0:1]
	v_bfe_u32 v2, v12, 18, 5
	v_sub_u32_e32 v0, 30, v23
	v_and_b32_e32 v23, 3, v51
	v_cmp_eq_u32_e32 vcc, 0, v2
	v_cndmask_b32_e32 v0, v2, v0, vcc
	v_cndmask_b32_e32 v2, v4, v23, vcc
	v_lshlrev_b32_e32 v4, 8, v12
	v_and_b32_e32 v4, 0x80000000, v4
	v_lshl_add_u32 v0, v0, 23, v4
	v_lshl_or_b32 v0, v2, 21, v0
	v_add_u32_e32 v2, 0x38000000, v0
                                        ; implicit-def: $vgpr4
                                        ; implicit-def: $vgpr0
.LBB4_1009:                             ;   in Loop: Header=BB4_357 Depth=4
	s_andn2_saveexec_b64 s[34:35], s[34:35]
; %bb.1010:                             ;   in Loop: Header=BB4_357 Depth=4
	v_mov_b32_e32 v2, -1
	v_cmp_gt_i16_sdwa vcc, sext(v0), v2 src0_sel:BYTE_0 src1_sel:DWORD
	v_mov_b32_e32 v0, 0xff800000
	v_cndmask_b32_e32 v0, v0, v47, vcc
	v_cmp_eq_u32_e32 vcc, 0, v4
	v_mov_b32_e32 v2, 0x7f800001
	v_cndmask_b32_e32 v2, v2, v0, vcc
; %bb.1011:                             ;   in Loop: Header=BB4_357 Depth=4
	s_or_b64 exec, exec, s[34:35]
.LBB4_1012:                             ;   in Loop: Header=BB4_357 Depth=4
	s_or_b64 exec, exec, s[30:31]
.LBB4_1013:                             ;   in Loop: Header=BB4_357 Depth=4
	s_or_b64 exec, exec, s[28:29]
	v_lshrrev_b32_e32 v0, 16, v8
	v_cmp_ne_u16_sdwa vcc, v0, v61 src0_sel:BYTE_0 src1_sel:DWORD
	s_and_saveexec_b64 s[28:29], vcc
	s_cbranch_execz .LBB4_1021
; %bb.1014:                             ;   in Loop: Header=BB4_357 Depth=4
	v_cmp_ne_u16_sdwa vcc, v0, s81 src0_sel:BYTE_0 src1_sel:DWORD
	v_bfrev_b32_e32 v1, 1
	s_and_saveexec_b64 s[30:31], vcc
	s_cbranch_execz .LBB4_1020
; %bb.1015:                             ;   in Loop: Header=BB4_357 Depth=4
	v_and_b32_e32 v1, 0x7c0000, v8
	v_bfe_u32 v4, v8, 16, 2
	v_cmp_ne_u32_e32 vcc, s45, v1
                                        ; implicit-def: $vgpr1
	s_and_saveexec_b64 s[34:35], vcc
	s_xor_b64 s[34:35], exec, s[34:35]
	s_cbranch_execz .LBB4_1017
; %bb.1016:                             ;   in Loop: Header=BB4_357 Depth=4
	v_ffbh_u32_e32 v1, v4
	v_min_u32_e32 v51, 32, v1
	v_subrev_u32_e32 v1, 29, v51
	v_lshlrev_b64 v[0:1], v1, v[0:1]
	v_bfe_u32 v23, v8, 18, 5
	v_and_b32_e32 v0, 3, v0
	v_cmp_eq_u32_e32 vcc, 0, v23
	v_sub_u32_e32 v1, 30, v51
	v_cndmask_b32_e32 v0, v4, v0, vcc
	v_lshlrev_b32_e32 v4, 8, v8
	v_cndmask_b32_e32 v1, v23, v1, vcc
	v_and_b32_e32 v4, 0x80000000, v4
	v_lshl_add_u32 v1, v1, 23, v4
	v_lshl_or_b32 v0, v0, 21, v1
	v_add_u32_e32 v1, 0x38000000, v0
                                        ; implicit-def: $vgpr4
                                        ; implicit-def: $vgpr0
.LBB4_1017:                             ;   in Loop: Header=BB4_357 Depth=4
	s_andn2_saveexec_b64 s[34:35], s[34:35]
; %bb.1018:                             ;   in Loop: Header=BB4_357 Depth=4
	v_mov_b32_e32 v1, -1
	v_cmp_gt_i16_sdwa vcc, sext(v0), v1 src0_sel:BYTE_0 src1_sel:DWORD
	v_mov_b32_e32 v0, 0xff800000
	v_cndmask_b32_e32 v0, v0, v47, vcc
	v_cmp_eq_u32_e32 vcc, 0, v4
	v_mov_b32_e32 v1, 0x7f800001
	v_cndmask_b32_e32 v1, v1, v0, vcc
; %bb.1019:                             ;   in Loop: Header=BB4_357 Depth=4
	s_or_b64 exec, exec, s[34:35]
.LBB4_1020:                             ;   in Loop: Header=BB4_357 Depth=4
	s_or_b64 exec, exec, s[30:31]
.LBB4_1021:                             ;   in Loop: Header=BB4_357 Depth=4
	s_or_b64 exec, exec, s[28:29]
	v_mul_f32_e32 v0, v2, v1
	v_and_b32_e32 v1, 0x7f800000, v0
	v_mov_b32_e32 v2, v61
	v_cmp_ne_u64_e32 vcc, s[62:63], v[1:2]
	v_and_b32_e32 v60, 0x7fffff, v0
                                        ; implicit-def: $vgpr23
	s_and_saveexec_b64 s[28:29], vcc
	s_xor_b64 s[30:31], exec, s[28:29]
	s_cbranch_execz .LBB4_1035
; %bb.1022:                             ;   in Loop: Header=BB4_357 Depth=4
	v_and_b32_e32 v1, 0x7fffffff, v0
	v_mov_b32_e32 v2, v61
	v_cmp_gt_u64_e32 vcc, s[78:79], v[1:2]
	v_and_b32_sdwa v51, v0, s81 dst_sel:DWORD dst_unused:UNUSED_PAD src0_sel:BYTE_3 src1_sel:DWORD
                                        ; implicit-def: $vgpr23
	s_and_saveexec_b64 s[28:29], vcc
	s_xor_b64 s[34:35], exec, s[28:29]
	s_cbranch_execz .LBB4_1032
; %bb.1023:                             ;   in Loop: Header=BB4_357 Depth=4
	v_mov_b32_e32 v23, 0
	v_cmp_ne_u32_e32 vcc, 0, v0
	s_and_saveexec_b64 s[36:37], vcc
	s_cbranch_execz .LBB4_1031
; %bb.1024:                             ;   in Loop: Header=BB4_357 Depth=4
	v_bfe_u32 v4, v0, 23, 8
	v_cmp_gt_u32_e64 s[28:29], s47, v4
	v_sub_u32_e32 v0, 0x71, v4
	v_cmp_eq_u32_e32 vcc, 0, v4
	v_cndmask_b32_e64 v0, 0, v0, s[28:29]
	v_mov_b32_e32 v2, 0x70
	v_cndmask_b32_e32 v23, v0, v2, vcc
	v_or_b32_e32 v1, 0x800000, v60
	v_add_u32_e32 v0, 21, v23
	v_cndmask_b32_e32 v60, v1, v60, vcc
	v_lshlrev_b64 v[0:1], v0, -1
	v_add_u32_e32 v2, 20, v23
	v_lshlrev_b64 v[52:53], v2, 1
	v_bfi_b32 v1, v1, 0, 0
	v_bfi_b32 v0, v0, 0, v60
	v_cmp_eq_u64_e64 s[28:29], v[0:1], v[52:53]
	v_lshrrev_b64 v[0:1], v23, v[60:61]
	v_mov_b32_e32 v2, v1
	v_mov_b32_e32 v1, v0
	s_and_saveexec_b64 s[38:39], s[28:29]
; %bb.1025:                             ;   in Loop: Header=BB4_357 Depth=4
	v_bfe_u32 v1, v0, 21, 1
	v_add_co_u32_e64 v1, s[28:29], v0, v1
	v_add_co_u32_e64 v1, s[28:29], -1, v1
; %bb.1026:                             ;   in Loop: Header=BB4_357 Depth=4
	s_or_b64 exec, exec, s[38:39]
	v_add_u32_e32 v2, 0xffffff81, v4
	v_mov_b32_e32 v4, 0xffffff82
	v_cndmask_b32_e32 v2, v2, v4, vcc
	v_lshrrev_b32_e32 v4, 23, v0
	v_add3_u32 v23, v23, v2, v4
	v_add_u32_e32 v4, 14, v23
	v_and_b32_e32 v1, 0x1fffff, v1
	v_add_u32_e32 v60, v1, v0
	v_cmp_ne_u32_e32 vcc, 0, v4
                                        ; implicit-def: $vgpr0_vgpr1
                                        ; implicit-def: $vgpr2
	s_and_saveexec_b64 s[28:29], vcc
	s_xor_b64 s[28:29], exec, s[28:29]
; %bb.1027:                             ;   in Loop: Header=BB4_357 Depth=4
	v_cmp_lt_u64_e32 vcc, s[88:89], v[60:61]
	v_add_u32_e32 v0, 15, v23
	v_cndmask_b32_e32 v2, v4, v0, vcc
	v_cndmask_b32_e64 v0, 0, 1, vcc
	v_lshrrev_b64 v[0:1], v0, v[60:61]
; %bb.1028:                             ;   in Loop: Header=BB4_357 Depth=4
	s_andn2_saveexec_b64 s[28:29], s[28:29]
; %bb.1029:                             ;   in Loop: Header=BB4_357 Depth=4
	v_mov_b32_e32 v0, v60
	v_bfe_u32 v2, v60, 23, 1
	v_mov_b32_e32 v1, v61
; %bb.1030:                             ;   in Loop: Header=BB4_357 Depth=4
	s_or_b64 exec, exec, s[28:29]
	v_lshrrev_b64 v[0:1], 21, v[0:1]
	v_cmp_gt_i32_e32 vcc, 32, v2
	v_cndmask_b32_e32 v1, 0, v1, vcc
	v_cndmask_b32_e32 v0, 3, v0, vcc
	v_cmp_eq_u64_e64 s[28:29], 0, v[0:1]
	v_min_i32_e32 v1, 31, v2
	v_lshlrev_b32_e32 v1, 2, v1
	v_cmp_eq_u32_e32 vcc, 0, v2
	v_and_b32_e32 v1, 0xfc, v1
	v_and_or_b32 v0, v0, 3, v1
	s_and_b64 s[28:29], vcc, s[28:29]
	v_cndmask_b32_e64 v0, v0, 0, s[28:29]
	v_or_b32_e32 v23, v0, v51
.LBB4_1031:                             ;   in Loop: Header=BB4_357 Depth=4
	s_or_b64 exec, exec, s[36:37]
                                        ; implicit-def: $vgpr51
.LBB4_1032:                             ;   in Loop: Header=BB4_357 Depth=4
	s_andn2_saveexec_b64 s[28:29], s[34:35]
; %bb.1033:                             ;   in Loop: Header=BB4_357 Depth=4
	v_or_b32_e32 v23, 0x7b, v51
; %bb.1034:                             ;   in Loop: Header=BB4_357 Depth=4
	s_or_b64 exec, exec, s[28:29]
                                        ; implicit-def: $vgpr0
.LBB4_1035:                             ;   in Loop: Header=BB4_357 Depth=4
	s_andn2_saveexec_b64 s[28:29], s[30:31]
	s_cbranch_execz .LBB4_1041
; %bb.1036:                             ;   in Loop: Header=BB4_357 Depth=4
	v_cmp_ne_u64_e32 vcc, 0, v[60:61]
                                        ; implicit-def: $vgpr23
	s_and_saveexec_b64 s[30:31], vcc
	s_xor_b64 vcc, exec, s[30:31]
; %bb.1037:                             ;   in Loop: Header=BB4_357 Depth=4
	v_or_b32_sdwa v23, v0, s44 dst_sel:DWORD dst_unused:UNUSED_PAD src0_sel:BYTE_3 src1_sel:DWORD
                                        ; implicit-def: $vgpr0
; %bb.1038:                             ;   in Loop: Header=BB4_357 Depth=4
	s_andn2_saveexec_b64 s[30:31], vcc
; %bb.1039:                             ;   in Loop: Header=BB4_357 Depth=4
	v_cmp_lt_i32_e32 vcc, -1, v0
	v_bfrev_b32_e32 v0, 0.5
	v_mov_b32_e32 v1, 0x7c
	v_cndmask_b32_e32 v23, v0, v1, vcc
; %bb.1040:                             ;   in Loop: Header=BB4_357 Depth=4
	s_or_b64 exec, exec, s[30:31]
.LBB4_1041:                             ;   in Loop: Header=BB4_357 Depth=4
	s_or_b64 exec, exec, s[28:29]
	v_cmp_lt_u32_e32 vcc, s57, v12
	v_mov_b32_e32 v1, 0
	v_mov_b32_e32 v2, 0
	s_and_saveexec_b64 s[28:29], vcc
	s_cbranch_execz .LBB4_1049
; %bb.1042:                             ;   in Loop: Header=BB4_357 Depth=4
	v_lshrrev_b32_e32 v0, 24, v12
	v_cmp_ne_u32_e32 vcc, s81, v0
	v_bfrev_b32_e32 v2, 1
	s_and_saveexec_b64 s[30:31], vcc
	s_cbranch_execz .LBB4_1048
; %bb.1043:                             ;   in Loop: Header=BB4_357 Depth=4
	v_and_b32_e32 v2, 0x7c000000, v12
	v_bfe_u32 v4, v12, 24, 2
	v_cmp_ne_u32_e32 vcc, s82, v2
                                        ; implicit-def: $vgpr2
	s_and_saveexec_b64 s[34:35], vcc
	s_xor_b64 s[34:35], exec, s[34:35]
	s_cbranch_execz .LBB4_1045
; %bb.1044:                             ;   in Loop: Header=BB4_357 Depth=4
	v_ffbh_u32_e32 v51, v4
	v_min_u32_e32 v53, 32, v51
	v_subrev_u32_e32 v51, 29, v53
	v_lshlrev_b64 v[51:52], v51, v[0:1]
	v_bfe_u32 v2, v12, 26, 5
	v_sub_u32_e32 v0, 30, v53
	v_and_b32_e32 v51, 3, v51
	v_cmp_eq_u32_e32 vcc, 0, v2
	v_cndmask_b32_e32 v0, v2, v0, vcc
	v_cndmask_b32_e32 v2, v4, v51, vcc
	v_and_b32_e32 v4, 0x80000000, v12
	v_lshl_add_u32 v0, v0, 23, v4
	v_lshl_or_b32 v0, v2, 21, v0
	v_add_u32_e32 v2, 0x38000000, v0
                                        ; implicit-def: $vgpr4
.LBB4_1045:                             ;   in Loop: Header=BB4_357 Depth=4
	s_andn2_saveexec_b64 s[34:35], s[34:35]
; %bb.1046:                             ;   in Loop: Header=BB4_357 Depth=4
	v_cmp_lt_i32_e32 vcc, -1, v12
	v_mov_b32_e32 v0, 0xff800000
	v_cndmask_b32_e32 v0, v0, v47, vcc
	v_cmp_eq_u32_e32 vcc, 0, v4
	v_mov_b32_e32 v2, 0x7f800001
	v_cndmask_b32_e32 v2, v2, v0, vcc
; %bb.1047:                             ;   in Loop: Header=BB4_357 Depth=4
	s_or_b64 exec, exec, s[34:35]
.LBB4_1048:                             ;   in Loop: Header=BB4_357 Depth=4
	s_or_b64 exec, exec, s[30:31]
.LBB4_1049:                             ;   in Loop: Header=BB4_357 Depth=4
	s_or_b64 exec, exec, s[28:29]
	v_cmp_lt_u32_e32 vcc, s57, v8
	s_and_saveexec_b64 s[28:29], vcc
	s_cbranch_execz .LBB4_1057
; %bb.1050:                             ;   in Loop: Header=BB4_357 Depth=4
	v_lshrrev_b32_e32 v0, 24, v8
	v_cmp_ne_u32_e32 vcc, s81, v0
	v_bfrev_b32_e32 v1, 1
	s_and_saveexec_b64 s[30:31], vcc
	s_cbranch_execz .LBB4_1056
; %bb.1051:                             ;   in Loop: Header=BB4_357 Depth=4
	v_and_b32_e32 v1, 0x7c000000, v8
	v_bfe_u32 v4, v8, 24, 2
	v_cmp_ne_u32_e32 vcc, s82, v1
                                        ; implicit-def: $vgpr1
	s_and_saveexec_b64 s[34:35], vcc
	s_xor_b64 s[34:35], exec, s[34:35]
	s_cbranch_execz .LBB4_1053
; %bb.1052:                             ;   in Loop: Header=BB4_357 Depth=4
	v_ffbh_u32_e32 v1, v4
	v_min_u32_e32 v52, 32, v1
	v_subrev_u32_e32 v1, 29, v52
	v_lshlrev_b64 v[0:1], v1, v[0:1]
	v_bfe_u32 v51, v8, 26, 5
	v_sub_u32_e32 v1, 30, v52
	v_and_b32_e32 v0, 3, v0
	v_cmp_eq_u32_e32 vcc, 0, v51
	v_cndmask_b32_e32 v1, v51, v1, vcc
	v_cndmask_b32_e32 v0, v4, v0, vcc
	v_and_b32_e32 v4, 0x80000000, v8
	v_lshl_add_u32 v1, v1, 23, v4
	v_lshl_or_b32 v0, v0, 21, v1
	v_add_u32_e32 v1, 0x38000000, v0
                                        ; implicit-def: $vgpr4
.LBB4_1053:                             ;   in Loop: Header=BB4_357 Depth=4
	s_andn2_saveexec_b64 s[34:35], s[34:35]
; %bb.1054:                             ;   in Loop: Header=BB4_357 Depth=4
	v_cmp_lt_i32_e32 vcc, -1, v8
	v_mov_b32_e32 v0, 0xff800000
	v_cndmask_b32_e32 v0, v0, v47, vcc
	v_cmp_eq_u32_e32 vcc, 0, v4
	v_mov_b32_e32 v1, 0x7f800001
	v_cndmask_b32_e32 v1, v1, v0, vcc
; %bb.1055:                             ;   in Loop: Header=BB4_357 Depth=4
	s_or_b64 exec, exec, s[34:35]
.LBB4_1056:                             ;   in Loop: Header=BB4_357 Depth=4
	s_or_b64 exec, exec, s[30:31]
.LBB4_1057:                             ;   in Loop: Header=BB4_357 Depth=4
	s_or_b64 exec, exec, s[28:29]
	v_mul_f32_e32 v0, v2, v1
	v_and_b32_e32 v1, 0x7f800000, v0
	v_mov_b32_e32 v2, v61
	v_cmp_ne_u64_e32 vcc, s[62:63], v[1:2]
	v_and_b32_e32 v60, 0x7fffff, v0
                                        ; implicit-def: $vgpr51
	s_and_saveexec_b64 s[28:29], vcc
	s_xor_b64 s[30:31], exec, s[28:29]
	s_cbranch_execz .LBB4_1071
; %bb.1058:                             ;   in Loop: Header=BB4_357 Depth=4
	v_and_b32_e32 v1, 0x7fffffff, v0
	v_mov_b32_e32 v2, v61
	v_cmp_gt_u64_e32 vcc, s[78:79], v[1:2]
	v_and_b32_sdwa v52, v0, s81 dst_sel:DWORD dst_unused:UNUSED_PAD src0_sel:BYTE_3 src1_sel:DWORD
                                        ; implicit-def: $vgpr51
	s_and_saveexec_b64 s[28:29], vcc
	s_xor_b64 s[34:35], exec, s[28:29]
	s_cbranch_execz .LBB4_1068
; %bb.1059:                             ;   in Loop: Header=BB4_357 Depth=4
	v_mov_b32_e32 v51, 0
	v_cmp_ne_u32_e32 vcc, 0, v0
	s_and_saveexec_b64 s[36:37], vcc
	s_cbranch_execz .LBB4_1067
; %bb.1060:                             ;   in Loop: Header=BB4_357 Depth=4
	v_bfe_u32 v4, v0, 23, 8
	v_cmp_gt_u32_e64 s[28:29], s47, v4
	v_sub_u32_e32 v0, 0x71, v4
	v_cmp_eq_u32_e32 vcc, 0, v4
	v_cndmask_b32_e64 v0, 0, v0, s[28:29]
	v_mov_b32_e32 v2, 0x70
	v_cndmask_b32_e32 v51, v0, v2, vcc
	v_or_b32_e32 v1, 0x800000, v60
	v_add_u32_e32 v0, 21, v51
	v_cndmask_b32_e32 v60, v1, v60, vcc
	v_lshlrev_b64 v[0:1], v0, -1
	v_add_u32_e32 v2, 20, v51
	v_lshlrev_b64 v[53:54], v2, 1
	v_bfi_b32 v1, v1, 0, 0
	v_bfi_b32 v0, v0, 0, v60
	v_cmp_eq_u64_e64 s[28:29], v[0:1], v[53:54]
	v_lshrrev_b64 v[0:1], v51, v[60:61]
	v_mov_b32_e32 v2, v1
	v_mov_b32_e32 v1, v0
	s_and_saveexec_b64 s[38:39], s[28:29]
; %bb.1061:                             ;   in Loop: Header=BB4_357 Depth=4
	v_bfe_u32 v1, v0, 21, 1
	v_add_co_u32_e64 v1, s[28:29], v0, v1
	v_add_co_u32_e64 v1, s[28:29], -1, v1
; %bb.1062:                             ;   in Loop: Header=BB4_357 Depth=4
	s_or_b64 exec, exec, s[38:39]
	v_add_u32_e32 v2, 0xffffff81, v4
	v_mov_b32_e32 v4, 0xffffff82
	v_cndmask_b32_e32 v2, v2, v4, vcc
	v_lshrrev_b32_e32 v4, 23, v0
	v_add3_u32 v51, v51, v2, v4
	v_add_u32_e32 v4, 14, v51
	v_and_b32_e32 v1, 0x1fffff, v1
	v_add_u32_e32 v60, v1, v0
	v_cmp_ne_u32_e32 vcc, 0, v4
                                        ; implicit-def: $vgpr0_vgpr1
                                        ; implicit-def: $vgpr2
	s_and_saveexec_b64 s[28:29], vcc
	s_xor_b64 s[28:29], exec, s[28:29]
; %bb.1063:                             ;   in Loop: Header=BB4_357 Depth=4
	v_cmp_lt_u64_e32 vcc, s[88:89], v[60:61]
	v_add_u32_e32 v0, 15, v51
	v_cndmask_b32_e32 v2, v4, v0, vcc
	v_cndmask_b32_e64 v0, 0, 1, vcc
	v_lshrrev_b64 v[0:1], v0, v[60:61]
; %bb.1064:                             ;   in Loop: Header=BB4_357 Depth=4
	s_andn2_saveexec_b64 s[28:29], s[28:29]
; %bb.1065:                             ;   in Loop: Header=BB4_357 Depth=4
	v_mov_b32_e32 v0, v60
	v_bfe_u32 v2, v60, 23, 1
	v_mov_b32_e32 v1, v61
; %bb.1066:                             ;   in Loop: Header=BB4_357 Depth=4
	s_or_b64 exec, exec, s[28:29]
	v_lshrrev_b64 v[0:1], 21, v[0:1]
	v_cmp_gt_i32_e32 vcc, 32, v2
	v_cndmask_b32_e32 v1, 0, v1, vcc
	v_cndmask_b32_e32 v0, 3, v0, vcc
	v_cmp_eq_u64_e64 s[28:29], 0, v[0:1]
	v_min_i32_e32 v1, 31, v2
	v_lshlrev_b32_e32 v1, 2, v1
	v_cmp_eq_u32_e32 vcc, 0, v2
	v_and_b32_e32 v1, 0xfc, v1
	v_and_or_b32 v0, v0, 3, v1
	s_and_b64 s[28:29], vcc, s[28:29]
	v_cndmask_b32_e64 v0, v0, 0, s[28:29]
	v_or_b32_e32 v51, v0, v52
.LBB4_1067:                             ;   in Loop: Header=BB4_357 Depth=4
	s_or_b64 exec, exec, s[36:37]
                                        ; implicit-def: $vgpr52
.LBB4_1068:                             ;   in Loop: Header=BB4_357 Depth=4
	s_andn2_saveexec_b64 s[28:29], s[34:35]
; %bb.1069:                             ;   in Loop: Header=BB4_357 Depth=4
	v_or_b32_e32 v51, 0x7b, v52
; %bb.1070:                             ;   in Loop: Header=BB4_357 Depth=4
	s_or_b64 exec, exec, s[28:29]
                                        ; implicit-def: $vgpr0
.LBB4_1071:                             ;   in Loop: Header=BB4_357 Depth=4
	s_andn2_saveexec_b64 s[28:29], s[30:31]
	s_cbranch_execz .LBB4_1077
; %bb.1072:                             ;   in Loop: Header=BB4_357 Depth=4
	v_cmp_ne_u64_e32 vcc, 0, v[60:61]
                                        ; implicit-def: $vgpr51
	s_and_saveexec_b64 s[30:31], vcc
	s_xor_b64 vcc, exec, s[30:31]
; %bb.1073:                             ;   in Loop: Header=BB4_357 Depth=4
	v_or_b32_sdwa v51, v0, s44 dst_sel:DWORD dst_unused:UNUSED_PAD src0_sel:BYTE_3 src1_sel:DWORD
                                        ; implicit-def: $vgpr0
; %bb.1074:                             ;   in Loop: Header=BB4_357 Depth=4
	s_andn2_saveexec_b64 s[30:31], vcc
; %bb.1075:                             ;   in Loop: Header=BB4_357 Depth=4
	v_cmp_lt_i32_e32 vcc, -1, v0
	v_bfrev_b32_e32 v0, 0.5
	v_mov_b32_e32 v1, 0x7c
	v_cndmask_b32_e32 v51, v0, v1, vcc
; %bb.1076:                             ;   in Loop: Header=BB4_357 Depth=4
	s_or_b64 exec, exec, s[30:31]
.LBB4_1077:                             ;   in Loop: Header=BB4_357 Depth=4
	s_or_b64 exec, exec, s[28:29]
	v_mov_b32_e32 v60, v13
	v_cmp_ne_u16_sdwa vcc, v13, v61 src0_sel:BYTE_0 src1_sel:DWORD
	v_mov_b32_e32 v1, 0
	v_mov_b32_e32 v0, 0
	s_and_saveexec_b64 s[28:29], vcc
	s_cbranch_execz .LBB4_1085
; %bb.1078:                             ;   in Loop: Header=BB4_357 Depth=4
	v_cmp_ne_u16_sdwa vcc, v13, s81 src0_sel:BYTE_0 src1_sel:DWORD
	v_bfrev_b32_e32 v0, 1
	s_and_saveexec_b64 s[30:31], vcc
	s_cbranch_execz .LBB4_1084
; %bb.1079:                             ;   in Loop: Header=BB4_357 Depth=4
	v_and_b32_e32 v0, 0x7c, v13
	v_and_b32_e32 v2, 3, v13
	v_cmp_ne_u32_e32 vcc, s71, v0
                                        ; implicit-def: $vgpr0
	s_and_saveexec_b64 s[34:35], vcc
	s_xor_b64 s[34:35], exec, s[34:35]
	s_cbranch_execz .LBB4_1081
; %bb.1080:                             ;   in Loop: Header=BB4_357 Depth=4
	v_ffbh_u32_e32 v4, v2
	v_min_u32_e32 v4, 32, v4
	v_bfe_u32 v0, v13, 2, 5
	v_subrev_u32_e32 v52, 29, v4
	v_lshlrev_b64 v[52:53], v52, v[60:61]
	v_sub_u32_e32 v4, 30, v4
	v_cmp_eq_u32_e32 vcc, 0, v0
	v_cndmask_b32_e32 v0, v0, v4, vcc
	v_lshlrev_b32_e32 v4, 24, v13
	v_and_b32_e32 v52, 3, v52
	v_and_b32_e32 v4, 0x80000000, v4
	v_cndmask_b32_e32 v2, v2, v52, vcc
	v_lshl_add_u32 v0, v0, 23, v4
	v_lshl_or_b32 v0, v2, 21, v0
	v_add_u32_e32 v0, 0x38000000, v0
                                        ; implicit-def: $vgpr2
.LBB4_1081:                             ;   in Loop: Header=BB4_357 Depth=4
	s_andn2_saveexec_b64 s[34:35], s[34:35]
; %bb.1082:                             ;   in Loop: Header=BB4_357 Depth=4
	v_mov_b32_e32 v0, -1
	v_cmp_gt_i16_sdwa vcc, sext(v13), v0 src0_sel:BYTE_0 src1_sel:DWORD
	v_mov_b32_e32 v0, 0xff800000
	v_cndmask_b32_e32 v0, v0, v47, vcc
	v_cmp_eq_u32_e32 vcc, 0, v2
	v_mov_b32_e32 v2, 0x7f800001
	v_cndmask_b32_e32 v0, v2, v0, vcc
; %bb.1083:                             ;   in Loop: Header=BB4_357 Depth=4
	s_or_b64 exec, exec, s[34:35]
.LBB4_1084:                             ;   in Loop: Header=BB4_357 Depth=4
	s_or_b64 exec, exec, s[30:31]
.LBB4_1085:                             ;   in Loop: Header=BB4_357 Depth=4
	s_or_b64 exec, exec, s[28:29]
	v_cmp_ne_u16_sdwa vcc, v9, v61 src0_sel:BYTE_0 src1_sel:DWORD
	s_and_saveexec_b64 s[28:29], vcc
	s_cbranch_execz .LBB4_1093
; %bb.1086:                             ;   in Loop: Header=BB4_357 Depth=4
	v_cmp_ne_u16_sdwa vcc, v9, s81 src0_sel:BYTE_0 src1_sel:DWORD
	v_bfrev_b32_e32 v1, 1
	s_and_saveexec_b64 s[30:31], vcc
	s_cbranch_execz .LBB4_1092
; %bb.1087:                             ;   in Loop: Header=BB4_357 Depth=4
	v_and_b32_e32 v1, 0x7c, v9
	v_and_b32_e32 v2, 3, v9
	v_cmp_ne_u32_e32 vcc, s71, v1
                                        ; implicit-def: $vgpr1
	s_and_saveexec_b64 s[34:35], vcc
	s_xor_b64 s[34:35], exec, s[34:35]
	s_cbranch_execz .LBB4_1089
; %bb.1088:                             ;   in Loop: Header=BB4_357 Depth=4
	v_ffbh_u32_e32 v4, v2
	v_min_u32_e32 v4, 32, v4
	v_mov_b32_e32 v52, v9
	v_mov_b32_e32 v53, v61
	v_bfe_u32 v1, v9, 2, 5
	v_subrev_u32_e32 v54, 29, v4
	v_lshlrev_b64 v[52:53], v54, v[52:53]
	v_sub_u32_e32 v4, 30, v4
	v_cmp_eq_u32_e32 vcc, 0, v1
	v_cndmask_b32_e32 v1, v1, v4, vcc
	v_lshlrev_b32_e32 v4, 24, v9
	v_and_b32_e32 v52, 3, v52
	v_and_b32_e32 v4, 0x80000000, v4
	v_cndmask_b32_e32 v2, v2, v52, vcc
	v_lshl_add_u32 v1, v1, 23, v4
	v_lshl_or_b32 v1, v2, 21, v1
	v_add_u32_e32 v1, 0x38000000, v1
                                        ; implicit-def: $vgpr2
.LBB4_1089:                             ;   in Loop: Header=BB4_357 Depth=4
	s_andn2_saveexec_b64 s[34:35], s[34:35]
; %bb.1090:                             ;   in Loop: Header=BB4_357 Depth=4
	v_mov_b32_e32 v1, -1
	v_cmp_gt_i16_sdwa vcc, sext(v9), v1 src0_sel:BYTE_0 src1_sel:DWORD
	v_mov_b32_e32 v1, 0xff800000
	v_cndmask_b32_e32 v1, v1, v47, vcc
	v_cmp_eq_u32_e32 vcc, 0, v2
	v_mov_b32_e32 v2, 0x7f800001
	v_cndmask_b32_e32 v1, v2, v1, vcc
; %bb.1091:                             ;   in Loop: Header=BB4_357 Depth=4
	s_or_b64 exec, exec, s[34:35]
.LBB4_1092:                             ;   in Loop: Header=BB4_357 Depth=4
	s_or_b64 exec, exec, s[30:31]
.LBB4_1093:                             ;   in Loop: Header=BB4_357 Depth=4
	s_or_b64 exec, exec, s[28:29]
	v_mul_f32_e32 v2, v0, v1
	v_and_b32_e32 v52, 0x7f800000, v2
	v_mov_b32_e32 v53, v61
	v_cmp_ne_u64_e32 vcc, s[62:63], v[52:53]
	v_and_b32_e32 v0, 0x7fffff, v2
	v_mov_b32_e32 v1, v61
                                        ; implicit-def: $vgpr52
	s_and_saveexec_b64 s[28:29], vcc
	s_xor_b64 s[30:31], exec, s[28:29]
	s_cbranch_execz .LBB4_1107
; %bb.1094:                             ;   in Loop: Header=BB4_357 Depth=4
	v_and_b32_e32 v52, 0x7fffffff, v2
	v_mov_b32_e32 v53, v61
	v_cmp_gt_u64_e32 vcc, s[78:79], v[52:53]
	v_and_b32_sdwa v53, v2, s81 dst_sel:DWORD dst_unused:UNUSED_PAD src0_sel:BYTE_3 src1_sel:DWORD
                                        ; implicit-def: $vgpr52
	s_and_saveexec_b64 s[28:29], vcc
	s_xor_b64 s[34:35], exec, s[28:29]
	s_cbranch_execz .LBB4_1104
; %bb.1095:                             ;   in Loop: Header=BB4_357 Depth=4
	v_mov_b32_e32 v52, 0
	v_cmp_ne_u32_e32 vcc, 0, v2
	s_and_saveexec_b64 s[36:37], vcc
	s_cbranch_execz .LBB4_1103
; %bb.1096:                             ;   in Loop: Header=BB4_357 Depth=4
	v_bfe_u32 v4, v2, 23, 8
	v_cmp_gt_u32_e64 s[28:29], s47, v4
	v_sub_u32_e32 v2, 0x71, v4
	v_cmp_eq_u32_e32 vcc, 0, v4
	v_cndmask_b32_e64 v2, 0, v2, s[28:29]
	v_mov_b32_e32 v52, 0x70
	v_cndmask_b32_e32 v52, v2, v52, vcc
	v_or_b32_e32 v54, 0x800000, v0
	v_add_u32_e32 v2, 21, v52
	v_cndmask_b32_e32 v0, v54, v0, vcc
	v_lshlrev_b64 v[54:55], v2, -1
	v_add_u32_e32 v2, 20, v52
	v_bfi_b32 v54, v54, 0, v0
	v_lshlrev_b64 v[42:43], v2, 1
	v_lshrrev_b64 v[0:1], v52, v[0:1]
	v_bfi_b32 v55, v55, 0, 0
	v_cmp_eq_u64_e64 s[28:29], v[54:55], v[42:43]
	v_mov_b32_e32 v2, v1
	v_mov_b32_e32 v1, v0
	s_and_saveexec_b64 s[38:39], s[28:29]
; %bb.1097:                             ;   in Loop: Header=BB4_357 Depth=4
	v_bfe_u32 v1, v0, 21, 1
	v_add_co_u32_e64 v1, s[28:29], v0, v1
	v_add_co_u32_e64 v1, s[28:29], -1, v1
; %bb.1098:                             ;   in Loop: Header=BB4_357 Depth=4
	s_or_b64 exec, exec, s[38:39]
	v_add_u32_e32 v2, 0xffffff81, v4
	v_mov_b32_e32 v4, 0xffffff82
	v_cndmask_b32_e32 v2, v2, v4, vcc
	v_lshrrev_b32_e32 v4, 23, v0
	v_add3_u32 v52, v52, v2, v4
	v_add_u32_e32 v4, 14, v52
	v_and_b32_e32 v1, 0x1fffff, v1
	v_add_u32_e32 v0, v1, v0
	v_mov_b32_e32 v1, v61
	v_cmp_ne_u32_e32 vcc, 0, v4
                                        ; implicit-def: $vgpr2
	s_and_saveexec_b64 s[28:29], vcc
	s_xor_b64 s[28:29], exec, s[28:29]
; %bb.1099:                             ;   in Loop: Header=BB4_357 Depth=4
	v_cmp_lt_u64_e32 vcc, s[88:89], v[0:1]
	v_add_u32_e32 v2, 15, v52
	v_cndmask_b32_e32 v2, v4, v2, vcc
	v_cndmask_b32_e64 v4, 0, 1, vcc
	v_lshrrev_b64 v[0:1], v4, v[0:1]
; %bb.1100:                             ;   in Loop: Header=BB4_357 Depth=4
	s_andn2_saveexec_b64 s[28:29], s[28:29]
; %bb.1101:                             ;   in Loop: Header=BB4_357 Depth=4
	v_bfe_u32 v2, v0, 23, 1
; %bb.1102:                             ;   in Loop: Header=BB4_357 Depth=4
	s_or_b64 exec, exec, s[28:29]
	v_lshrrev_b64 v[0:1], 21, v[0:1]
	v_cmp_gt_i32_e32 vcc, 32, v2
	v_cndmask_b32_e32 v1, 0, v1, vcc
	v_cndmask_b32_e32 v0, 3, v0, vcc
	v_cmp_eq_u64_e64 s[28:29], 0, v[0:1]
	v_min_i32_e32 v1, 31, v2
	v_lshlrev_b32_e32 v1, 2, v1
	v_cmp_eq_u32_e32 vcc, 0, v2
	v_and_b32_e32 v1, 0xfc, v1
	v_and_or_b32 v0, v0, 3, v1
	s_and_b64 s[28:29], vcc, s[28:29]
	v_cndmask_b32_e64 v0, v0, 0, s[28:29]
	v_or_b32_e32 v52, v0, v53
.LBB4_1103:                             ;   in Loop: Header=BB4_357 Depth=4
	s_or_b64 exec, exec, s[36:37]
                                        ; implicit-def: $vgpr53
.LBB4_1104:                             ;   in Loop: Header=BB4_357 Depth=4
	s_andn2_saveexec_b64 s[28:29], s[34:35]
; %bb.1105:                             ;   in Loop: Header=BB4_357 Depth=4
	v_or_b32_e32 v52, 0x7b, v53
; %bb.1106:                             ;   in Loop: Header=BB4_357 Depth=4
	s_or_b64 exec, exec, s[28:29]
                                        ; implicit-def: $vgpr2
                                        ; implicit-def: $vgpr0_vgpr1
.LBB4_1107:                             ;   in Loop: Header=BB4_357 Depth=4
	s_andn2_saveexec_b64 s[28:29], s[30:31]
	s_cbranch_execz .LBB4_1113
; %bb.1108:                             ;   in Loop: Header=BB4_357 Depth=4
	v_cmp_ne_u64_e32 vcc, 0, v[0:1]
                                        ; implicit-def: $vgpr52
	s_and_saveexec_b64 s[30:31], vcc
	s_xor_b64 vcc, exec, s[30:31]
; %bb.1109:                             ;   in Loop: Header=BB4_357 Depth=4
	v_or_b32_sdwa v52, v2, s44 dst_sel:DWORD dst_unused:UNUSED_PAD src0_sel:BYTE_3 src1_sel:DWORD
                                        ; implicit-def: $vgpr2
; %bb.1110:                             ;   in Loop: Header=BB4_357 Depth=4
	s_andn2_saveexec_b64 s[30:31], vcc
; %bb.1111:                             ;   in Loop: Header=BB4_357 Depth=4
	v_cmp_lt_i32_e32 vcc, -1, v2
	v_bfrev_b32_e32 v0, 0.5
	v_mov_b32_e32 v1, 0x7c
	v_cndmask_b32_e32 v52, v0, v1, vcc
; %bb.1112:                             ;   in Loop: Header=BB4_357 Depth=4
	s_or_b64 exec, exec, s[30:31]
.LBB4_1113:                             ;   in Loop: Header=BB4_357 Depth=4
	s_or_b64 exec, exec, s[28:29]
	v_lshrrev_b16_e32 v0, 8, v60
	v_cmp_ne_u16_e32 vcc, 0, v0
	v_mov_b32_e32 v2, 0
	v_mov_b32_e32 v1, 0
	s_and_saveexec_b64 s[28:29], vcc
	s_cbranch_execz .LBB4_1121
; %bb.1114:                             ;   in Loop: Header=BB4_357 Depth=4
	v_cmp_ne_u16_e32 vcc, s81, v0
	v_bfrev_b32_e32 v1, 1
	s_and_saveexec_b64 s[30:31], vcc
	s_cbranch_execz .LBB4_1120
; %bb.1115:                             ;   in Loop: Header=BB4_357 Depth=4
	v_and_b32_e32 v1, 0x7c, v0
	v_and_b32_e32 v4, 3, v0
	v_cmp_ne_u32_e32 vcc, s71, v1
                                        ; implicit-def: $vgpr1
	s_and_saveexec_b64 s[34:35], vcc
	s_xor_b64 s[34:35], exec, s[34:35]
	s_cbranch_execz .LBB4_1117
; %bb.1116:                             ;   in Loop: Header=BB4_357 Depth=4
	v_ffbh_u32_e32 v54, v4
	v_min_u32_e32 v54, 32, v54
	v_mov_b32_e32 v1, v61
	v_subrev_u32_e32 v55, 29, v54
	v_bfe_u32 v53, v0, 2, 5
	v_lshlrev_b64 v[0:1], v55, v[0:1]
	v_cmp_eq_u32_e32 vcc, 0, v53
	v_and_b32_e32 v0, 3, v0
	v_sub_u32_e32 v1, 30, v54
	v_cndmask_b32_e32 v0, v4, v0, vcc
	v_lshlrev_b32_e32 v4, 16, v60
	v_cndmask_b32_e32 v1, v53, v1, vcc
	v_and_b32_e32 v4, 0x80000000, v4
	v_lshl_add_u32 v1, v1, 23, v4
	v_lshl_or_b32 v0, v0, 21, v1
	v_add_u32_e32 v1, 0x38000000, v0
                                        ; implicit-def: $vgpr4
.LBB4_1117:                             ;   in Loop: Header=BB4_357 Depth=4
	s_andn2_saveexec_b64 s[34:35], s[34:35]
; %bb.1118:                             ;   in Loop: Header=BB4_357 Depth=4
	v_cmp_lt_i16_e32 vcc, -1, v60
	v_mov_b32_e32 v0, 0xff800000
	v_cndmask_b32_e32 v0, v0, v47, vcc
	v_cmp_eq_u32_e32 vcc, 0, v4
	v_mov_b32_e32 v1, 0x7f800001
	v_cndmask_b32_e32 v1, v1, v0, vcc
; %bb.1119:                             ;   in Loop: Header=BB4_357 Depth=4
	s_or_b64 exec, exec, s[34:35]
.LBB4_1120:                             ;   in Loop: Header=BB4_357 Depth=4
	s_or_b64 exec, exec, s[30:31]
.LBB4_1121:                             ;   in Loop: Header=BB4_357 Depth=4
	s_or_b64 exec, exec, s[28:29]
	v_lshrrev_b16_e32 v60, 8, v9
	v_cmp_ne_u16_e32 vcc, 0, v60
	s_and_saveexec_b64 s[28:29], vcc
	s_cbranch_execz .LBB4_1129
; %bb.1122:                             ;   in Loop: Header=BB4_357 Depth=4
	v_cmp_ne_u16_e32 vcc, s81, v60
	v_bfrev_b32_e32 v2, 1
	s_and_saveexec_b64 s[30:31], vcc
	s_cbranch_execz .LBB4_1128
; %bb.1123:                             ;   in Loop: Header=BB4_357 Depth=4
	v_and_b32_e32 v2, 0x7c, v60
	v_and_b32_e32 v0, 3, v60
	v_cmp_ne_u32_e32 vcc, s71, v2
                                        ; implicit-def: $vgpr2
	s_and_saveexec_b64 s[34:35], vcc
	s_xor_b64 s[34:35], exec, s[34:35]
	s_cbranch_execz .LBB4_1125
; %bb.1124:                             ;   in Loop: Header=BB4_357 Depth=4
	v_ffbh_u32_e32 v4, v0
	v_min_u32_e32 v4, 32, v4
	v_bfe_u32 v2, v60, 2, 5
	v_subrev_u32_e32 v53, 29, v4
	v_lshlrev_b64 v[53:54], v53, v[60:61]
	v_sub_u32_e32 v4, 30, v4
	v_cmp_eq_u32_e32 vcc, 0, v2
	v_cndmask_b32_e32 v2, v2, v4, vcc
	v_lshlrev_b32_e32 v4, 16, v9
	v_and_b32_e32 v53, 3, v53
	v_and_b32_e32 v4, 0x80000000, v4
	v_cndmask_b32_e32 v0, v0, v53, vcc
	v_lshl_add_u32 v2, v2, 23, v4
	v_lshl_or_b32 v0, v0, 21, v2
	v_add_u32_e32 v2, 0x38000000, v0
                                        ; implicit-def: $vgpr0
.LBB4_1125:                             ;   in Loop: Header=BB4_357 Depth=4
	s_andn2_saveexec_b64 s[34:35], s[34:35]
; %bb.1126:                             ;   in Loop: Header=BB4_357 Depth=4
	v_cmp_lt_i16_e32 vcc, -1, v9
	v_mov_b32_e32 v2, 0xff800000
	v_cndmask_b32_e32 v2, v2, v47, vcc
	v_cmp_eq_u32_e32 vcc, 0, v0
	v_mov_b32_e32 v0, 0x7f800001
	v_cndmask_b32_e32 v2, v0, v2, vcc
; %bb.1127:                             ;   in Loop: Header=BB4_357 Depth=4
	s_or_b64 exec, exec, s[34:35]
.LBB4_1128:                             ;   in Loop: Header=BB4_357 Depth=4
	s_or_b64 exec, exec, s[30:31]
.LBB4_1129:                             ;   in Loop: Header=BB4_357 Depth=4
	s_or_b64 exec, exec, s[28:29]
	v_mul_f32_e32 v0, v1, v2
	v_and_b32_e32 v1, 0x7f800000, v0
	v_mov_b32_e32 v2, v61
	v_cmp_ne_u64_e32 vcc, s[62:63], v[1:2]
	v_and_b32_e32 v60, 0x7fffff, v0
                                        ; implicit-def: $vgpr53
	s_and_saveexec_b64 s[28:29], vcc
	s_xor_b64 s[30:31], exec, s[28:29]
	s_cbranch_execz .LBB4_1143
; %bb.1130:                             ;   in Loop: Header=BB4_357 Depth=4
	v_and_b32_e32 v1, 0x7fffffff, v0
	v_mov_b32_e32 v2, v61
	v_cmp_gt_u64_e32 vcc, s[78:79], v[1:2]
	v_and_b32_sdwa v54, v0, s81 dst_sel:DWORD dst_unused:UNUSED_PAD src0_sel:BYTE_3 src1_sel:DWORD
                                        ; implicit-def: $vgpr53
	s_and_saveexec_b64 s[28:29], vcc
	s_xor_b64 s[34:35], exec, s[28:29]
	s_cbranch_execz .LBB4_1140
; %bb.1131:                             ;   in Loop: Header=BB4_357 Depth=4
	v_mov_b32_e32 v53, 0
	v_cmp_ne_u32_e32 vcc, 0, v0
	s_and_saveexec_b64 s[36:37], vcc
	s_cbranch_execz .LBB4_1139
; %bb.1132:                             ;   in Loop: Header=BB4_357 Depth=4
	v_bfe_u32 v4, v0, 23, 8
	v_cmp_gt_u32_e64 s[28:29], s47, v4
	v_sub_u32_e32 v0, 0x71, v4
	v_cmp_eq_u32_e32 vcc, 0, v4
	v_cndmask_b32_e64 v0, 0, v0, s[28:29]
	v_mov_b32_e32 v2, 0x70
	v_cndmask_b32_e32 v53, v0, v2, vcc
	v_or_b32_e32 v1, 0x800000, v60
	v_add_u32_e32 v0, 21, v53
	v_cndmask_b32_e32 v60, v1, v60, vcc
	v_lshlrev_b64 v[0:1], v0, -1
	v_add_u32_e32 v2, 20, v53
	v_lshlrev_b64 v[42:43], v2, 1
	v_bfi_b32 v1, v1, 0, 0
	v_bfi_b32 v0, v0, 0, v60
	v_cmp_eq_u64_e64 s[28:29], v[0:1], v[42:43]
	v_lshrrev_b64 v[0:1], v53, v[60:61]
	v_mov_b32_e32 v2, v1
	v_mov_b32_e32 v1, v0
	s_and_saveexec_b64 s[38:39], s[28:29]
; %bb.1133:                             ;   in Loop: Header=BB4_357 Depth=4
	v_bfe_u32 v1, v0, 21, 1
	v_add_co_u32_e64 v1, s[28:29], v0, v1
	v_add_co_u32_e64 v1, s[28:29], -1, v1
; %bb.1134:                             ;   in Loop: Header=BB4_357 Depth=4
	s_or_b64 exec, exec, s[38:39]
	v_add_u32_e32 v2, 0xffffff81, v4
	v_mov_b32_e32 v4, 0xffffff82
	v_cndmask_b32_e32 v2, v2, v4, vcc
	v_lshrrev_b32_e32 v4, 23, v0
	v_add3_u32 v53, v53, v2, v4
	v_add_u32_e32 v4, 14, v53
	v_and_b32_e32 v1, 0x1fffff, v1
	v_add_u32_e32 v60, v1, v0
	v_cmp_ne_u32_e32 vcc, 0, v4
                                        ; implicit-def: $vgpr0_vgpr1
                                        ; implicit-def: $vgpr2
	s_and_saveexec_b64 s[28:29], vcc
	s_xor_b64 s[28:29], exec, s[28:29]
; %bb.1135:                             ;   in Loop: Header=BB4_357 Depth=4
	v_cmp_lt_u64_e32 vcc, s[88:89], v[60:61]
	v_add_u32_e32 v0, 15, v53
	v_cndmask_b32_e32 v2, v4, v0, vcc
	v_cndmask_b32_e64 v0, 0, 1, vcc
	v_lshrrev_b64 v[0:1], v0, v[60:61]
; %bb.1136:                             ;   in Loop: Header=BB4_357 Depth=4
	s_andn2_saveexec_b64 s[28:29], s[28:29]
; %bb.1137:                             ;   in Loop: Header=BB4_357 Depth=4
	v_mov_b32_e32 v0, v60
	v_bfe_u32 v2, v60, 23, 1
	v_mov_b32_e32 v1, v61
; %bb.1138:                             ;   in Loop: Header=BB4_357 Depth=4
	s_or_b64 exec, exec, s[28:29]
	v_lshrrev_b64 v[0:1], 21, v[0:1]
	v_cmp_gt_i32_e32 vcc, 32, v2
	v_cndmask_b32_e32 v1, 0, v1, vcc
	v_cndmask_b32_e32 v0, 3, v0, vcc
	v_cmp_eq_u64_e64 s[28:29], 0, v[0:1]
	v_min_i32_e32 v1, 31, v2
	v_lshlrev_b32_e32 v1, 2, v1
	v_cmp_eq_u32_e32 vcc, 0, v2
	v_and_b32_e32 v1, 0xfc, v1
	v_and_or_b32 v0, v0, 3, v1
	s_and_b64 s[28:29], vcc, s[28:29]
	v_cndmask_b32_e64 v0, v0, 0, s[28:29]
	v_or_b32_e32 v53, v0, v54
.LBB4_1139:                             ;   in Loop: Header=BB4_357 Depth=4
	s_or_b64 exec, exec, s[36:37]
                                        ; implicit-def: $vgpr54
.LBB4_1140:                             ;   in Loop: Header=BB4_357 Depth=4
	s_andn2_saveexec_b64 s[28:29], s[34:35]
; %bb.1141:                             ;   in Loop: Header=BB4_357 Depth=4
	v_or_b32_e32 v53, 0x7b, v54
; %bb.1142:                             ;   in Loop: Header=BB4_357 Depth=4
	s_or_b64 exec, exec, s[28:29]
                                        ; implicit-def: $vgpr0
.LBB4_1143:                             ;   in Loop: Header=BB4_357 Depth=4
	s_andn2_saveexec_b64 s[28:29], s[30:31]
	s_cbranch_execz .LBB4_1149
; %bb.1144:                             ;   in Loop: Header=BB4_357 Depth=4
	v_cmp_ne_u64_e32 vcc, 0, v[60:61]
                                        ; implicit-def: $vgpr53
	s_and_saveexec_b64 s[30:31], vcc
	s_xor_b64 vcc, exec, s[30:31]
; %bb.1145:                             ;   in Loop: Header=BB4_357 Depth=4
	v_or_b32_sdwa v53, v0, s44 dst_sel:DWORD dst_unused:UNUSED_PAD src0_sel:BYTE_3 src1_sel:DWORD
                                        ; implicit-def: $vgpr0
; %bb.1146:                             ;   in Loop: Header=BB4_357 Depth=4
	s_andn2_saveexec_b64 s[30:31], vcc
; %bb.1147:                             ;   in Loop: Header=BB4_357 Depth=4
	v_cmp_lt_i32_e32 vcc, -1, v0
	v_bfrev_b32_e32 v0, 0.5
	v_mov_b32_e32 v1, 0x7c
	v_cndmask_b32_e32 v53, v0, v1, vcc
; %bb.1148:                             ;   in Loop: Header=BB4_357 Depth=4
	s_or_b64 exec, exec, s[30:31]
.LBB4_1149:                             ;   in Loop: Header=BB4_357 Depth=4
	s_or_b64 exec, exec, s[28:29]
	v_lshrrev_b32_e32 v0, 16, v13
	v_cmp_ne_u16_sdwa vcc, v0, v61 src0_sel:BYTE_0 src1_sel:DWORD
	v_mov_b32_e32 v1, 0
	v_mov_b32_e32 v2, 0
	s_and_saveexec_b64 s[28:29], vcc
	s_cbranch_execz .LBB4_1157
; %bb.1150:                             ;   in Loop: Header=BB4_357 Depth=4
	v_cmp_ne_u16_sdwa vcc, v0, s81 src0_sel:BYTE_0 src1_sel:DWORD
	v_bfrev_b32_e32 v2, 1
	s_and_saveexec_b64 s[30:31], vcc
	s_cbranch_execz .LBB4_1156
; %bb.1151:                             ;   in Loop: Header=BB4_357 Depth=4
	v_and_b32_e32 v2, 0x7c0000, v13
	v_bfe_u32 v4, v13, 16, 2
	v_cmp_ne_u32_e32 vcc, s45, v2
                                        ; implicit-def: $vgpr2
	s_and_saveexec_b64 s[34:35], vcc
	s_xor_b64 s[34:35], exec, s[34:35]
	s_cbranch_execz .LBB4_1153
; %bb.1152:                             ;   in Loop: Header=BB4_357 Depth=4
	v_ffbh_u32_e32 v54, v4
	v_min_u32_e32 v42, 32, v54
	v_subrev_u32_e32 v54, 29, v42
	v_lshlrev_b64 v[54:55], v54, v[0:1]
	v_bfe_u32 v2, v13, 18, 5
	v_sub_u32_e32 v0, 30, v42
	v_and_b32_e32 v54, 3, v54
	v_cmp_eq_u32_e32 vcc, 0, v2
	v_cndmask_b32_e32 v0, v2, v0, vcc
	v_cndmask_b32_e32 v2, v4, v54, vcc
	v_lshlrev_b32_e32 v4, 8, v13
	v_and_b32_e32 v4, 0x80000000, v4
	v_lshl_add_u32 v0, v0, 23, v4
	v_lshl_or_b32 v0, v2, 21, v0
	v_add_u32_e32 v2, 0x38000000, v0
                                        ; implicit-def: $vgpr4
                                        ; implicit-def: $vgpr0
.LBB4_1153:                             ;   in Loop: Header=BB4_357 Depth=4
	s_andn2_saveexec_b64 s[34:35], s[34:35]
; %bb.1154:                             ;   in Loop: Header=BB4_357 Depth=4
	v_mov_b32_e32 v2, -1
	v_cmp_gt_i16_sdwa vcc, sext(v0), v2 src0_sel:BYTE_0 src1_sel:DWORD
	v_mov_b32_e32 v0, 0xff800000
	v_cndmask_b32_e32 v0, v0, v47, vcc
	v_cmp_eq_u32_e32 vcc, 0, v4
	v_mov_b32_e32 v2, 0x7f800001
	v_cndmask_b32_e32 v2, v2, v0, vcc
; %bb.1155:                             ;   in Loop: Header=BB4_357 Depth=4
	s_or_b64 exec, exec, s[34:35]
.LBB4_1156:                             ;   in Loop: Header=BB4_357 Depth=4
	s_or_b64 exec, exec, s[30:31]
.LBB4_1157:                             ;   in Loop: Header=BB4_357 Depth=4
	s_or_b64 exec, exec, s[28:29]
	v_lshrrev_b32_e32 v0, 16, v9
	v_cmp_ne_u16_sdwa vcc, v0, v61 src0_sel:BYTE_0 src1_sel:DWORD
	s_and_saveexec_b64 s[28:29], vcc
	s_cbranch_execz .LBB4_1165
; %bb.1158:                             ;   in Loop: Header=BB4_357 Depth=4
	v_cmp_ne_u16_sdwa vcc, v0, s81 src0_sel:BYTE_0 src1_sel:DWORD
	v_bfrev_b32_e32 v1, 1
	s_and_saveexec_b64 s[30:31], vcc
	s_cbranch_execz .LBB4_1164
; %bb.1159:                             ;   in Loop: Header=BB4_357 Depth=4
	v_and_b32_e32 v1, 0x7c0000, v9
	v_bfe_u32 v4, v9, 16, 2
	v_cmp_ne_u32_e32 vcc, s45, v1
                                        ; implicit-def: $vgpr1
	s_and_saveexec_b64 s[34:35], vcc
	s_xor_b64 s[34:35], exec, s[34:35]
	s_cbranch_execz .LBB4_1161
; %bb.1160:                             ;   in Loop: Header=BB4_357 Depth=4
	v_ffbh_u32_e32 v1, v4
	v_min_u32_e32 v55, 32, v1
	v_subrev_u32_e32 v1, 29, v55
	v_lshlrev_b64 v[0:1], v1, v[0:1]
	v_bfe_u32 v54, v9, 18, 5
	v_and_b32_e32 v0, 3, v0
	v_cmp_eq_u32_e32 vcc, 0, v54
	v_sub_u32_e32 v1, 30, v55
	v_cndmask_b32_e32 v0, v4, v0, vcc
	v_lshlrev_b32_e32 v4, 8, v9
	v_cndmask_b32_e32 v1, v54, v1, vcc
	v_and_b32_e32 v4, 0x80000000, v4
	v_lshl_add_u32 v1, v1, 23, v4
	v_lshl_or_b32 v0, v0, 21, v1
	v_add_u32_e32 v1, 0x38000000, v0
                                        ; implicit-def: $vgpr4
                                        ; implicit-def: $vgpr0
.LBB4_1161:                             ;   in Loop: Header=BB4_357 Depth=4
	s_andn2_saveexec_b64 s[34:35], s[34:35]
; %bb.1162:                             ;   in Loop: Header=BB4_357 Depth=4
	v_mov_b32_e32 v1, -1
	v_cmp_gt_i16_sdwa vcc, sext(v0), v1 src0_sel:BYTE_0 src1_sel:DWORD
	v_mov_b32_e32 v0, 0xff800000
	v_cndmask_b32_e32 v0, v0, v47, vcc
	v_cmp_eq_u32_e32 vcc, 0, v4
	v_mov_b32_e32 v1, 0x7f800001
	v_cndmask_b32_e32 v1, v1, v0, vcc
; %bb.1163:                             ;   in Loop: Header=BB4_357 Depth=4
	s_or_b64 exec, exec, s[34:35]
.LBB4_1164:                             ;   in Loop: Header=BB4_357 Depth=4
	s_or_b64 exec, exec, s[30:31]
.LBB4_1165:                             ;   in Loop: Header=BB4_357 Depth=4
	s_or_b64 exec, exec, s[28:29]
	v_mul_f32_e32 v0, v2, v1
	v_and_b32_e32 v1, 0x7f800000, v0
	v_mov_b32_e32 v2, v61
	v_cmp_ne_u64_e32 vcc, s[62:63], v[1:2]
	v_and_b32_e32 v60, 0x7fffff, v0
                                        ; implicit-def: $vgpr54
	s_and_saveexec_b64 s[28:29], vcc
	s_xor_b64 s[30:31], exec, s[28:29]
	s_cbranch_execz .LBB4_1179
; %bb.1166:                             ;   in Loop: Header=BB4_357 Depth=4
	v_and_b32_e32 v1, 0x7fffffff, v0
	v_mov_b32_e32 v2, v61
	v_cmp_gt_u64_e32 vcc, s[78:79], v[1:2]
	v_and_b32_sdwa v55, v0, s81 dst_sel:DWORD dst_unused:UNUSED_PAD src0_sel:BYTE_3 src1_sel:DWORD
                                        ; implicit-def: $vgpr54
	s_and_saveexec_b64 s[28:29], vcc
	s_xor_b64 s[34:35], exec, s[28:29]
	s_cbranch_execz .LBB4_1176
; %bb.1167:                             ;   in Loop: Header=BB4_357 Depth=4
	v_mov_b32_e32 v54, 0
	v_cmp_ne_u32_e32 vcc, 0, v0
	s_and_saveexec_b64 s[36:37], vcc
	s_cbranch_execz .LBB4_1175
; %bb.1168:                             ;   in Loop: Header=BB4_357 Depth=4
	v_bfe_u32 v4, v0, 23, 8
	v_cmp_gt_u32_e64 s[28:29], s47, v4
	v_sub_u32_e32 v0, 0x71, v4
	v_cmp_eq_u32_e32 vcc, 0, v4
	v_cndmask_b32_e64 v0, 0, v0, s[28:29]
	v_mov_b32_e32 v2, 0x70
	v_cndmask_b32_e32 v54, v0, v2, vcc
	v_or_b32_e32 v1, 0x800000, v60
	v_add_u32_e32 v0, 21, v54
	v_cndmask_b32_e32 v60, v1, v60, vcc
	v_lshlrev_b64 v[0:1], v0, -1
	v_add_u32_e32 v2, 20, v54
	v_lshlrev_b64 v[42:43], v2, 1
	v_bfi_b32 v1, v1, 0, 0
	v_bfi_b32 v0, v0, 0, v60
	v_cmp_eq_u64_e64 s[28:29], v[0:1], v[42:43]
	v_lshrrev_b64 v[0:1], v54, v[60:61]
	v_mov_b32_e32 v2, v1
	v_mov_b32_e32 v1, v0
	s_and_saveexec_b64 s[38:39], s[28:29]
; %bb.1169:                             ;   in Loop: Header=BB4_357 Depth=4
	v_bfe_u32 v1, v0, 21, 1
	v_add_co_u32_e64 v1, s[28:29], v0, v1
	v_add_co_u32_e64 v1, s[28:29], -1, v1
; %bb.1170:                             ;   in Loop: Header=BB4_357 Depth=4
	s_or_b64 exec, exec, s[38:39]
	v_add_u32_e32 v2, 0xffffff81, v4
	v_mov_b32_e32 v4, 0xffffff82
	v_cndmask_b32_e32 v2, v2, v4, vcc
	v_lshrrev_b32_e32 v4, 23, v0
	v_add3_u32 v54, v54, v2, v4
	v_add_u32_e32 v4, 14, v54
	v_and_b32_e32 v1, 0x1fffff, v1
	v_add_u32_e32 v60, v1, v0
	v_cmp_ne_u32_e32 vcc, 0, v4
                                        ; implicit-def: $vgpr0_vgpr1
                                        ; implicit-def: $vgpr2
	s_and_saveexec_b64 s[28:29], vcc
	s_xor_b64 s[28:29], exec, s[28:29]
; %bb.1171:                             ;   in Loop: Header=BB4_357 Depth=4
	v_cmp_lt_u64_e32 vcc, s[88:89], v[60:61]
	v_add_u32_e32 v0, 15, v54
	v_cndmask_b32_e32 v2, v4, v0, vcc
	v_cndmask_b32_e64 v0, 0, 1, vcc
	v_lshrrev_b64 v[0:1], v0, v[60:61]
; %bb.1172:                             ;   in Loop: Header=BB4_357 Depth=4
	s_andn2_saveexec_b64 s[28:29], s[28:29]
; %bb.1173:                             ;   in Loop: Header=BB4_357 Depth=4
	v_mov_b32_e32 v0, v60
	v_bfe_u32 v2, v60, 23, 1
	v_mov_b32_e32 v1, v61
; %bb.1174:                             ;   in Loop: Header=BB4_357 Depth=4
	s_or_b64 exec, exec, s[28:29]
	v_lshrrev_b64 v[0:1], 21, v[0:1]
	v_cmp_gt_i32_e32 vcc, 32, v2
	v_cndmask_b32_e32 v1, 0, v1, vcc
	v_cndmask_b32_e32 v0, 3, v0, vcc
	v_cmp_eq_u64_e64 s[28:29], 0, v[0:1]
	v_min_i32_e32 v1, 31, v2
	v_lshlrev_b32_e32 v1, 2, v1
	v_cmp_eq_u32_e32 vcc, 0, v2
	v_and_b32_e32 v1, 0xfc, v1
	v_and_or_b32 v0, v0, 3, v1
	s_and_b64 s[28:29], vcc, s[28:29]
	v_cndmask_b32_e64 v0, v0, 0, s[28:29]
	v_or_b32_e32 v54, v0, v55
.LBB4_1175:                             ;   in Loop: Header=BB4_357 Depth=4
	s_or_b64 exec, exec, s[36:37]
                                        ; implicit-def: $vgpr55
.LBB4_1176:                             ;   in Loop: Header=BB4_357 Depth=4
	s_andn2_saveexec_b64 s[28:29], s[34:35]
; %bb.1177:                             ;   in Loop: Header=BB4_357 Depth=4
	v_or_b32_e32 v54, 0x7b, v55
; %bb.1178:                             ;   in Loop: Header=BB4_357 Depth=4
	s_or_b64 exec, exec, s[28:29]
                                        ; implicit-def: $vgpr0
.LBB4_1179:                             ;   in Loop: Header=BB4_357 Depth=4
	s_andn2_saveexec_b64 s[28:29], s[30:31]
	s_cbranch_execz .LBB4_1185
; %bb.1180:                             ;   in Loop: Header=BB4_357 Depth=4
	v_cmp_ne_u64_e32 vcc, 0, v[60:61]
                                        ; implicit-def: $vgpr54
	s_and_saveexec_b64 s[30:31], vcc
	s_xor_b64 vcc, exec, s[30:31]
; %bb.1181:                             ;   in Loop: Header=BB4_357 Depth=4
	v_or_b32_sdwa v54, v0, s44 dst_sel:DWORD dst_unused:UNUSED_PAD src0_sel:BYTE_3 src1_sel:DWORD
                                        ; implicit-def: $vgpr0
; %bb.1182:                             ;   in Loop: Header=BB4_357 Depth=4
	s_andn2_saveexec_b64 s[30:31], vcc
; %bb.1183:                             ;   in Loop: Header=BB4_357 Depth=4
	v_cmp_lt_i32_e32 vcc, -1, v0
	v_bfrev_b32_e32 v0, 0.5
	v_mov_b32_e32 v1, 0x7c
	v_cndmask_b32_e32 v54, v0, v1, vcc
; %bb.1184:                             ;   in Loop: Header=BB4_357 Depth=4
	s_or_b64 exec, exec, s[30:31]
.LBB4_1185:                             ;   in Loop: Header=BB4_357 Depth=4
	s_or_b64 exec, exec, s[28:29]
	v_cmp_lt_u64_e32 vcc, s[56:57], v[12:13]
	v_mov_b32_e32 v1, 0
	v_mov_b32_e32 v2, 0
	s_and_saveexec_b64 s[28:29], vcc
	s_cbranch_execz .LBB4_1193
; %bb.1186:                             ;   in Loop: Header=BB4_357 Depth=4
	v_lshrrev_b32_e32 v0, 24, v13
	v_cmp_ne_u32_e32 vcc, s81, v0
	v_bfrev_b32_e32 v2, 1
	s_and_saveexec_b64 s[30:31], vcc
	s_cbranch_execz .LBB4_1192
; %bb.1187:                             ;   in Loop: Header=BB4_357 Depth=4
	v_and_b32_e32 v2, 0x7c000000, v13
	v_bfe_u32 v4, v13, 24, 2
	v_cmp_ne_u32_e32 vcc, s82, v2
                                        ; implicit-def: $vgpr2
	s_and_saveexec_b64 s[34:35], vcc
	s_xor_b64 s[34:35], exec, s[34:35]
	s_cbranch_execz .LBB4_1189
; %bb.1188:                             ;   in Loop: Header=BB4_357 Depth=4
	v_ffbh_u32_e32 v55, v4
	v_min_u32_e32 v55, 32, v55
	v_subrev_u32_e32 v42, 29, v55
	v_lshlrev_b64 v[42:43], v42, v[0:1]
	v_bfe_u32 v2, v13, 26, 5
	v_sub_u32_e32 v0, 30, v55
	v_and_b32_e32 v55, 3, v42
	v_cmp_eq_u32_e32 vcc, 0, v2
	v_cndmask_b32_e32 v0, v2, v0, vcc
	v_cndmask_b32_e32 v2, v4, v55, vcc
	v_and_b32_e32 v4, 0x80000000, v13
	v_lshl_add_u32 v0, v0, 23, v4
	v_lshl_or_b32 v0, v2, 21, v0
	v_add_u32_e32 v2, 0x38000000, v0
                                        ; implicit-def: $vgpr4
.LBB4_1189:                             ;   in Loop: Header=BB4_357 Depth=4
	s_andn2_saveexec_b64 s[34:35], s[34:35]
; %bb.1190:                             ;   in Loop: Header=BB4_357 Depth=4
	v_cmp_lt_i64_e32 vcc, -1, v[12:13]
	v_mov_b32_e32 v0, 0xff800000
	v_cndmask_b32_e32 v0, v0, v47, vcc
	v_cmp_eq_u32_e32 vcc, 0, v4
	v_mov_b32_e32 v2, 0x7f800001
	v_cndmask_b32_e32 v2, v2, v0, vcc
; %bb.1191:                             ;   in Loop: Header=BB4_357 Depth=4
	s_or_b64 exec, exec, s[34:35]
.LBB4_1192:                             ;   in Loop: Header=BB4_357 Depth=4
	s_or_b64 exec, exec, s[30:31]
.LBB4_1193:                             ;   in Loop: Header=BB4_357 Depth=4
	s_or_b64 exec, exec, s[28:29]
	v_cmp_lt_u64_e32 vcc, s[56:57], v[8:9]
	s_and_saveexec_b64 s[28:29], vcc
	s_cbranch_execz .LBB4_1201
; %bb.1194:                             ;   in Loop: Header=BB4_357 Depth=4
	v_lshrrev_b32_e32 v0, 24, v9
	v_cmp_ne_u32_e32 vcc, s81, v0
	v_bfrev_b32_e32 v1, 1
	s_and_saveexec_b64 s[30:31], vcc
	s_cbranch_execz .LBB4_1200
; %bb.1195:                             ;   in Loop: Header=BB4_357 Depth=4
	v_and_b32_e32 v1, 0x7c000000, v9
	v_bfe_u32 v4, v9, 24, 2
	v_cmp_ne_u32_e32 vcc, s82, v1
                                        ; implicit-def: $vgpr1
	s_and_saveexec_b64 s[34:35], vcc
	s_xor_b64 s[34:35], exec, s[34:35]
	s_cbranch_execz .LBB4_1197
; %bb.1196:                             ;   in Loop: Header=BB4_357 Depth=4
	v_ffbh_u32_e32 v1, v4
	v_min_u32_e32 v13, 32, v1
	v_subrev_u32_e32 v1, 29, v13
	v_lshlrev_b64 v[0:1], v1, v[0:1]
	v_bfe_u32 v12, v9, 26, 5
	v_sub_u32_e32 v1, 30, v13
	v_and_b32_e32 v0, 3, v0
	v_cmp_eq_u32_e32 vcc, 0, v12
	v_cndmask_b32_e32 v1, v12, v1, vcc
	v_cndmask_b32_e32 v0, v4, v0, vcc
	v_and_b32_e32 v4, 0x80000000, v9
	v_lshl_add_u32 v1, v1, 23, v4
	v_lshl_or_b32 v0, v0, 21, v1
	v_add_u32_e32 v1, 0x38000000, v0
                                        ; implicit-def: $vgpr4
.LBB4_1197:                             ;   in Loop: Header=BB4_357 Depth=4
	s_andn2_saveexec_b64 s[34:35], s[34:35]
; %bb.1198:                             ;   in Loop: Header=BB4_357 Depth=4
	v_cmp_lt_i64_e32 vcc, -1, v[8:9]
	v_mov_b32_e32 v0, 0xff800000
	v_cndmask_b32_e32 v0, v0, v47, vcc
	v_cmp_eq_u32_e32 vcc, 0, v4
	v_mov_b32_e32 v1, 0x7f800001
	v_cndmask_b32_e32 v1, v1, v0, vcc
; %bb.1199:                             ;   in Loop: Header=BB4_357 Depth=4
	s_or_b64 exec, exec, s[34:35]
.LBB4_1200:                             ;   in Loop: Header=BB4_357 Depth=4
	s_or_b64 exec, exec, s[30:31]
.LBB4_1201:                             ;   in Loop: Header=BB4_357 Depth=4
	s_or_b64 exec, exec, s[28:29]
	v_mul_f32_e32 v0, v2, v1
	v_and_b32_e32 v1, 0x7f800000, v0
	v_mov_b32_e32 v2, v61
	v_cmp_ne_u64_e32 vcc, s[62:63], v[1:2]
	v_and_b32_e32 v60, 0x7fffff, v0
                                        ; implicit-def: $vgpr8
	s_and_saveexec_b64 s[28:29], vcc
	s_xor_b64 s[30:31], exec, s[28:29]
	s_cbranch_execz .LBB4_1215
; %bb.1202:                             ;   in Loop: Header=BB4_357 Depth=4
	v_and_b32_e32 v1, 0x7fffffff, v0
	v_mov_b32_e32 v2, v61
	v_cmp_gt_u64_e32 vcc, s[78:79], v[1:2]
	v_and_b32_sdwa v9, v0, s81 dst_sel:DWORD dst_unused:UNUSED_PAD src0_sel:BYTE_3 src1_sel:DWORD
                                        ; implicit-def: $vgpr8
	s_and_saveexec_b64 s[28:29], vcc
	s_xor_b64 s[34:35], exec, s[28:29]
	s_cbranch_execz .LBB4_1212
; %bb.1203:                             ;   in Loop: Header=BB4_357 Depth=4
	v_mov_b32_e32 v8, 0
	v_cmp_ne_u32_e32 vcc, 0, v0
	s_and_saveexec_b64 s[36:37], vcc
	s_cbranch_execz .LBB4_1211
; %bb.1204:                             ;   in Loop: Header=BB4_357 Depth=4
	v_bfe_u32 v4, v0, 23, 8
	v_cmp_gt_u32_e64 s[28:29], s47, v4
	v_sub_u32_e32 v0, 0x71, v4
	v_cmp_eq_u32_e32 vcc, 0, v4
	v_cndmask_b32_e64 v0, 0, v0, s[28:29]
	v_mov_b32_e32 v2, 0x70
	v_cndmask_b32_e32 v8, v0, v2, vcc
	v_or_b32_e32 v1, 0x800000, v60
	v_add_u32_e32 v0, 21, v8
	v_cndmask_b32_e32 v60, v1, v60, vcc
	v_lshlrev_b64 v[0:1], v0, -1
	v_add_u32_e32 v2, 20, v8
	v_lshlrev_b64 v[12:13], v2, 1
	v_bfi_b32 v1, v1, 0, 0
	v_bfi_b32 v0, v0, 0, v60
	v_cmp_eq_u64_e64 s[28:29], v[0:1], v[12:13]
	v_lshrrev_b64 v[0:1], v8, v[60:61]
	v_mov_b32_e32 v2, v1
	v_mov_b32_e32 v1, v0
	s_and_saveexec_b64 s[38:39], s[28:29]
; %bb.1205:                             ;   in Loop: Header=BB4_357 Depth=4
	v_bfe_u32 v1, v0, 21, 1
	v_add_co_u32_e64 v1, s[28:29], v0, v1
	v_add_co_u32_e64 v1, s[28:29], -1, v1
; %bb.1206:                             ;   in Loop: Header=BB4_357 Depth=4
	s_or_b64 exec, exec, s[38:39]
	v_add_u32_e32 v2, 0xffffff81, v4
	v_mov_b32_e32 v4, 0xffffff82
	v_cndmask_b32_e32 v2, v2, v4, vcc
	v_lshrrev_b32_e32 v4, 23, v0
	v_add3_u32 v8, v8, v2, v4
	v_add_u32_e32 v4, 14, v8
	v_and_b32_e32 v1, 0x1fffff, v1
	v_add_u32_e32 v60, v1, v0
	v_cmp_ne_u32_e32 vcc, 0, v4
                                        ; implicit-def: $vgpr0_vgpr1
                                        ; implicit-def: $vgpr2
	s_and_saveexec_b64 s[28:29], vcc
	s_xor_b64 s[28:29], exec, s[28:29]
; %bb.1207:                             ;   in Loop: Header=BB4_357 Depth=4
	v_cmp_lt_u64_e32 vcc, s[88:89], v[60:61]
	v_add_u32_e32 v0, 15, v8
	v_cndmask_b32_e32 v2, v4, v0, vcc
	v_cndmask_b32_e64 v0, 0, 1, vcc
	v_lshrrev_b64 v[0:1], v0, v[60:61]
; %bb.1208:                             ;   in Loop: Header=BB4_357 Depth=4
	s_andn2_saveexec_b64 s[28:29], s[28:29]
; %bb.1209:                             ;   in Loop: Header=BB4_357 Depth=4
	v_mov_b32_e32 v0, v60
	v_bfe_u32 v2, v60, 23, 1
	v_mov_b32_e32 v1, v61
; %bb.1210:                             ;   in Loop: Header=BB4_357 Depth=4
	s_or_b64 exec, exec, s[28:29]
	v_lshrrev_b64 v[0:1], 21, v[0:1]
	v_cmp_gt_i32_e32 vcc, 32, v2
	v_cndmask_b32_e32 v1, 0, v1, vcc
	v_cndmask_b32_e32 v0, 3, v0, vcc
	v_cmp_eq_u64_e64 s[28:29], 0, v[0:1]
	v_min_i32_e32 v1, 31, v2
	v_lshlrev_b32_e32 v1, 2, v1
	v_cmp_eq_u32_e32 vcc, 0, v2
	v_and_b32_e32 v1, 0xfc, v1
	v_and_or_b32 v0, v0, 3, v1
	s_and_b64 s[28:29], vcc, s[28:29]
	v_cndmask_b32_e64 v0, v0, 0, s[28:29]
	v_or_b32_e32 v8, v0, v9
.LBB4_1211:                             ;   in Loop: Header=BB4_357 Depth=4
	s_or_b64 exec, exec, s[36:37]
                                        ; implicit-def: $vgpr9
.LBB4_1212:                             ;   in Loop: Header=BB4_357 Depth=4
	s_andn2_saveexec_b64 s[28:29], s[34:35]
; %bb.1213:                             ;   in Loop: Header=BB4_357 Depth=4
	v_or_b32_e32 v8, 0x7b, v9
; %bb.1214:                             ;   in Loop: Header=BB4_357 Depth=4
	s_or_b64 exec, exec, s[28:29]
                                        ; implicit-def: $vgpr0
.LBB4_1215:                             ;   in Loop: Header=BB4_357 Depth=4
	s_andn2_saveexec_b64 s[28:29], s[30:31]
	s_cbranch_execz .LBB4_1221
; %bb.1216:                             ;   in Loop: Header=BB4_357 Depth=4
	v_cmp_ne_u64_e32 vcc, 0, v[60:61]
                                        ; implicit-def: $vgpr8
	s_and_saveexec_b64 s[30:31], vcc
	s_xor_b64 vcc, exec, s[30:31]
; %bb.1217:                             ;   in Loop: Header=BB4_357 Depth=4
	v_or_b32_sdwa v8, v0, s44 dst_sel:DWORD dst_unused:UNUSED_PAD src0_sel:BYTE_3 src1_sel:DWORD
                                        ; implicit-def: $vgpr0
; %bb.1218:                             ;   in Loop: Header=BB4_357 Depth=4
	s_andn2_saveexec_b64 s[30:31], vcc
; %bb.1219:                             ;   in Loop: Header=BB4_357 Depth=4
	v_cmp_lt_i32_e32 vcc, -1, v0
	v_bfrev_b32_e32 v0, 0.5
	v_mov_b32_e32 v1, 0x7c
	v_cndmask_b32_e32 v8, v0, v1, vcc
; %bb.1220:                             ;   in Loop: Header=BB4_357 Depth=4
	s_or_b64 exec, exec, s[30:31]
.LBB4_1221:                             ;   in Loop: Header=BB4_357 Depth=4
	s_or_b64 exec, exec, s[28:29]
	v_cmp_ne_u16_sdwa vcc, v14, v61 src0_sel:BYTE_0 src1_sel:DWORD
	v_mov_b32_e32 v0, 0
	v_mov_b32_e32 v1, 0
	s_and_saveexec_b64 s[28:29], vcc
	s_cbranch_execz .LBB4_1229
; %bb.1222:                             ;   in Loop: Header=BB4_357 Depth=4
	v_cmp_ne_u16_sdwa vcc, sext(v14), s70 src0_sel:BYTE_0 src1_sel:DWORD
	v_bfrev_b32_e32 v1, 1
	s_and_saveexec_b64 s[30:31], vcc
	s_cbranch_execz .LBB4_1228
; %bb.1223:                             ;   in Loop: Header=BB4_357 Depth=4
	v_and_b32_e32 v1, 0x7c, v14
	v_and_b32_e32 v2, 3, v14
	v_cmp_ne_u32_e32 vcc, s71, v1
                                        ; implicit-def: $vgpr1
	s_and_saveexec_b64 s[34:35], vcc
	s_xor_b64 s[34:35], exec, s[34:35]
	s_cbranch_execz .LBB4_1225
; %bb.1224:                             ;   in Loop: Header=BB4_357 Depth=4
	v_ffbh_u32_e32 v4, v2
	v_min_u32_e32 v4, 32, v4
	v_bfe_u32 v1, v14, 2, 5
	v_subrev_u32_e32 v9, 29, v4
	v_lshlrev_b64 v[12:13], v9, v[14:15]
	v_sub_u32_e32 v4, 30, v4
	v_cmp_eq_u32_e32 vcc, 0, v1
	v_cndmask_b32_e32 v1, v1, v4, vcc
	v_lshlrev_b32_e32 v4, 24, v14
	v_and_b32_e32 v9, 3, v12
	v_and_b32_e32 v4, 0x80000000, v4
	v_cndmask_b32_e32 v2, v2, v9, vcc
	v_lshl_add_u32 v1, v1, 23, v4
	v_lshl_or_b32 v1, v2, 21, v1
	v_add_u32_e32 v1, 0x38000000, v1
                                        ; implicit-def: $vgpr2
.LBB4_1225:                             ;   in Loop: Header=BB4_357 Depth=4
	s_andn2_saveexec_b64 s[34:35], s[34:35]
; %bb.1226:                             ;   in Loop: Header=BB4_357 Depth=4
	v_mov_b32_e32 v1, -1
	v_cmp_gt_i16_sdwa vcc, sext(v14), v1 src0_sel:BYTE_0 src1_sel:DWORD
	v_mov_b32_e32 v1, 0xff800000
	v_cndmask_b32_e32 v1, v1, v47, vcc
	v_cmp_eq_u32_e32 vcc, 0, v2
	v_mov_b32_e32 v2, 0x7f800001
	v_cndmask_b32_e32 v1, v2, v1, vcc
; %bb.1227:                             ;   in Loop: Header=BB4_357 Depth=4
	s_or_b64 exec, exec, s[34:35]
.LBB4_1228:                             ;   in Loop: Header=BB4_357 Depth=4
	s_or_b64 exec, exec, s[30:31]
.LBB4_1229:                             ;   in Loop: Header=BB4_357 Depth=4
	s_or_b64 exec, exec, s[28:29]
	v_cmp_ne_u16_sdwa vcc, v10, v61 src0_sel:BYTE_0 src1_sel:DWORD
	s_and_saveexec_b64 s[28:29], vcc
	s_cbranch_execz .LBB4_1237
; %bb.1230:                             ;   in Loop: Header=BB4_357 Depth=4
	v_cmp_ne_u16_sdwa vcc, sext(v10), s70 src0_sel:BYTE_0 src1_sel:DWORD
	v_bfrev_b32_e32 v0, 1
	s_and_saveexec_b64 s[30:31], vcc
	s_cbranch_execz .LBB4_1236
; %bb.1231:                             ;   in Loop: Header=BB4_357 Depth=4
	v_and_b32_e32 v0, 0x7c, v10
	v_and_b32_e32 v2, 3, v10
	v_cmp_ne_u32_e32 vcc, s71, v0
                                        ; implicit-def: $vgpr0
	s_and_saveexec_b64 s[34:35], vcc
	s_xor_b64 s[34:35], exec, s[34:35]
	s_cbranch_execz .LBB4_1233
; %bb.1232:                             ;   in Loop: Header=BB4_357 Depth=4
	v_ffbh_u32_e32 v4, v2
	v_min_u32_e32 v4, 32, v4
	v_bfe_u32 v0, v10, 2, 5
	v_subrev_u32_e32 v9, 29, v4
	v_lshlrev_b64 v[12:13], v9, v[10:11]
	v_sub_u32_e32 v4, 30, v4
	v_cmp_eq_u32_e32 vcc, 0, v0
	v_cndmask_b32_e32 v0, v0, v4, vcc
	v_lshlrev_b32_e32 v4, 24, v10
	v_and_b32_e32 v9, 3, v12
	v_and_b32_e32 v4, 0x80000000, v4
	v_cndmask_b32_e32 v2, v2, v9, vcc
	v_lshl_add_u32 v0, v0, 23, v4
	v_lshl_or_b32 v0, v2, 21, v0
	v_add_u32_e32 v0, 0x38000000, v0
                                        ; implicit-def: $vgpr2
.LBB4_1233:                             ;   in Loop: Header=BB4_357 Depth=4
	s_andn2_saveexec_b64 s[34:35], s[34:35]
; %bb.1234:                             ;   in Loop: Header=BB4_357 Depth=4
	v_mov_b32_e32 v0, -1
	v_cmp_gt_i16_sdwa vcc, sext(v10), v0 src0_sel:BYTE_0 src1_sel:DWORD
	v_mov_b32_e32 v0, 0xff800000
	v_cndmask_b32_e32 v0, v0, v47, vcc
	v_cmp_eq_u32_e32 vcc, 0, v2
	v_mov_b32_e32 v2, 0x7f800001
	v_cndmask_b32_e32 v0, v2, v0, vcc
; %bb.1235:                             ;   in Loop: Header=BB4_357 Depth=4
	s_or_b64 exec, exec, s[34:35]
.LBB4_1236:                             ;   in Loop: Header=BB4_357 Depth=4
	s_or_b64 exec, exec, s[30:31]
.LBB4_1237:                             ;   in Loop: Header=BB4_357 Depth=4
	s_or_b64 exec, exec, s[28:29]
	v_mul_f32_e32 v0, v1, v0
	v_and_b32_e32 v1, 0x7f800000, v0
	v_mov_b32_e32 v2, v61
	v_cmp_ne_u64_e32 vcc, s[62:63], v[1:2]
	v_and_b32_e32 v60, 0x7fffff, v0
                                        ; implicit-def: $vgpr9
	s_and_saveexec_b64 s[28:29], vcc
	s_xor_b64 s[30:31], exec, s[28:29]
	s_cbranch_execz .LBB4_1251
; %bb.1238:                             ;   in Loop: Header=BB4_357 Depth=4
	v_and_b32_e32 v1, 0x7fffffff, v0
	v_mov_b32_e32 v2, v61
	v_cmp_gt_u64_e32 vcc, s[78:79], v[1:2]
	v_and_b32_sdwa v12, v0, s81 dst_sel:DWORD dst_unused:UNUSED_PAD src0_sel:BYTE_3 src1_sel:DWORD
                                        ; implicit-def: $vgpr9
	s_and_saveexec_b64 s[28:29], vcc
	s_xor_b64 s[34:35], exec, s[28:29]
	s_cbranch_execz .LBB4_1248
; %bb.1239:                             ;   in Loop: Header=BB4_357 Depth=4
	v_mov_b32_e32 v9, 0
	v_cmp_ne_u32_e32 vcc, 0, v0
	s_and_saveexec_b64 s[36:37], vcc
	s_cbranch_execz .LBB4_1247
; %bb.1240:                             ;   in Loop: Header=BB4_357 Depth=4
	v_bfe_u32 v4, v0, 23, 8
	v_cmp_gt_u32_e64 s[28:29], s47, v4
	v_sub_u32_e32 v0, 0x71, v4
	v_cmp_eq_u32_e32 vcc, 0, v4
	v_cndmask_b32_e64 v0, 0, v0, s[28:29]
	v_mov_b32_e32 v2, 0x70
	v_cndmask_b32_e32 v9, v0, v2, vcc
	v_or_b32_e32 v1, 0x800000, v60
	v_add_u32_e32 v0, 21, v9
	v_cndmask_b32_e32 v60, v1, v60, vcc
	v_lshlrev_b64 v[0:1], v0, -1
	v_add_u32_e32 v2, 20, v9
	v_lshlrev_b64 v[42:43], v2, 1
	v_bfi_b32 v1, v1, 0, 0
	v_bfi_b32 v0, v0, 0, v60
	v_cmp_eq_u64_e64 s[28:29], v[0:1], v[42:43]
	v_lshrrev_b64 v[0:1], v9, v[60:61]
	v_mov_b32_e32 v2, v1
	v_mov_b32_e32 v1, v0
	s_and_saveexec_b64 s[38:39], s[28:29]
; %bb.1241:                             ;   in Loop: Header=BB4_357 Depth=4
	v_bfe_u32 v1, v0, 21, 1
	v_add_co_u32_e64 v1, s[28:29], v0, v1
	v_add_co_u32_e64 v1, s[28:29], -1, v1
; %bb.1242:                             ;   in Loop: Header=BB4_357 Depth=4
	s_or_b64 exec, exec, s[38:39]
	v_add_u32_e32 v2, 0xffffff81, v4
	v_mov_b32_e32 v4, 0xffffff82
	v_cndmask_b32_e32 v2, v2, v4, vcc
	v_lshrrev_b32_e32 v4, 23, v0
	v_add3_u32 v9, v9, v2, v4
	v_add_u32_e32 v4, 14, v9
	v_and_b32_e32 v1, 0x1fffff, v1
	v_add_u32_e32 v60, v1, v0
	v_cmp_ne_u32_e32 vcc, 0, v4
                                        ; implicit-def: $vgpr0_vgpr1
                                        ; implicit-def: $vgpr2
	s_and_saveexec_b64 s[28:29], vcc
	s_xor_b64 s[28:29], exec, s[28:29]
; %bb.1243:                             ;   in Loop: Header=BB4_357 Depth=4
	v_cmp_lt_u64_e32 vcc, s[88:89], v[60:61]
	v_add_u32_e32 v0, 15, v9
	v_cndmask_b32_e32 v2, v4, v0, vcc
	v_cndmask_b32_e64 v0, 0, 1, vcc
	v_lshrrev_b64 v[0:1], v0, v[60:61]
; %bb.1244:                             ;   in Loop: Header=BB4_357 Depth=4
	s_andn2_saveexec_b64 s[28:29], s[28:29]
; %bb.1245:                             ;   in Loop: Header=BB4_357 Depth=4
	v_mov_b32_e32 v0, v60
	v_bfe_u32 v2, v60, 23, 1
	v_mov_b32_e32 v1, v61
; %bb.1246:                             ;   in Loop: Header=BB4_357 Depth=4
	s_or_b64 exec, exec, s[28:29]
	v_lshrrev_b64 v[0:1], 21, v[0:1]
	v_cmp_gt_i32_e32 vcc, 32, v2
	v_cndmask_b32_e32 v1, 0, v1, vcc
	v_cndmask_b32_e32 v0, 3, v0, vcc
	v_cmp_eq_u64_e64 s[28:29], 0, v[0:1]
	v_min_i32_e32 v1, 31, v2
	v_lshlrev_b32_e32 v1, 2, v1
	v_cmp_eq_u32_e32 vcc, 0, v2
	v_and_b32_e32 v1, 0xfc, v1
	v_and_or_b32 v0, v0, 3, v1
	s_and_b64 s[28:29], vcc, s[28:29]
	v_cndmask_b32_e64 v0, v0, 0, s[28:29]
	v_or_b32_e32 v9, v0, v12
.LBB4_1247:                             ;   in Loop: Header=BB4_357 Depth=4
	s_or_b64 exec, exec, s[36:37]
                                        ; implicit-def: $vgpr12
.LBB4_1248:                             ;   in Loop: Header=BB4_357 Depth=4
	s_andn2_saveexec_b64 s[28:29], s[34:35]
; %bb.1249:                             ;   in Loop: Header=BB4_357 Depth=4
	v_or_b32_e32 v9, 0x7b, v12
; %bb.1250:                             ;   in Loop: Header=BB4_357 Depth=4
	s_or_b64 exec, exec, s[28:29]
                                        ; implicit-def: $vgpr0
.LBB4_1251:                             ;   in Loop: Header=BB4_357 Depth=4
	s_andn2_saveexec_b64 s[28:29], s[30:31]
	s_cbranch_execz .LBB4_1257
; %bb.1252:                             ;   in Loop: Header=BB4_357 Depth=4
	v_cmp_ne_u64_e32 vcc, 0, v[60:61]
                                        ; implicit-def: $vgpr9
	s_and_saveexec_b64 s[30:31], vcc
	s_xor_b64 vcc, exec, s[30:31]
; %bb.1253:                             ;   in Loop: Header=BB4_357 Depth=4
	v_or_b32_sdwa v9, v0, s44 dst_sel:DWORD dst_unused:UNUSED_PAD src0_sel:BYTE_3 src1_sel:DWORD
                                        ; implicit-def: $vgpr0
; %bb.1254:                             ;   in Loop: Header=BB4_357 Depth=4
	s_andn2_saveexec_b64 s[30:31], vcc
; %bb.1255:                             ;   in Loop: Header=BB4_357 Depth=4
	v_cmp_lt_i32_e32 vcc, -1, v0
	v_bfrev_b32_e32 v0, 0.5
	v_mov_b32_e32 v1, 0x7c
	v_cndmask_b32_e32 v9, v0, v1, vcc
; %bb.1256:                             ;   in Loop: Header=BB4_357 Depth=4
	s_or_b64 exec, exec, s[30:31]
.LBB4_1257:                             ;   in Loop: Header=BB4_357 Depth=4
	s_or_b64 exec, exec, s[28:29]
	v_lshrrev_b16_e32 v60, 8, v14
	v_cmp_ne_u16_e32 vcc, 0, v60
	v_mov_b32_e32 v0, 0
	v_mov_b32_e32 v1, 0
	s_and_saveexec_b64 s[28:29], vcc
	s_cbranch_execz .LBB4_1265
; %bb.1258:                             ;   in Loop: Header=BB4_357 Depth=4
	v_cmp_ne_u16_e32 vcc, s81, v60
	v_bfrev_b32_e32 v1, 1
	s_and_saveexec_b64 s[30:31], vcc
	s_cbranch_execz .LBB4_1264
; %bb.1259:                             ;   in Loop: Header=BB4_357 Depth=4
	v_and_b32_e32 v1, 0x7c, v60
	v_and_b32_e32 v2, 3, v60
	v_cmp_ne_u32_e32 vcc, s71, v1
                                        ; implicit-def: $vgpr1
	s_and_saveexec_b64 s[34:35], vcc
	s_xor_b64 s[34:35], exec, s[34:35]
	s_cbranch_execz .LBB4_1261
; %bb.1260:                             ;   in Loop: Header=BB4_357 Depth=4
	v_ffbh_u32_e32 v4, v2
	v_min_u32_e32 v4, 32, v4
	v_bfe_u32 v1, v60, 2, 5
	v_subrev_u32_e32 v12, 29, v4
	v_lshlrev_b64 v[12:13], v12, v[60:61]
	v_sub_u32_e32 v4, 30, v4
	v_cmp_eq_u32_e32 vcc, 0, v1
	v_cndmask_b32_e32 v1, v1, v4, vcc
	v_lshlrev_b32_e32 v4, 16, v14
	v_and_b32_e32 v12, 3, v12
	v_and_b32_e32 v4, 0x80000000, v4
	v_cndmask_b32_e32 v2, v2, v12, vcc
	v_lshl_add_u32 v1, v1, 23, v4
	v_lshl_or_b32 v1, v2, 21, v1
	v_add_u32_e32 v1, 0x38000000, v1
                                        ; implicit-def: $vgpr2
.LBB4_1261:                             ;   in Loop: Header=BB4_357 Depth=4
	s_andn2_saveexec_b64 s[34:35], s[34:35]
; %bb.1262:                             ;   in Loop: Header=BB4_357 Depth=4
	v_cmp_lt_i16_e32 vcc, -1, v14
	v_mov_b32_e32 v1, 0xff800000
	v_cndmask_b32_e32 v1, v1, v47, vcc
	v_cmp_eq_u32_e32 vcc, 0, v2
	v_mov_b32_e32 v2, 0x7f800001
	v_cndmask_b32_e32 v1, v2, v1, vcc
; %bb.1263:                             ;   in Loop: Header=BB4_357 Depth=4
	s_or_b64 exec, exec, s[34:35]
.LBB4_1264:                             ;   in Loop: Header=BB4_357 Depth=4
	s_or_b64 exec, exec, s[30:31]
.LBB4_1265:                             ;   in Loop: Header=BB4_357 Depth=4
	s_or_b64 exec, exec, s[28:29]
	v_lshrrev_b16_e32 v60, 8, v10
	v_cmp_ne_u16_e32 vcc, 0, v60
	s_and_saveexec_b64 s[28:29], vcc
	s_cbranch_execz .LBB4_1273
; %bb.1266:                             ;   in Loop: Header=BB4_357 Depth=4
	v_cmp_ne_u16_e32 vcc, s81, v60
	v_bfrev_b32_e32 v0, 1
	s_and_saveexec_b64 s[30:31], vcc
	s_cbranch_execz .LBB4_1272
; %bb.1267:                             ;   in Loop: Header=BB4_357 Depth=4
	v_and_b32_e32 v0, 0x7c, v60
	v_and_b32_e32 v2, 3, v60
	v_cmp_ne_u32_e32 vcc, s71, v0
                                        ; implicit-def: $vgpr0
	s_and_saveexec_b64 s[34:35], vcc
	s_xor_b64 s[34:35], exec, s[34:35]
	s_cbranch_execz .LBB4_1269
; %bb.1268:                             ;   in Loop: Header=BB4_357 Depth=4
	v_ffbh_u32_e32 v4, v2
	v_min_u32_e32 v4, 32, v4
	v_bfe_u32 v0, v60, 2, 5
	v_subrev_u32_e32 v12, 29, v4
	v_lshlrev_b64 v[12:13], v12, v[60:61]
	v_sub_u32_e32 v4, 30, v4
	v_cmp_eq_u32_e32 vcc, 0, v0
	v_cndmask_b32_e32 v0, v0, v4, vcc
	v_lshlrev_b32_e32 v4, 16, v10
	v_and_b32_e32 v12, 3, v12
	v_and_b32_e32 v4, 0x80000000, v4
	v_cndmask_b32_e32 v2, v2, v12, vcc
	v_lshl_add_u32 v0, v0, 23, v4
	v_lshl_or_b32 v0, v2, 21, v0
	v_add_u32_e32 v0, 0x38000000, v0
                                        ; implicit-def: $vgpr2
.LBB4_1269:                             ;   in Loop: Header=BB4_357 Depth=4
	s_andn2_saveexec_b64 s[34:35], s[34:35]
; %bb.1270:                             ;   in Loop: Header=BB4_357 Depth=4
	v_cmp_lt_i16_e32 vcc, -1, v10
	v_mov_b32_e32 v0, 0xff800000
	v_cndmask_b32_e32 v0, v0, v47, vcc
	v_cmp_eq_u32_e32 vcc, 0, v2
	v_mov_b32_e32 v2, 0x7f800001
	v_cndmask_b32_e32 v0, v2, v0, vcc
; %bb.1271:                             ;   in Loop: Header=BB4_357 Depth=4
	s_or_b64 exec, exec, s[34:35]
.LBB4_1272:                             ;   in Loop: Header=BB4_357 Depth=4
	s_or_b64 exec, exec, s[30:31]
.LBB4_1273:                             ;   in Loop: Header=BB4_357 Depth=4
	s_or_b64 exec, exec, s[28:29]
	v_mul_f32_e32 v0, v1, v0
	v_and_b32_e32 v1, 0x7f800000, v0
	v_mov_b32_e32 v2, v61
	v_cmp_ne_u64_e32 vcc, s[62:63], v[1:2]
	v_and_b32_e32 v60, 0x7fffff, v0
                                        ; implicit-def: $vgpr12
	s_and_saveexec_b64 s[28:29], vcc
	s_xor_b64 s[30:31], exec, s[28:29]
	s_cbranch_execz .LBB4_1287
; %bb.1274:                             ;   in Loop: Header=BB4_357 Depth=4
	v_and_b32_e32 v1, 0x7fffffff, v0
	v_mov_b32_e32 v2, v61
	v_cmp_gt_u64_e32 vcc, s[78:79], v[1:2]
	v_and_b32_sdwa v13, v0, s81 dst_sel:DWORD dst_unused:UNUSED_PAD src0_sel:BYTE_3 src1_sel:DWORD
                                        ; implicit-def: $vgpr12
	s_and_saveexec_b64 s[28:29], vcc
	s_xor_b64 s[34:35], exec, s[28:29]
	s_cbranch_execz .LBB4_1284
; %bb.1275:                             ;   in Loop: Header=BB4_357 Depth=4
	v_mov_b32_e32 v12, 0
	v_cmp_ne_u32_e32 vcc, 0, v0
	s_and_saveexec_b64 s[36:37], vcc
	s_cbranch_execz .LBB4_1283
; %bb.1276:                             ;   in Loop: Header=BB4_357 Depth=4
	v_bfe_u32 v4, v0, 23, 8
	v_cmp_gt_u32_e64 s[28:29], s47, v4
	v_sub_u32_e32 v0, 0x71, v4
	v_cmp_eq_u32_e32 vcc, 0, v4
	v_cndmask_b32_e64 v0, 0, v0, s[28:29]
	v_mov_b32_e32 v2, 0x70
	v_cndmask_b32_e32 v12, v0, v2, vcc
	v_or_b32_e32 v1, 0x800000, v60
	v_add_u32_e32 v0, 21, v12
	v_cndmask_b32_e32 v60, v1, v60, vcc
	v_lshlrev_b64 v[0:1], v0, -1
	v_add_u32_e32 v2, 20, v12
	v_lshlrev_b64 v[42:43], v2, 1
	v_bfi_b32 v1, v1, 0, 0
	v_bfi_b32 v0, v0, 0, v60
	v_cmp_eq_u64_e64 s[28:29], v[0:1], v[42:43]
	v_lshrrev_b64 v[0:1], v12, v[60:61]
	v_mov_b32_e32 v2, v1
	v_mov_b32_e32 v1, v0
	s_and_saveexec_b64 s[38:39], s[28:29]
; %bb.1277:                             ;   in Loop: Header=BB4_357 Depth=4
	v_bfe_u32 v1, v0, 21, 1
	v_add_co_u32_e64 v1, s[28:29], v0, v1
	v_add_co_u32_e64 v1, s[28:29], -1, v1
; %bb.1278:                             ;   in Loop: Header=BB4_357 Depth=4
	s_or_b64 exec, exec, s[38:39]
	v_add_u32_e32 v2, 0xffffff81, v4
	v_mov_b32_e32 v4, 0xffffff82
	v_cndmask_b32_e32 v2, v2, v4, vcc
	v_lshrrev_b32_e32 v4, 23, v0
	v_add3_u32 v12, v12, v2, v4
	v_add_u32_e32 v4, 14, v12
	v_and_b32_e32 v1, 0x1fffff, v1
	v_add_u32_e32 v60, v1, v0
	v_cmp_ne_u32_e32 vcc, 0, v4
                                        ; implicit-def: $vgpr0_vgpr1
                                        ; implicit-def: $vgpr2
	s_and_saveexec_b64 s[28:29], vcc
	s_xor_b64 s[28:29], exec, s[28:29]
; %bb.1279:                             ;   in Loop: Header=BB4_357 Depth=4
	v_cmp_lt_u64_e32 vcc, s[88:89], v[60:61]
	v_add_u32_e32 v0, 15, v12
	v_cndmask_b32_e32 v2, v4, v0, vcc
	v_cndmask_b32_e64 v0, 0, 1, vcc
	v_lshrrev_b64 v[0:1], v0, v[60:61]
; %bb.1280:                             ;   in Loop: Header=BB4_357 Depth=4
	s_andn2_saveexec_b64 s[28:29], s[28:29]
; %bb.1281:                             ;   in Loop: Header=BB4_357 Depth=4
	v_mov_b32_e32 v0, v60
	v_bfe_u32 v2, v60, 23, 1
	v_mov_b32_e32 v1, v61
; %bb.1282:                             ;   in Loop: Header=BB4_357 Depth=4
	s_or_b64 exec, exec, s[28:29]
	v_lshrrev_b64 v[0:1], 21, v[0:1]
	v_cmp_gt_i32_e32 vcc, 32, v2
	v_cndmask_b32_e32 v1, 0, v1, vcc
	v_cndmask_b32_e32 v0, 3, v0, vcc
	v_cmp_eq_u64_e64 s[28:29], 0, v[0:1]
	v_min_i32_e32 v1, 31, v2
	v_lshlrev_b32_e32 v1, 2, v1
	v_cmp_eq_u32_e32 vcc, 0, v2
	v_and_b32_e32 v1, 0xfc, v1
	v_and_or_b32 v0, v0, 3, v1
	s_and_b64 s[28:29], vcc, s[28:29]
	v_cndmask_b32_e64 v0, v0, 0, s[28:29]
	v_or_b32_e32 v12, v0, v13
.LBB4_1283:                             ;   in Loop: Header=BB4_357 Depth=4
	s_or_b64 exec, exec, s[36:37]
                                        ; implicit-def: $vgpr13
.LBB4_1284:                             ;   in Loop: Header=BB4_357 Depth=4
	s_andn2_saveexec_b64 s[28:29], s[34:35]
; %bb.1285:                             ;   in Loop: Header=BB4_357 Depth=4
	v_or_b32_e32 v12, 0x7b, v13
; %bb.1286:                             ;   in Loop: Header=BB4_357 Depth=4
	s_or_b64 exec, exec, s[28:29]
                                        ; implicit-def: $vgpr0
.LBB4_1287:                             ;   in Loop: Header=BB4_357 Depth=4
	s_andn2_saveexec_b64 s[28:29], s[30:31]
	s_cbranch_execz .LBB4_1293
; %bb.1288:                             ;   in Loop: Header=BB4_357 Depth=4
	v_cmp_ne_u64_e32 vcc, 0, v[60:61]
                                        ; implicit-def: $vgpr12
	s_and_saveexec_b64 s[30:31], vcc
	s_xor_b64 vcc, exec, s[30:31]
; %bb.1289:                             ;   in Loop: Header=BB4_357 Depth=4
	v_or_b32_sdwa v12, v0, s44 dst_sel:DWORD dst_unused:UNUSED_PAD src0_sel:BYTE_3 src1_sel:DWORD
                                        ; implicit-def: $vgpr0
; %bb.1290:                             ;   in Loop: Header=BB4_357 Depth=4
	s_andn2_saveexec_b64 s[30:31], vcc
; %bb.1291:                             ;   in Loop: Header=BB4_357 Depth=4
	v_cmp_lt_i32_e32 vcc, -1, v0
	v_bfrev_b32_e32 v0, 0.5
	v_mov_b32_e32 v1, 0x7c
	v_cndmask_b32_e32 v12, v0, v1, vcc
; %bb.1292:                             ;   in Loop: Header=BB4_357 Depth=4
	s_or_b64 exec, exec, s[30:31]
.LBB4_1293:                             ;   in Loop: Header=BB4_357 Depth=4
	s_or_b64 exec, exec, s[28:29]
	v_lshrrev_b32_e32 v0, 16, v14
	v_cmp_ne_u16_sdwa vcc, v0, v61 src0_sel:BYTE_0 src1_sel:DWORD
	v_mov_b32_e32 v1, 0
	v_mov_b32_e32 v2, 0
	s_and_saveexec_b64 s[28:29], vcc
	s_cbranch_execz .LBB4_1301
; %bb.1294:                             ;   in Loop: Header=BB4_357 Depth=4
	v_cmp_ne_u16_sdwa vcc, v0, s81 src0_sel:BYTE_0 src1_sel:DWORD
	v_bfrev_b32_e32 v2, 1
	s_and_saveexec_b64 s[30:31], vcc
	s_cbranch_execz .LBB4_1300
; %bb.1295:                             ;   in Loop: Header=BB4_357 Depth=4
	v_and_b32_e32 v2, 0x7c0000, v14
	v_bfe_u32 v4, v14, 16, 2
	v_cmp_ne_u32_e32 vcc, s45, v2
                                        ; implicit-def: $vgpr2
	s_and_saveexec_b64 s[34:35], vcc
	s_xor_b64 s[34:35], exec, s[34:35]
	s_cbranch_execz .LBB4_1297
; %bb.1296:                             ;   in Loop: Header=BB4_357 Depth=4
	v_ffbh_u32_e32 v13, v4
	v_min_u32_e32 v13, 32, v13
	v_subrev_u32_e32 v55, 29, v13
	v_lshlrev_b64 v[42:43], v55, v[0:1]
	v_bfe_u32 v2, v14, 18, 5
	v_sub_u32_e32 v0, 30, v13
	v_and_b32_e32 v13, 3, v42
	v_cmp_eq_u32_e32 vcc, 0, v2
	v_cndmask_b32_e32 v0, v2, v0, vcc
	v_cndmask_b32_e32 v2, v4, v13, vcc
	v_lshlrev_b32_e32 v4, 8, v14
	v_and_b32_e32 v4, 0x80000000, v4
	v_lshl_add_u32 v0, v0, 23, v4
	v_lshl_or_b32 v0, v2, 21, v0
	v_add_u32_e32 v2, 0x38000000, v0
                                        ; implicit-def: $vgpr4
                                        ; implicit-def: $vgpr0
.LBB4_1297:                             ;   in Loop: Header=BB4_357 Depth=4
	s_andn2_saveexec_b64 s[34:35], s[34:35]
; %bb.1298:                             ;   in Loop: Header=BB4_357 Depth=4
	v_mov_b32_e32 v2, -1
	v_cmp_gt_i16_sdwa vcc, sext(v0), v2 src0_sel:BYTE_0 src1_sel:DWORD
	v_mov_b32_e32 v0, 0xff800000
	v_cndmask_b32_e32 v0, v0, v47, vcc
	v_cmp_eq_u32_e32 vcc, 0, v4
	v_mov_b32_e32 v2, 0x7f800001
	v_cndmask_b32_e32 v2, v2, v0, vcc
; %bb.1299:                             ;   in Loop: Header=BB4_357 Depth=4
	s_or_b64 exec, exec, s[34:35]
.LBB4_1300:                             ;   in Loop: Header=BB4_357 Depth=4
	s_or_b64 exec, exec, s[30:31]
.LBB4_1301:                             ;   in Loop: Header=BB4_357 Depth=4
	s_or_b64 exec, exec, s[28:29]
	v_lshrrev_b32_e32 v0, 16, v10
	v_cmp_ne_u16_sdwa vcc, v0, v61 src0_sel:BYTE_0 src1_sel:DWORD
	s_and_saveexec_b64 s[28:29], vcc
	s_cbranch_execz .LBB4_1309
; %bb.1302:                             ;   in Loop: Header=BB4_357 Depth=4
	v_cmp_ne_u16_sdwa vcc, v0, s81 src0_sel:BYTE_0 src1_sel:DWORD
	v_bfrev_b32_e32 v1, 1
	s_and_saveexec_b64 s[30:31], vcc
	s_cbranch_execz .LBB4_1308
; %bb.1303:                             ;   in Loop: Header=BB4_357 Depth=4
	v_and_b32_e32 v1, 0x7c0000, v10
	v_bfe_u32 v4, v10, 16, 2
	v_cmp_ne_u32_e32 vcc, s45, v1
                                        ; implicit-def: $vgpr1
	s_and_saveexec_b64 s[34:35], vcc
	s_xor_b64 s[34:35], exec, s[34:35]
	s_cbranch_execz .LBB4_1305
; %bb.1304:                             ;   in Loop: Header=BB4_357 Depth=4
	v_ffbh_u32_e32 v1, v4
	v_min_u32_e32 v55, 32, v1
	v_subrev_u32_e32 v1, 29, v55
	v_lshlrev_b64 v[0:1], v1, v[0:1]
	v_bfe_u32 v13, v10, 18, 5
	v_and_b32_e32 v0, 3, v0
	v_cmp_eq_u32_e32 vcc, 0, v13
	v_sub_u32_e32 v1, 30, v55
	v_cndmask_b32_e32 v0, v4, v0, vcc
	v_lshlrev_b32_e32 v4, 8, v10
	v_cndmask_b32_e32 v1, v13, v1, vcc
	v_and_b32_e32 v4, 0x80000000, v4
	v_lshl_add_u32 v1, v1, 23, v4
	v_lshl_or_b32 v0, v0, 21, v1
	v_add_u32_e32 v1, 0x38000000, v0
                                        ; implicit-def: $vgpr4
                                        ; implicit-def: $vgpr0
.LBB4_1305:                             ;   in Loop: Header=BB4_357 Depth=4
	s_andn2_saveexec_b64 s[34:35], s[34:35]
; %bb.1306:                             ;   in Loop: Header=BB4_357 Depth=4
	v_mov_b32_e32 v1, -1
	v_cmp_gt_i16_sdwa vcc, sext(v0), v1 src0_sel:BYTE_0 src1_sel:DWORD
	v_mov_b32_e32 v0, 0xff800000
	v_cndmask_b32_e32 v0, v0, v47, vcc
	v_cmp_eq_u32_e32 vcc, 0, v4
	v_mov_b32_e32 v1, 0x7f800001
	v_cndmask_b32_e32 v1, v1, v0, vcc
; %bb.1307:                             ;   in Loop: Header=BB4_357 Depth=4
	s_or_b64 exec, exec, s[34:35]
.LBB4_1308:                             ;   in Loop: Header=BB4_357 Depth=4
	s_or_b64 exec, exec, s[30:31]
.LBB4_1309:                             ;   in Loop: Header=BB4_357 Depth=4
	s_or_b64 exec, exec, s[28:29]
	v_mul_f32_e32 v0, v2, v1
	v_and_b32_e32 v1, 0x7f800000, v0
	v_mov_b32_e32 v2, v61
	v_cmp_ne_u64_e32 vcc, s[62:63], v[1:2]
	v_and_b32_e32 v60, 0x7fffff, v0
                                        ; implicit-def: $vgpr13
	s_and_saveexec_b64 s[28:29], vcc
	s_xor_b64 s[30:31], exec, s[28:29]
	s_cbranch_execz .LBB4_1323
; %bb.1310:                             ;   in Loop: Header=BB4_357 Depth=4
	v_and_b32_e32 v1, 0x7fffffff, v0
	v_mov_b32_e32 v2, v61
	v_cmp_gt_u64_e32 vcc, s[78:79], v[1:2]
	v_and_b32_sdwa v55, v0, s81 dst_sel:DWORD dst_unused:UNUSED_PAD src0_sel:BYTE_3 src1_sel:DWORD
                                        ; implicit-def: $vgpr13
	s_and_saveexec_b64 s[28:29], vcc
	s_xor_b64 s[34:35], exec, s[28:29]
	s_cbranch_execz .LBB4_1320
; %bb.1311:                             ;   in Loop: Header=BB4_357 Depth=4
	v_mov_b32_e32 v13, 0
	v_cmp_ne_u32_e32 vcc, 0, v0
	s_and_saveexec_b64 s[36:37], vcc
	s_cbranch_execz .LBB4_1319
; %bb.1312:                             ;   in Loop: Header=BB4_357 Depth=4
	v_bfe_u32 v4, v0, 23, 8
	v_cmp_gt_u32_e64 s[28:29], s47, v4
	v_sub_u32_e32 v0, 0x71, v4
	v_cmp_eq_u32_e32 vcc, 0, v4
	v_cndmask_b32_e64 v0, 0, v0, s[28:29]
	v_mov_b32_e32 v2, 0x70
	v_cndmask_b32_e32 v13, v0, v2, vcc
	v_or_b32_e32 v1, 0x800000, v60
	v_add_u32_e32 v0, 21, v13
	v_cndmask_b32_e32 v60, v1, v60, vcc
	v_lshlrev_b64 v[0:1], v0, -1
	v_add_u32_e32 v2, 20, v13
	v_lshlrev_b64 v[42:43], v2, 1
	v_bfi_b32 v1, v1, 0, 0
	v_bfi_b32 v0, v0, 0, v60
	v_cmp_eq_u64_e64 s[28:29], v[0:1], v[42:43]
	v_lshrrev_b64 v[0:1], v13, v[60:61]
	v_mov_b32_e32 v2, v1
	v_mov_b32_e32 v1, v0
	s_and_saveexec_b64 s[38:39], s[28:29]
; %bb.1313:                             ;   in Loop: Header=BB4_357 Depth=4
	v_bfe_u32 v1, v0, 21, 1
	v_add_co_u32_e64 v1, s[28:29], v0, v1
	v_add_co_u32_e64 v1, s[28:29], -1, v1
; %bb.1314:                             ;   in Loop: Header=BB4_357 Depth=4
	s_or_b64 exec, exec, s[38:39]
	v_add_u32_e32 v2, 0xffffff81, v4
	v_mov_b32_e32 v4, 0xffffff82
	v_cndmask_b32_e32 v2, v2, v4, vcc
	v_lshrrev_b32_e32 v4, 23, v0
	v_add3_u32 v13, v13, v2, v4
	v_add_u32_e32 v4, 14, v13
	v_and_b32_e32 v1, 0x1fffff, v1
	v_add_u32_e32 v60, v1, v0
	v_cmp_ne_u32_e32 vcc, 0, v4
                                        ; implicit-def: $vgpr0_vgpr1
                                        ; implicit-def: $vgpr2
	s_and_saveexec_b64 s[28:29], vcc
	s_xor_b64 s[28:29], exec, s[28:29]
; %bb.1315:                             ;   in Loop: Header=BB4_357 Depth=4
	v_cmp_lt_u64_e32 vcc, s[88:89], v[60:61]
	v_add_u32_e32 v0, 15, v13
	v_cndmask_b32_e32 v2, v4, v0, vcc
	v_cndmask_b32_e64 v0, 0, 1, vcc
	v_lshrrev_b64 v[0:1], v0, v[60:61]
; %bb.1316:                             ;   in Loop: Header=BB4_357 Depth=4
	s_andn2_saveexec_b64 s[28:29], s[28:29]
; %bb.1317:                             ;   in Loop: Header=BB4_357 Depth=4
	v_mov_b32_e32 v0, v60
	v_bfe_u32 v2, v60, 23, 1
	v_mov_b32_e32 v1, v61
; %bb.1318:                             ;   in Loop: Header=BB4_357 Depth=4
	s_or_b64 exec, exec, s[28:29]
	v_lshrrev_b64 v[0:1], 21, v[0:1]
	v_cmp_gt_i32_e32 vcc, 32, v2
	v_cndmask_b32_e32 v1, 0, v1, vcc
	v_cndmask_b32_e32 v0, 3, v0, vcc
	v_cmp_eq_u64_e64 s[28:29], 0, v[0:1]
	v_min_i32_e32 v1, 31, v2
	v_lshlrev_b32_e32 v1, 2, v1
	v_cmp_eq_u32_e32 vcc, 0, v2
	v_and_b32_e32 v1, 0xfc, v1
	v_and_or_b32 v0, v0, 3, v1
	s_and_b64 s[28:29], vcc, s[28:29]
	v_cndmask_b32_e64 v0, v0, 0, s[28:29]
	v_or_b32_e32 v13, v0, v55
.LBB4_1319:                             ;   in Loop: Header=BB4_357 Depth=4
	s_or_b64 exec, exec, s[36:37]
                                        ; implicit-def: $vgpr55
.LBB4_1320:                             ;   in Loop: Header=BB4_357 Depth=4
	s_andn2_saveexec_b64 s[28:29], s[34:35]
; %bb.1321:                             ;   in Loop: Header=BB4_357 Depth=4
	v_or_b32_e32 v13, 0x7b, v55
; %bb.1322:                             ;   in Loop: Header=BB4_357 Depth=4
	s_or_b64 exec, exec, s[28:29]
                                        ; implicit-def: $vgpr0
.LBB4_1323:                             ;   in Loop: Header=BB4_357 Depth=4
	s_andn2_saveexec_b64 s[28:29], s[30:31]
	s_cbranch_execz .LBB4_1329
; %bb.1324:                             ;   in Loop: Header=BB4_357 Depth=4
	v_cmp_ne_u64_e32 vcc, 0, v[60:61]
                                        ; implicit-def: $vgpr13
	s_and_saveexec_b64 s[30:31], vcc
	s_xor_b64 vcc, exec, s[30:31]
; %bb.1325:                             ;   in Loop: Header=BB4_357 Depth=4
	v_or_b32_sdwa v13, v0, s44 dst_sel:DWORD dst_unused:UNUSED_PAD src0_sel:BYTE_3 src1_sel:DWORD
                                        ; implicit-def: $vgpr0
; %bb.1326:                             ;   in Loop: Header=BB4_357 Depth=4
	s_andn2_saveexec_b64 s[30:31], vcc
; %bb.1327:                             ;   in Loop: Header=BB4_357 Depth=4
	v_cmp_lt_i32_e32 vcc, -1, v0
	v_bfrev_b32_e32 v0, 0.5
	v_mov_b32_e32 v1, 0x7c
	v_cndmask_b32_e32 v13, v0, v1, vcc
; %bb.1328:                             ;   in Loop: Header=BB4_357 Depth=4
	s_or_b64 exec, exec, s[30:31]
.LBB4_1329:                             ;   in Loop: Header=BB4_357 Depth=4
	s_or_b64 exec, exec, s[28:29]
	v_cmp_lt_u32_e32 vcc, s57, v14
	v_mov_b32_e32 v1, 0
	v_mov_b32_e32 v2, 0
	s_and_saveexec_b64 s[28:29], vcc
	s_cbranch_execz .LBB4_1337
; %bb.1330:                             ;   in Loop: Header=BB4_357 Depth=4
	v_lshrrev_b32_e32 v0, 24, v14
	v_cmp_ne_u32_e32 vcc, s81, v0
	v_bfrev_b32_e32 v2, 1
	s_and_saveexec_b64 s[30:31], vcc
	s_cbranch_execz .LBB4_1336
; %bb.1331:                             ;   in Loop: Header=BB4_357 Depth=4
	v_and_b32_e32 v2, 0x7c000000, v14
	v_bfe_u32 v4, v14, 24, 2
	v_cmp_ne_u32_e32 vcc, s82, v2
                                        ; implicit-def: $vgpr2
	s_and_saveexec_b64 s[34:35], vcc
	s_xor_b64 s[34:35], exec, s[34:35]
	s_cbranch_execz .LBB4_1333
; %bb.1332:                             ;   in Loop: Header=BB4_357 Depth=4
	v_ffbh_u32_e32 v55, v4
	v_min_u32_e32 v55, 32, v55
	v_subrev_u32_e32 v42, 29, v55
	v_lshlrev_b64 v[42:43], v42, v[0:1]
	v_bfe_u32 v2, v14, 26, 5
	v_sub_u32_e32 v0, 30, v55
	v_and_b32_e32 v55, 3, v42
	v_cmp_eq_u32_e32 vcc, 0, v2
	v_cndmask_b32_e32 v0, v2, v0, vcc
	v_cndmask_b32_e32 v2, v4, v55, vcc
	v_and_b32_e32 v4, 0x80000000, v14
	v_lshl_add_u32 v0, v0, 23, v4
	v_lshl_or_b32 v0, v2, 21, v0
	v_add_u32_e32 v2, 0x38000000, v0
                                        ; implicit-def: $vgpr4
.LBB4_1333:                             ;   in Loop: Header=BB4_357 Depth=4
	s_andn2_saveexec_b64 s[34:35], s[34:35]
; %bb.1334:                             ;   in Loop: Header=BB4_357 Depth=4
	v_cmp_lt_i32_e32 vcc, -1, v14
	v_mov_b32_e32 v0, 0xff800000
	v_cndmask_b32_e32 v0, v0, v47, vcc
	v_cmp_eq_u32_e32 vcc, 0, v4
	v_mov_b32_e32 v2, 0x7f800001
	v_cndmask_b32_e32 v2, v2, v0, vcc
; %bb.1335:                             ;   in Loop: Header=BB4_357 Depth=4
	s_or_b64 exec, exec, s[34:35]
.LBB4_1336:                             ;   in Loop: Header=BB4_357 Depth=4
	s_or_b64 exec, exec, s[30:31]
.LBB4_1337:                             ;   in Loop: Header=BB4_357 Depth=4
	s_or_b64 exec, exec, s[28:29]
	v_cmp_lt_u32_e32 vcc, s57, v10
	s_and_saveexec_b64 s[28:29], vcc
	s_cbranch_execz .LBB4_1345
; %bb.1338:                             ;   in Loop: Header=BB4_357 Depth=4
	v_lshrrev_b32_e32 v0, 24, v10
	v_cmp_ne_u32_e32 vcc, s81, v0
	v_bfrev_b32_e32 v1, 1
	s_and_saveexec_b64 s[30:31], vcc
	s_cbranch_execz .LBB4_1344
; %bb.1339:                             ;   in Loop: Header=BB4_357 Depth=4
	v_and_b32_e32 v1, 0x7c000000, v10
	v_bfe_u32 v4, v10, 24, 2
	v_cmp_ne_u32_e32 vcc, s82, v1
                                        ; implicit-def: $vgpr1
	s_and_saveexec_b64 s[34:35], vcc
	s_xor_b64 s[34:35], exec, s[34:35]
	s_cbranch_execz .LBB4_1341
; %bb.1340:                             ;   in Loop: Header=BB4_357 Depth=4
	v_ffbh_u32_e32 v1, v4
	v_min_u32_e32 v42, 32, v1
	v_subrev_u32_e32 v1, 29, v42
	v_lshlrev_b64 v[0:1], v1, v[0:1]
	v_bfe_u32 v55, v10, 26, 5
	v_sub_u32_e32 v1, 30, v42
	v_and_b32_e32 v0, 3, v0
	v_cmp_eq_u32_e32 vcc, 0, v55
	v_cndmask_b32_e32 v1, v55, v1, vcc
	v_cndmask_b32_e32 v0, v4, v0, vcc
	v_and_b32_e32 v4, 0x80000000, v10
	v_lshl_add_u32 v1, v1, 23, v4
	v_lshl_or_b32 v0, v0, 21, v1
	v_add_u32_e32 v1, 0x38000000, v0
                                        ; implicit-def: $vgpr4
.LBB4_1341:                             ;   in Loop: Header=BB4_357 Depth=4
	s_andn2_saveexec_b64 s[34:35], s[34:35]
; %bb.1342:                             ;   in Loop: Header=BB4_357 Depth=4
	v_cmp_lt_i32_e32 vcc, -1, v10
	v_mov_b32_e32 v0, 0xff800000
	v_cndmask_b32_e32 v0, v0, v47, vcc
	v_cmp_eq_u32_e32 vcc, 0, v4
	v_mov_b32_e32 v1, 0x7f800001
	v_cndmask_b32_e32 v1, v1, v0, vcc
; %bb.1343:                             ;   in Loop: Header=BB4_357 Depth=4
	s_or_b64 exec, exec, s[34:35]
.LBB4_1344:                             ;   in Loop: Header=BB4_357 Depth=4
	s_or_b64 exec, exec, s[30:31]
.LBB4_1345:                             ;   in Loop: Header=BB4_357 Depth=4
	s_or_b64 exec, exec, s[28:29]
	v_mul_f32_e32 v0, v2, v1
	v_and_b32_e32 v1, 0x7f800000, v0
	v_mov_b32_e32 v2, v61
	v_cmp_ne_u64_e32 vcc, s[62:63], v[1:2]
	v_and_b32_e32 v60, 0x7fffff, v0
                                        ; implicit-def: $vgpr55
	s_and_saveexec_b64 s[28:29], vcc
	s_xor_b64 s[30:31], exec, s[28:29]
	s_cbranch_execz .LBB4_1359
; %bb.1346:                             ;   in Loop: Header=BB4_357 Depth=4
	v_and_b32_e32 v1, 0x7fffffff, v0
	v_mov_b32_e32 v2, v61
	v_cmp_gt_u64_e32 vcc, s[78:79], v[1:2]
	v_and_b32_sdwa v42, v0, s81 dst_sel:DWORD dst_unused:UNUSED_PAD src0_sel:BYTE_3 src1_sel:DWORD
                                        ; implicit-def: $vgpr55
	s_and_saveexec_b64 s[28:29], vcc
	s_xor_b64 s[34:35], exec, s[28:29]
	s_cbranch_execz .LBB4_1356
; %bb.1347:                             ;   in Loop: Header=BB4_357 Depth=4
	v_mov_b32_e32 v55, 0
	v_cmp_ne_u32_e32 vcc, 0, v0
	s_and_saveexec_b64 s[36:37], vcc
	s_cbranch_execz .LBB4_1355
; %bb.1348:                             ;   in Loop: Header=BB4_357 Depth=4
	v_bfe_u32 v4, v0, 23, 8
	v_cmp_gt_u32_e64 s[28:29], s47, v4
	v_sub_u32_e32 v0, 0x71, v4
	v_cmp_eq_u32_e32 vcc, 0, v4
	v_cndmask_b32_e64 v0, 0, v0, s[28:29]
	v_mov_b32_e32 v2, 0x70
	v_cndmask_b32_e32 v55, v0, v2, vcc
	v_or_b32_e32 v1, 0x800000, v60
	v_add_u32_e32 v0, 21, v55
	v_cndmask_b32_e32 v60, v1, v60, vcc
	v_lshlrev_b64 v[0:1], v0, -1
	v_add_u32_e32 v2, 20, v55
	v_lshlrev_b64 v[56:57], v2, 1
	v_bfi_b32 v1, v1, 0, 0
	v_bfi_b32 v0, v0, 0, v60
	v_cmp_eq_u64_e64 s[28:29], v[0:1], v[56:57]
	v_lshrrev_b64 v[0:1], v55, v[60:61]
	v_mov_b32_e32 v2, v1
	v_mov_b32_e32 v1, v0
	s_and_saveexec_b64 s[38:39], s[28:29]
; %bb.1349:                             ;   in Loop: Header=BB4_357 Depth=4
	v_bfe_u32 v1, v0, 21, 1
	v_add_co_u32_e64 v1, s[28:29], v0, v1
	v_add_co_u32_e64 v1, s[28:29], -1, v1
; %bb.1350:                             ;   in Loop: Header=BB4_357 Depth=4
	s_or_b64 exec, exec, s[38:39]
	v_add_u32_e32 v2, 0xffffff81, v4
	v_mov_b32_e32 v4, 0xffffff82
	v_cndmask_b32_e32 v2, v2, v4, vcc
	v_lshrrev_b32_e32 v4, 23, v0
	v_add3_u32 v55, v55, v2, v4
	v_add_u32_e32 v4, 14, v55
	v_and_b32_e32 v1, 0x1fffff, v1
	v_add_u32_e32 v60, v1, v0
	v_cmp_ne_u32_e32 vcc, 0, v4
                                        ; implicit-def: $vgpr0_vgpr1
                                        ; implicit-def: $vgpr2
	s_and_saveexec_b64 s[28:29], vcc
	s_xor_b64 s[28:29], exec, s[28:29]
; %bb.1351:                             ;   in Loop: Header=BB4_357 Depth=4
	v_cmp_lt_u64_e32 vcc, s[88:89], v[60:61]
	v_add_u32_e32 v0, 15, v55
	v_cndmask_b32_e32 v2, v4, v0, vcc
	v_cndmask_b32_e64 v0, 0, 1, vcc
	v_lshrrev_b64 v[0:1], v0, v[60:61]
; %bb.1352:                             ;   in Loop: Header=BB4_357 Depth=4
	s_andn2_saveexec_b64 s[28:29], s[28:29]
; %bb.1353:                             ;   in Loop: Header=BB4_357 Depth=4
	v_mov_b32_e32 v0, v60
	v_bfe_u32 v2, v60, 23, 1
	v_mov_b32_e32 v1, v61
; %bb.1354:                             ;   in Loop: Header=BB4_357 Depth=4
	s_or_b64 exec, exec, s[28:29]
	v_lshrrev_b64 v[0:1], 21, v[0:1]
	v_cmp_gt_i32_e32 vcc, 32, v2
	v_cndmask_b32_e32 v1, 0, v1, vcc
	v_cndmask_b32_e32 v0, 3, v0, vcc
	v_cmp_eq_u64_e64 s[28:29], 0, v[0:1]
	v_min_i32_e32 v1, 31, v2
	v_lshlrev_b32_e32 v1, 2, v1
	v_cmp_eq_u32_e32 vcc, 0, v2
	v_and_b32_e32 v1, 0xfc, v1
	v_and_or_b32 v0, v0, 3, v1
	s_and_b64 s[28:29], vcc, s[28:29]
	v_cndmask_b32_e64 v0, v0, 0, s[28:29]
	v_or_b32_e32 v55, v0, v42
.LBB4_1355:                             ;   in Loop: Header=BB4_357 Depth=4
	s_or_b64 exec, exec, s[36:37]
                                        ; implicit-def: $vgpr42
.LBB4_1356:                             ;   in Loop: Header=BB4_357 Depth=4
	s_andn2_saveexec_b64 s[28:29], s[34:35]
; %bb.1357:                             ;   in Loop: Header=BB4_357 Depth=4
	v_or_b32_e32 v55, 0x7b, v42
; %bb.1358:                             ;   in Loop: Header=BB4_357 Depth=4
	s_or_b64 exec, exec, s[28:29]
                                        ; implicit-def: $vgpr0
.LBB4_1359:                             ;   in Loop: Header=BB4_357 Depth=4
	s_andn2_saveexec_b64 s[28:29], s[30:31]
	s_cbranch_execz .LBB4_1365
; %bb.1360:                             ;   in Loop: Header=BB4_357 Depth=4
	v_cmp_ne_u64_e32 vcc, 0, v[60:61]
                                        ; implicit-def: $vgpr55
	s_and_saveexec_b64 s[30:31], vcc
	s_xor_b64 vcc, exec, s[30:31]
; %bb.1361:                             ;   in Loop: Header=BB4_357 Depth=4
	v_or_b32_sdwa v55, v0, s44 dst_sel:DWORD dst_unused:UNUSED_PAD src0_sel:BYTE_3 src1_sel:DWORD
                                        ; implicit-def: $vgpr0
; %bb.1362:                             ;   in Loop: Header=BB4_357 Depth=4
	s_andn2_saveexec_b64 s[30:31], vcc
; %bb.1363:                             ;   in Loop: Header=BB4_357 Depth=4
	v_cmp_lt_i32_e32 vcc, -1, v0
	v_bfrev_b32_e32 v0, 0.5
	v_mov_b32_e32 v1, 0x7c
	v_cndmask_b32_e32 v55, v0, v1, vcc
; %bb.1364:                             ;   in Loop: Header=BB4_357 Depth=4
	s_or_b64 exec, exec, s[30:31]
.LBB4_1365:                             ;   in Loop: Header=BB4_357 Depth=4
	s_or_b64 exec, exec, s[28:29]
	v_mov_b32_e32 v60, v15
	v_cmp_ne_u16_sdwa vcc, v15, v61 src0_sel:BYTE_0 src1_sel:DWORD
	v_mov_b32_e32 v1, 0
	v_mov_b32_e32 v0, 0
	s_and_saveexec_b64 s[28:29], vcc
	s_cbranch_execz .LBB4_1373
; %bb.1366:                             ;   in Loop: Header=BB4_357 Depth=4
	v_cmp_ne_u16_sdwa vcc, v15, s81 src0_sel:BYTE_0 src1_sel:DWORD
	v_bfrev_b32_e32 v0, 1
	s_and_saveexec_b64 s[30:31], vcc
	s_cbranch_execz .LBB4_1372
; %bb.1367:                             ;   in Loop: Header=BB4_357 Depth=4
	v_and_b32_e32 v0, 0x7c, v15
	v_and_b32_e32 v2, 3, v15
	v_cmp_ne_u32_e32 vcc, s71, v0
                                        ; implicit-def: $vgpr0
	s_and_saveexec_b64 s[34:35], vcc
	s_xor_b64 s[34:35], exec, s[34:35]
	s_cbranch_execz .LBB4_1369
; %bb.1368:                             ;   in Loop: Header=BB4_357 Depth=4
	v_ffbh_u32_e32 v4, v2
	v_min_u32_e32 v4, 32, v4
	v_bfe_u32 v0, v15, 2, 5
	v_subrev_u32_e32 v42, 29, v4
	v_lshlrev_b64 v[42:43], v42, v[60:61]
	v_sub_u32_e32 v4, 30, v4
	v_cmp_eq_u32_e32 vcc, 0, v0
	v_cndmask_b32_e32 v0, v0, v4, vcc
	v_lshlrev_b32_e32 v4, 24, v15
	v_and_b32_e32 v42, 3, v42
	v_and_b32_e32 v4, 0x80000000, v4
	v_cndmask_b32_e32 v2, v2, v42, vcc
	v_lshl_add_u32 v0, v0, 23, v4
	v_lshl_or_b32 v0, v2, 21, v0
	v_add_u32_e32 v0, 0x38000000, v0
                                        ; implicit-def: $vgpr2
.LBB4_1369:                             ;   in Loop: Header=BB4_357 Depth=4
	s_andn2_saveexec_b64 s[34:35], s[34:35]
; %bb.1370:                             ;   in Loop: Header=BB4_357 Depth=4
	v_mov_b32_e32 v0, -1
	v_cmp_gt_i16_sdwa vcc, sext(v15), v0 src0_sel:BYTE_0 src1_sel:DWORD
	v_mov_b32_e32 v0, 0xff800000
	v_cndmask_b32_e32 v0, v0, v47, vcc
	v_cmp_eq_u32_e32 vcc, 0, v2
	v_mov_b32_e32 v2, 0x7f800001
	v_cndmask_b32_e32 v0, v2, v0, vcc
; %bb.1371:                             ;   in Loop: Header=BB4_357 Depth=4
	s_or_b64 exec, exec, s[34:35]
.LBB4_1372:                             ;   in Loop: Header=BB4_357 Depth=4
	s_or_b64 exec, exec, s[30:31]
.LBB4_1373:                             ;   in Loop: Header=BB4_357 Depth=4
	s_or_b64 exec, exec, s[28:29]
	v_cmp_ne_u16_sdwa vcc, v11, v61 src0_sel:BYTE_0 src1_sel:DWORD
	s_and_saveexec_b64 s[28:29], vcc
	s_cbranch_execz .LBB4_1381
; %bb.1374:                             ;   in Loop: Header=BB4_357 Depth=4
	v_cmp_ne_u16_sdwa vcc, v11, s81 src0_sel:BYTE_0 src1_sel:DWORD
	v_bfrev_b32_e32 v1, 1
	s_and_saveexec_b64 s[30:31], vcc
	s_cbranch_execz .LBB4_1380
; %bb.1375:                             ;   in Loop: Header=BB4_357 Depth=4
	v_and_b32_e32 v1, 0x7c, v11
	v_and_b32_e32 v2, 3, v11
	v_cmp_ne_u32_e32 vcc, s71, v1
                                        ; implicit-def: $vgpr1
	s_and_saveexec_b64 s[34:35], vcc
	s_xor_b64 s[34:35], exec, s[34:35]
	s_cbranch_execz .LBB4_1377
; %bb.1376:                             ;   in Loop: Header=BB4_357 Depth=4
	v_ffbh_u32_e32 v4, v2
	v_min_u32_e32 v4, 32, v4
	v_mov_b32_e32 v42, v11
	v_mov_b32_e32 v43, v61
	v_bfe_u32 v1, v11, 2, 5
	v_subrev_u32_e32 v45, 29, v4
	v_lshlrev_b64 v[42:43], v45, v[42:43]
	v_sub_u32_e32 v4, 30, v4
	v_cmp_eq_u32_e32 vcc, 0, v1
	v_cndmask_b32_e32 v1, v1, v4, vcc
	v_lshlrev_b32_e32 v4, 24, v11
	v_and_b32_e32 v42, 3, v42
	v_and_b32_e32 v4, 0x80000000, v4
	v_cndmask_b32_e32 v2, v2, v42, vcc
	v_lshl_add_u32 v1, v1, 23, v4
	v_lshl_or_b32 v1, v2, 21, v1
	v_add_u32_e32 v1, 0x38000000, v1
                                        ; implicit-def: $vgpr2
.LBB4_1377:                             ;   in Loop: Header=BB4_357 Depth=4
	s_andn2_saveexec_b64 s[34:35], s[34:35]
; %bb.1378:                             ;   in Loop: Header=BB4_357 Depth=4
	v_mov_b32_e32 v1, -1
	v_cmp_gt_i16_sdwa vcc, sext(v11), v1 src0_sel:BYTE_0 src1_sel:DWORD
	v_mov_b32_e32 v1, 0xff800000
	v_cndmask_b32_e32 v1, v1, v47, vcc
	v_cmp_eq_u32_e32 vcc, 0, v2
	v_mov_b32_e32 v2, 0x7f800001
	v_cndmask_b32_e32 v1, v2, v1, vcc
; %bb.1379:                             ;   in Loop: Header=BB4_357 Depth=4
	s_or_b64 exec, exec, s[34:35]
.LBB4_1380:                             ;   in Loop: Header=BB4_357 Depth=4
	s_or_b64 exec, exec, s[30:31]
.LBB4_1381:                             ;   in Loop: Header=BB4_357 Depth=4
	s_or_b64 exec, exec, s[28:29]
	v_mul_f32_e32 v2, v0, v1
	v_and_b32_e32 v42, 0x7f800000, v2
	v_mov_b32_e32 v43, v61
	v_cmp_ne_u64_e32 vcc, s[62:63], v[42:43]
	v_and_b32_e32 v0, 0x7fffff, v2
	v_mov_b32_e32 v1, v61
                                        ; implicit-def: $vgpr42
	s_and_saveexec_b64 s[28:29], vcc
	s_xor_b64 s[30:31], exec, s[28:29]
	s_cbranch_execz .LBB4_1395
; %bb.1382:                             ;   in Loop: Header=BB4_357 Depth=4
	v_and_b32_e32 v42, 0x7fffffff, v2
	v_mov_b32_e32 v43, v61
	v_cmp_gt_u64_e32 vcc, s[78:79], v[42:43]
	v_and_b32_sdwa v43, v2, s81 dst_sel:DWORD dst_unused:UNUSED_PAD src0_sel:BYTE_3 src1_sel:DWORD
                                        ; implicit-def: $vgpr42
	s_and_saveexec_b64 s[28:29], vcc
	s_xor_b64 s[34:35], exec, s[28:29]
	s_cbranch_execz .LBB4_1392
; %bb.1383:                             ;   in Loop: Header=BB4_357 Depth=4
	v_mov_b32_e32 v42, 0
	v_cmp_ne_u32_e32 vcc, 0, v2
	s_and_saveexec_b64 s[36:37], vcc
	s_cbranch_execz .LBB4_1391
; %bb.1384:                             ;   in Loop: Header=BB4_357 Depth=4
	v_bfe_u32 v4, v2, 23, 8
	v_cmp_gt_u32_e64 s[28:29], s47, v4
	v_sub_u32_e32 v2, 0x71, v4
	v_cmp_eq_u32_e32 vcc, 0, v4
	v_cndmask_b32_e64 v2, 0, v2, s[28:29]
	v_mov_b32_e32 v42, 0x70
	v_cndmask_b32_e32 v42, v2, v42, vcc
	v_add_u32_e32 v2, 21, v42
	v_or_b32_e32 v45, 0x800000, v0
	v_lshlrev_b64 v[56:57], v2, -1
	v_cndmask_b32_e32 v0, v45, v0, vcc
	v_add_u32_e32 v2, 20, v42
	v_bfi_b32 v56, v56, 0, v0
	v_lshlrev_b64 v[58:59], v2, 1
	v_lshrrev_b64 v[0:1], v42, v[0:1]
	v_bfi_b32 v57, v57, 0, 0
	v_cmp_eq_u64_e64 s[28:29], v[56:57], v[58:59]
	v_mov_b32_e32 v2, v1
	v_mov_b32_e32 v1, v0
	s_and_saveexec_b64 s[38:39], s[28:29]
; %bb.1385:                             ;   in Loop: Header=BB4_357 Depth=4
	v_bfe_u32 v1, v0, 21, 1
	v_add_co_u32_e64 v1, s[28:29], v0, v1
	v_add_co_u32_e64 v1, s[28:29], -1, v1
; %bb.1386:                             ;   in Loop: Header=BB4_357 Depth=4
	s_or_b64 exec, exec, s[38:39]
	v_add_u32_e32 v2, 0xffffff81, v4
	v_mov_b32_e32 v4, 0xffffff82
	v_cndmask_b32_e32 v2, v2, v4, vcc
	v_lshrrev_b32_e32 v4, 23, v0
	v_add3_u32 v42, v42, v2, v4
	v_add_u32_e32 v4, 14, v42
	v_and_b32_e32 v1, 0x1fffff, v1
	v_add_u32_e32 v0, v1, v0
	v_mov_b32_e32 v1, v61
	v_cmp_ne_u32_e32 vcc, 0, v4
                                        ; implicit-def: $vgpr2
	s_and_saveexec_b64 s[28:29], vcc
	s_xor_b64 s[28:29], exec, s[28:29]
; %bb.1387:                             ;   in Loop: Header=BB4_357 Depth=4
	v_cmp_lt_u64_e32 vcc, s[88:89], v[0:1]
	v_add_u32_e32 v2, 15, v42
	v_cndmask_b32_e32 v2, v4, v2, vcc
	v_cndmask_b32_e64 v4, 0, 1, vcc
	v_lshrrev_b64 v[0:1], v4, v[0:1]
; %bb.1388:                             ;   in Loop: Header=BB4_357 Depth=4
	s_or_saveexec_b64 s[28:29], s[28:29]
	buffer_load_dword v59, off, s[0:3], s33 offset:192 ; 4-byte Folded Reload
	s_xor_b64 exec, exec, s[28:29]
; %bb.1389:                             ;   in Loop: Header=BB4_357 Depth=4
	v_bfe_u32 v2, v0, 23, 1
; %bb.1390:                             ;   in Loop: Header=BB4_357 Depth=4
	s_or_b64 exec, exec, s[28:29]
	v_lshrrev_b64 v[0:1], 21, v[0:1]
	v_cmp_gt_i32_e32 vcc, 32, v2
	v_cndmask_b32_e32 v1, 0, v1, vcc
	v_cndmask_b32_e32 v0, 3, v0, vcc
	v_cmp_eq_u64_e64 s[28:29], 0, v[0:1]
	v_min_i32_e32 v1, 31, v2
	v_lshlrev_b32_e32 v1, 2, v1
	v_cmp_eq_u32_e32 vcc, 0, v2
	v_and_b32_e32 v1, 0xfc, v1
	v_and_or_b32 v0, v0, 3, v1
	s_and_b64 s[28:29], vcc, s[28:29]
	v_cndmask_b32_e64 v0, v0, 0, s[28:29]
	v_or_b32_e32 v42, v0, v43
.LBB4_1391:                             ;   in Loop: Header=BB4_357 Depth=4
	s_or_b64 exec, exec, s[36:37]
                                        ; implicit-def: $vgpr43
.LBB4_1392:                             ;   in Loop: Header=BB4_357 Depth=4
	s_andn2_saveexec_b64 s[28:29], s[34:35]
; %bb.1393:                             ;   in Loop: Header=BB4_357 Depth=4
	v_or_b32_e32 v42, 0x7b, v43
; %bb.1394:                             ;   in Loop: Header=BB4_357 Depth=4
	s_or_b64 exec, exec, s[28:29]
                                        ; implicit-def: $vgpr2
                                        ; implicit-def: $vgpr0_vgpr1
.LBB4_1395:                             ;   in Loop: Header=BB4_357 Depth=4
	s_andn2_saveexec_b64 s[28:29], s[30:31]
	s_cbranch_execz .LBB4_1401
; %bb.1396:                             ;   in Loop: Header=BB4_357 Depth=4
	v_cmp_ne_u64_e32 vcc, 0, v[0:1]
                                        ; implicit-def: $vgpr42
	s_and_saveexec_b64 s[30:31], vcc
	s_xor_b64 vcc, exec, s[30:31]
; %bb.1397:                             ;   in Loop: Header=BB4_357 Depth=4
	v_or_b32_sdwa v42, v2, s44 dst_sel:DWORD dst_unused:UNUSED_PAD src0_sel:BYTE_3 src1_sel:DWORD
                                        ; implicit-def: $vgpr2
; %bb.1398:                             ;   in Loop: Header=BB4_357 Depth=4
	s_andn2_saveexec_b64 s[30:31], vcc
; %bb.1399:                             ;   in Loop: Header=BB4_357 Depth=4
	v_cmp_lt_i32_e32 vcc, -1, v2
	v_bfrev_b32_e32 v0, 0.5
	v_mov_b32_e32 v1, 0x7c
	v_cndmask_b32_e32 v42, v0, v1, vcc
; %bb.1400:                             ;   in Loop: Header=BB4_357 Depth=4
	s_or_b64 exec, exec, s[30:31]
.LBB4_1401:                             ;   in Loop: Header=BB4_357 Depth=4
	s_or_b64 exec, exec, s[28:29]
	v_lshrrev_b16_e32 v0, 8, v60
	v_cmp_ne_u16_e32 vcc, 0, v0
	v_mov_b32_e32 v2, 0
	v_mov_b32_e32 v1, 0
	s_and_saveexec_b64 s[28:29], vcc
	s_cbranch_execz .LBB4_1409
; %bb.1402:                             ;   in Loop: Header=BB4_357 Depth=4
	v_cmp_ne_u16_e32 vcc, s81, v0
	v_bfrev_b32_e32 v1, 1
	s_and_saveexec_b64 s[30:31], vcc
	s_cbranch_execz .LBB4_1408
; %bb.1403:                             ;   in Loop: Header=BB4_357 Depth=4
	v_and_b32_e32 v1, 0x7c, v0
	v_and_b32_e32 v4, 3, v0
	v_cmp_ne_u32_e32 vcc, s71, v1
                                        ; implicit-def: $vgpr1
	s_and_saveexec_b64 s[34:35], vcc
	s_xor_b64 s[34:35], exec, s[34:35]
	s_cbranch_execz .LBB4_1405
; %bb.1404:                             ;   in Loop: Header=BB4_357 Depth=4
	v_ffbh_u32_e32 v45, v4
	v_min_u32_e32 v45, 32, v45
	v_mov_b32_e32 v1, v61
	v_subrev_u32_e32 v56, 29, v45
	v_bfe_u32 v43, v0, 2, 5
	v_lshlrev_b64 v[0:1], v56, v[0:1]
	v_cmp_eq_u32_e32 vcc, 0, v43
	v_and_b32_e32 v0, 3, v0
	v_sub_u32_e32 v1, 30, v45
	v_cndmask_b32_e32 v0, v4, v0, vcc
	v_lshlrev_b32_e32 v4, 16, v60
	v_cndmask_b32_e32 v1, v43, v1, vcc
	v_and_b32_e32 v4, 0x80000000, v4
	v_lshl_add_u32 v1, v1, 23, v4
	v_lshl_or_b32 v0, v0, 21, v1
	v_add_u32_e32 v1, 0x38000000, v0
                                        ; implicit-def: $vgpr4
.LBB4_1405:                             ;   in Loop: Header=BB4_357 Depth=4
	s_andn2_saveexec_b64 s[34:35], s[34:35]
; %bb.1406:                             ;   in Loop: Header=BB4_357 Depth=4
	v_cmp_lt_i16_e32 vcc, -1, v60
	v_mov_b32_e32 v0, 0xff800000
	v_cndmask_b32_e32 v0, v0, v47, vcc
	v_cmp_eq_u32_e32 vcc, 0, v4
	v_mov_b32_e32 v1, 0x7f800001
	v_cndmask_b32_e32 v1, v1, v0, vcc
; %bb.1407:                             ;   in Loop: Header=BB4_357 Depth=4
	s_or_b64 exec, exec, s[34:35]
.LBB4_1408:                             ;   in Loop: Header=BB4_357 Depth=4
	s_or_b64 exec, exec, s[30:31]
.LBB4_1409:                             ;   in Loop: Header=BB4_357 Depth=4
	s_or_b64 exec, exec, s[28:29]
	v_lshrrev_b16_e32 v60, 8, v11
	v_cmp_ne_u16_e32 vcc, 0, v60
	s_and_saveexec_b64 s[28:29], vcc
	s_cbranch_execz .LBB4_1417
; %bb.1410:                             ;   in Loop: Header=BB4_357 Depth=4
	v_cmp_ne_u16_e32 vcc, s81, v60
	v_bfrev_b32_e32 v2, 1
	s_and_saveexec_b64 s[30:31], vcc
	s_cbranch_execz .LBB4_1416
; %bb.1411:                             ;   in Loop: Header=BB4_357 Depth=4
	v_and_b32_e32 v2, 0x7c, v60
	v_and_b32_e32 v0, 3, v60
	v_cmp_ne_u32_e32 vcc, s71, v2
                                        ; implicit-def: $vgpr2
	s_and_saveexec_b64 s[34:35], vcc
	s_xor_b64 s[34:35], exec, s[34:35]
	s_cbranch_execz .LBB4_1413
; %bb.1412:                             ;   in Loop: Header=BB4_357 Depth=4
	v_ffbh_u32_e32 v4, v0
	v_min_u32_e32 v4, 32, v4
	v_bfe_u32 v2, v60, 2, 5
	v_subrev_u32_e32 v43, 29, v4
	v_lshlrev_b64 v[56:57], v43, v[60:61]
	v_sub_u32_e32 v4, 30, v4
	v_cmp_eq_u32_e32 vcc, 0, v2
	v_cndmask_b32_e32 v2, v2, v4, vcc
	v_lshlrev_b32_e32 v4, 16, v11
	v_and_b32_e32 v43, 3, v56
	v_and_b32_e32 v4, 0x80000000, v4
	v_cndmask_b32_e32 v0, v0, v43, vcc
	v_lshl_add_u32 v2, v2, 23, v4
	v_lshl_or_b32 v0, v0, 21, v2
	v_add_u32_e32 v2, 0x38000000, v0
                                        ; implicit-def: $vgpr0
.LBB4_1413:                             ;   in Loop: Header=BB4_357 Depth=4
	s_andn2_saveexec_b64 s[34:35], s[34:35]
; %bb.1414:                             ;   in Loop: Header=BB4_357 Depth=4
	v_cmp_lt_i16_e32 vcc, -1, v11
	v_mov_b32_e32 v2, 0xff800000
	v_cndmask_b32_e32 v2, v2, v47, vcc
	v_cmp_eq_u32_e32 vcc, 0, v0
	v_mov_b32_e32 v0, 0x7f800001
	v_cndmask_b32_e32 v2, v0, v2, vcc
; %bb.1415:                             ;   in Loop: Header=BB4_357 Depth=4
	s_or_b64 exec, exec, s[34:35]
.LBB4_1416:                             ;   in Loop: Header=BB4_357 Depth=4
	s_or_b64 exec, exec, s[30:31]
.LBB4_1417:                             ;   in Loop: Header=BB4_357 Depth=4
	s_or_b64 exec, exec, s[28:29]
	v_mul_f32_e32 v0, v1, v2
	v_and_b32_e32 v1, 0x7f800000, v0
	v_mov_b32_e32 v2, v61
	v_cmp_ne_u64_e32 vcc, s[62:63], v[1:2]
	v_and_b32_e32 v60, 0x7fffff, v0
                                        ; implicit-def: $vgpr43
	s_and_saveexec_b64 s[28:29], vcc
	s_xor_b64 s[30:31], exec, s[28:29]
	s_cbranch_execz .LBB4_1431
; %bb.1418:                             ;   in Loop: Header=BB4_357 Depth=4
	v_and_b32_e32 v1, 0x7fffffff, v0
	v_mov_b32_e32 v2, v61
	v_cmp_gt_u64_e32 vcc, s[78:79], v[1:2]
	v_and_b32_sdwa v45, v0, s81 dst_sel:DWORD dst_unused:UNUSED_PAD src0_sel:BYTE_3 src1_sel:DWORD
                                        ; implicit-def: $vgpr43
	s_and_saveexec_b64 s[28:29], vcc
	s_xor_b64 s[34:35], exec, s[28:29]
	s_cbranch_execz .LBB4_1428
; %bb.1419:                             ;   in Loop: Header=BB4_357 Depth=4
	v_mov_b32_e32 v43, 0
	v_cmp_ne_u32_e32 vcc, 0, v0
	s_and_saveexec_b64 s[36:37], vcc
	s_cbranch_execz .LBB4_1427
; %bb.1420:                             ;   in Loop: Header=BB4_357 Depth=4
	v_bfe_u32 v4, v0, 23, 8
	v_cmp_gt_u32_e64 s[28:29], s47, v4
	v_sub_u32_e32 v0, 0x71, v4
	v_cmp_eq_u32_e32 vcc, 0, v4
	v_cndmask_b32_e64 v0, 0, v0, s[28:29]
	v_mov_b32_e32 v2, 0x70
	v_cndmask_b32_e32 v43, v0, v2, vcc
	v_or_b32_e32 v1, 0x800000, v60
	v_add_u32_e32 v0, 21, v43
	v_cndmask_b32_e32 v60, v1, v60, vcc
	v_lshlrev_b64 v[0:1], v0, -1
	v_add_u32_e32 v2, 20, v43
	v_lshlrev_b64 v[56:57], v2, 1
	v_bfi_b32 v1, v1, 0, 0
	v_bfi_b32 v0, v0, 0, v60
	v_cmp_eq_u64_e64 s[28:29], v[0:1], v[56:57]
	v_lshrrev_b64 v[0:1], v43, v[60:61]
	v_mov_b32_e32 v2, v1
	v_mov_b32_e32 v1, v0
	s_and_saveexec_b64 s[38:39], s[28:29]
; %bb.1421:                             ;   in Loop: Header=BB4_357 Depth=4
	v_bfe_u32 v1, v0, 21, 1
	v_add_co_u32_e64 v1, s[28:29], v0, v1
	v_add_co_u32_e64 v1, s[28:29], -1, v1
; %bb.1422:                             ;   in Loop: Header=BB4_357 Depth=4
	s_or_b64 exec, exec, s[38:39]
	v_add_u32_e32 v2, 0xffffff81, v4
	v_mov_b32_e32 v4, 0xffffff82
	v_cndmask_b32_e32 v2, v2, v4, vcc
	v_lshrrev_b32_e32 v4, 23, v0
	v_add3_u32 v43, v43, v2, v4
	v_add_u32_e32 v4, 14, v43
	v_and_b32_e32 v1, 0x1fffff, v1
	v_add_u32_e32 v60, v1, v0
	v_cmp_ne_u32_e32 vcc, 0, v4
                                        ; implicit-def: $vgpr0_vgpr1
                                        ; implicit-def: $vgpr2
	s_and_saveexec_b64 s[28:29], vcc
	s_xor_b64 s[28:29], exec, s[28:29]
; %bb.1423:                             ;   in Loop: Header=BB4_357 Depth=4
	v_cmp_lt_u64_e32 vcc, s[88:89], v[60:61]
	v_add_u32_e32 v0, 15, v43
	v_cndmask_b32_e32 v2, v4, v0, vcc
	v_cndmask_b32_e64 v0, 0, 1, vcc
	v_lshrrev_b64 v[0:1], v0, v[60:61]
; %bb.1424:                             ;   in Loop: Header=BB4_357 Depth=4
	s_andn2_saveexec_b64 s[28:29], s[28:29]
; %bb.1425:                             ;   in Loop: Header=BB4_357 Depth=4
	v_mov_b32_e32 v0, v60
	v_bfe_u32 v2, v60, 23, 1
	v_mov_b32_e32 v1, v61
; %bb.1426:                             ;   in Loop: Header=BB4_357 Depth=4
	s_or_b64 exec, exec, s[28:29]
	v_lshrrev_b64 v[0:1], 21, v[0:1]
	v_cmp_gt_i32_e32 vcc, 32, v2
	v_cndmask_b32_e32 v1, 0, v1, vcc
	v_cndmask_b32_e32 v0, 3, v0, vcc
	v_cmp_eq_u64_e64 s[28:29], 0, v[0:1]
	v_min_i32_e32 v1, 31, v2
	v_lshlrev_b32_e32 v1, 2, v1
	v_cmp_eq_u32_e32 vcc, 0, v2
	v_and_b32_e32 v1, 0xfc, v1
	v_and_or_b32 v0, v0, 3, v1
	s_and_b64 s[28:29], vcc, s[28:29]
	v_cndmask_b32_e64 v0, v0, 0, s[28:29]
	v_or_b32_e32 v43, v0, v45
.LBB4_1427:                             ;   in Loop: Header=BB4_357 Depth=4
	s_or_b64 exec, exec, s[36:37]
                                        ; implicit-def: $vgpr45
.LBB4_1428:                             ;   in Loop: Header=BB4_357 Depth=4
	s_andn2_saveexec_b64 s[28:29], s[34:35]
; %bb.1429:                             ;   in Loop: Header=BB4_357 Depth=4
	v_or_b32_e32 v43, 0x7b, v45
; %bb.1430:                             ;   in Loop: Header=BB4_357 Depth=4
	s_or_b64 exec, exec, s[28:29]
                                        ; implicit-def: $vgpr0
.LBB4_1431:                             ;   in Loop: Header=BB4_357 Depth=4
	s_andn2_saveexec_b64 s[28:29], s[30:31]
	s_cbranch_execz .LBB4_1437
; %bb.1432:                             ;   in Loop: Header=BB4_357 Depth=4
	v_cmp_ne_u64_e32 vcc, 0, v[60:61]
                                        ; implicit-def: $vgpr43
	s_and_saveexec_b64 s[30:31], vcc
	s_xor_b64 vcc, exec, s[30:31]
; %bb.1433:                             ;   in Loop: Header=BB4_357 Depth=4
	v_or_b32_sdwa v43, v0, s44 dst_sel:DWORD dst_unused:UNUSED_PAD src0_sel:BYTE_3 src1_sel:DWORD
                                        ; implicit-def: $vgpr0
; %bb.1434:                             ;   in Loop: Header=BB4_357 Depth=4
	s_andn2_saveexec_b64 s[30:31], vcc
; %bb.1435:                             ;   in Loop: Header=BB4_357 Depth=4
	v_cmp_lt_i32_e32 vcc, -1, v0
	v_bfrev_b32_e32 v0, 0.5
	v_mov_b32_e32 v1, 0x7c
	v_cndmask_b32_e32 v43, v0, v1, vcc
; %bb.1436:                             ;   in Loop: Header=BB4_357 Depth=4
	s_or_b64 exec, exec, s[30:31]
.LBB4_1437:                             ;   in Loop: Header=BB4_357 Depth=4
	s_or_b64 exec, exec, s[28:29]
	v_lshrrev_b32_e32 v0, 16, v15
	v_cmp_ne_u16_sdwa vcc, v0, v61 src0_sel:BYTE_0 src1_sel:DWORD
	v_mov_b32_e32 v1, 0
	v_mov_b32_e32 v2, 0
	s_and_saveexec_b64 s[28:29], vcc
	s_cbranch_execz .LBB4_1445
; %bb.1438:                             ;   in Loop: Header=BB4_357 Depth=4
	v_cmp_ne_u16_sdwa vcc, v0, s81 src0_sel:BYTE_0 src1_sel:DWORD
	v_bfrev_b32_e32 v2, 1
	s_and_saveexec_b64 s[30:31], vcc
	s_cbranch_execz .LBB4_1444
; %bb.1439:                             ;   in Loop: Header=BB4_357 Depth=4
	v_and_b32_e32 v2, 0x7c0000, v15
	v_bfe_u32 v4, v15, 16, 2
	v_cmp_ne_u32_e32 vcc, s45, v2
                                        ; implicit-def: $vgpr2
	s_and_saveexec_b64 s[34:35], vcc
	s_xor_b64 s[34:35], exec, s[34:35]
	s_cbranch_execz .LBB4_1441
; %bb.1440:                             ;   in Loop: Header=BB4_357 Depth=4
	v_ffbh_u32_e32 v45, v4
	v_min_u32_e32 v45, 32, v45
	v_subrev_u32_e32 v56, 29, v45
	v_lshlrev_b64 v[56:57], v56, v[0:1]
	v_bfe_u32 v2, v15, 18, 5
	v_sub_u32_e32 v0, 30, v45
	v_and_b32_e32 v45, 3, v56
	v_cmp_eq_u32_e32 vcc, 0, v2
	v_cndmask_b32_e32 v0, v2, v0, vcc
	v_cndmask_b32_e32 v2, v4, v45, vcc
	v_lshlrev_b32_e32 v4, 8, v15
	v_and_b32_e32 v4, 0x80000000, v4
	v_lshl_add_u32 v0, v0, 23, v4
	v_lshl_or_b32 v0, v2, 21, v0
	v_add_u32_e32 v2, 0x38000000, v0
                                        ; implicit-def: $vgpr4
                                        ; implicit-def: $vgpr0
.LBB4_1441:                             ;   in Loop: Header=BB4_357 Depth=4
	s_andn2_saveexec_b64 s[34:35], s[34:35]
; %bb.1442:                             ;   in Loop: Header=BB4_357 Depth=4
	v_mov_b32_e32 v2, -1
	v_cmp_gt_i16_sdwa vcc, sext(v0), v2 src0_sel:BYTE_0 src1_sel:DWORD
	v_mov_b32_e32 v0, 0xff800000
	v_cndmask_b32_e32 v0, v0, v47, vcc
	v_cmp_eq_u32_e32 vcc, 0, v4
	v_mov_b32_e32 v2, 0x7f800001
	v_cndmask_b32_e32 v2, v2, v0, vcc
; %bb.1443:                             ;   in Loop: Header=BB4_357 Depth=4
	s_or_b64 exec, exec, s[34:35]
.LBB4_1444:                             ;   in Loop: Header=BB4_357 Depth=4
	s_or_b64 exec, exec, s[30:31]
.LBB4_1445:                             ;   in Loop: Header=BB4_357 Depth=4
	s_or_b64 exec, exec, s[28:29]
	v_lshrrev_b32_e32 v0, 16, v11
	v_cmp_ne_u16_sdwa vcc, v0, v61 src0_sel:BYTE_0 src1_sel:DWORD
	s_and_saveexec_b64 s[28:29], vcc
	s_cbranch_execz .LBB4_1453
; %bb.1446:                             ;   in Loop: Header=BB4_357 Depth=4
	v_cmp_ne_u16_sdwa vcc, v0, s81 src0_sel:BYTE_0 src1_sel:DWORD
	v_bfrev_b32_e32 v1, 1
	s_and_saveexec_b64 s[30:31], vcc
	s_cbranch_execz .LBB4_1452
; %bb.1447:                             ;   in Loop: Header=BB4_357 Depth=4
	v_and_b32_e32 v1, 0x7c0000, v11
	v_bfe_u32 v4, v11, 16, 2
	v_cmp_ne_u32_e32 vcc, s45, v1
                                        ; implicit-def: $vgpr1
	s_and_saveexec_b64 s[34:35], vcc
	s_xor_b64 s[34:35], exec, s[34:35]
	s_cbranch_execz .LBB4_1449
; %bb.1448:                             ;   in Loop: Header=BB4_357 Depth=4
	v_ffbh_u32_e32 v1, v4
	v_min_u32_e32 v56, 32, v1
	v_subrev_u32_e32 v1, 29, v56
	v_lshlrev_b64 v[0:1], v1, v[0:1]
	v_bfe_u32 v45, v11, 18, 5
	v_and_b32_e32 v0, 3, v0
	v_cmp_eq_u32_e32 vcc, 0, v45
	v_sub_u32_e32 v1, 30, v56
	v_cndmask_b32_e32 v0, v4, v0, vcc
	v_lshlrev_b32_e32 v4, 8, v11
	v_cndmask_b32_e32 v1, v45, v1, vcc
	v_and_b32_e32 v4, 0x80000000, v4
	v_lshl_add_u32 v1, v1, 23, v4
	v_lshl_or_b32 v0, v0, 21, v1
	v_add_u32_e32 v1, 0x38000000, v0
                                        ; implicit-def: $vgpr4
                                        ; implicit-def: $vgpr0
.LBB4_1449:                             ;   in Loop: Header=BB4_357 Depth=4
	s_andn2_saveexec_b64 s[34:35], s[34:35]
; %bb.1450:                             ;   in Loop: Header=BB4_357 Depth=4
	v_mov_b32_e32 v1, -1
	v_cmp_gt_i16_sdwa vcc, sext(v0), v1 src0_sel:BYTE_0 src1_sel:DWORD
	v_mov_b32_e32 v0, 0xff800000
	v_cndmask_b32_e32 v0, v0, v47, vcc
	v_cmp_eq_u32_e32 vcc, 0, v4
	v_mov_b32_e32 v1, 0x7f800001
	v_cndmask_b32_e32 v1, v1, v0, vcc
; %bb.1451:                             ;   in Loop: Header=BB4_357 Depth=4
	s_or_b64 exec, exec, s[34:35]
.LBB4_1452:                             ;   in Loop: Header=BB4_357 Depth=4
	s_or_b64 exec, exec, s[30:31]
.LBB4_1453:                             ;   in Loop: Header=BB4_357 Depth=4
	s_or_b64 exec, exec, s[28:29]
	v_mul_f32_e32 v0, v2, v1
	v_and_b32_e32 v1, 0x7f800000, v0
	v_mov_b32_e32 v2, v61
	v_cmp_ne_u64_e32 vcc, s[62:63], v[1:2]
	v_and_b32_e32 v60, 0x7fffff, v0
                                        ; implicit-def: $vgpr45
	s_and_saveexec_b64 s[28:29], vcc
	s_xor_b64 s[30:31], exec, s[28:29]
	s_cbranch_execz .LBB4_1467
; %bb.1454:                             ;   in Loop: Header=BB4_357 Depth=4
	v_and_b32_e32 v1, 0x7fffffff, v0
	v_mov_b32_e32 v2, v61
	v_cmp_gt_u64_e32 vcc, s[78:79], v[1:2]
	v_and_b32_sdwa v4, v0, s81 dst_sel:DWORD dst_unused:UNUSED_PAD src0_sel:BYTE_3 src1_sel:DWORD
                                        ; implicit-def: $vgpr45
	s_and_saveexec_b64 s[28:29], vcc
	s_xor_b64 s[34:35], exec, s[28:29]
	s_cbranch_execz .LBB4_1464
; %bb.1455:                             ;   in Loop: Header=BB4_357 Depth=4
	v_mov_b32_e32 v45, 0
	v_cmp_ne_u32_e32 vcc, 0, v0
	s_and_saveexec_b64 s[36:37], vcc
	s_cbranch_execz .LBB4_1463
; %bb.1456:                             ;   in Loop: Header=BB4_357 Depth=4
	v_bfe_u32 v45, v0, 23, 8
	v_cmp_gt_u32_e64 s[28:29], s47, v45
	v_sub_u32_e32 v0, 0x71, v45
	v_cmp_eq_u32_e32 vcc, 0, v45
	v_cndmask_b32_e64 v0, 0, v0, s[28:29]
	v_mov_b32_e32 v2, 0x70
	v_cndmask_b32_e32 v56, v0, v2, vcc
	v_or_b32_e32 v1, 0x800000, v60
	v_add_u32_e32 v0, 21, v56
	v_cndmask_b32_e32 v60, v1, v60, vcc
	v_lshlrev_b64 v[0:1], v0, -1
	v_add_u32_e32 v2, 20, v56
	v_lshlrev_b64 v[57:58], v2, 1
	v_bfi_b32 v1, v1, 0, 0
	v_bfi_b32 v0, v0, 0, v60
	v_cmp_eq_u64_e64 s[28:29], v[0:1], v[57:58]
	v_lshrrev_b64 v[0:1], v56, v[60:61]
	v_mov_b32_e32 v2, v1
	v_mov_b32_e32 v1, v0
	s_and_saveexec_b64 s[38:39], s[28:29]
; %bb.1457:                             ;   in Loop: Header=BB4_357 Depth=4
	v_bfe_u32 v1, v0, 21, 1
	v_add_co_u32_e64 v1, s[28:29], v0, v1
	v_add_co_u32_e64 v1, s[28:29], -1, v1
; %bb.1458:                             ;   in Loop: Header=BB4_357 Depth=4
	s_or_b64 exec, exec, s[38:39]
	v_add_u32_e32 v2, 0xffffff81, v45
	v_mov_b32_e32 v45, 0xffffff82
	v_cndmask_b32_e32 v2, v2, v45, vcc
	v_lshrrev_b32_e32 v45, 23, v0
	v_add3_u32 v56, v56, v2, v45
	v_add_u32_e32 v45, 14, v56
	v_and_b32_e32 v1, 0x1fffff, v1
	v_add_u32_e32 v60, v1, v0
	v_cmp_ne_u32_e32 vcc, 0, v45
                                        ; implicit-def: $vgpr0_vgpr1
                                        ; implicit-def: $vgpr2
	s_and_saveexec_b64 s[28:29], vcc
	s_xor_b64 s[28:29], exec, s[28:29]
; %bb.1459:                             ;   in Loop: Header=BB4_357 Depth=4
	v_cmp_lt_u64_e32 vcc, s[88:89], v[60:61]
	v_add_u32_e32 v0, 15, v56
	v_cndmask_b32_e32 v2, v45, v0, vcc
	v_cndmask_b32_e64 v0, 0, 1, vcc
	v_lshrrev_b64 v[0:1], v0, v[60:61]
; %bb.1460:                             ;   in Loop: Header=BB4_357 Depth=4
	s_andn2_saveexec_b64 s[28:29], s[28:29]
; %bb.1461:                             ;   in Loop: Header=BB4_357 Depth=4
	v_mov_b32_e32 v0, v60
	v_bfe_u32 v2, v60, 23, 1
	v_mov_b32_e32 v1, v61
; %bb.1462:                             ;   in Loop: Header=BB4_357 Depth=4
	s_or_b64 exec, exec, s[28:29]
	v_lshrrev_b64 v[0:1], 21, v[0:1]
	v_cmp_gt_i32_e32 vcc, 32, v2
	v_cndmask_b32_e32 v1, 0, v1, vcc
	v_cndmask_b32_e32 v0, 3, v0, vcc
	v_cmp_eq_u64_e64 s[28:29], 0, v[0:1]
	v_min_i32_e32 v1, 31, v2
	v_lshlrev_b32_e32 v1, 2, v1
	v_cmp_eq_u32_e32 vcc, 0, v2
	v_and_b32_e32 v1, 0xfc, v1
	v_and_or_b32 v0, v0, 3, v1
	s_and_b64 s[28:29], vcc, s[28:29]
	v_cndmask_b32_e64 v0, v0, 0, s[28:29]
	v_or_b32_e32 v45, v0, v4
.LBB4_1463:                             ;   in Loop: Header=BB4_357 Depth=4
	s_or_b64 exec, exec, s[36:37]
                                        ; implicit-def: $vgpr4
.LBB4_1464:                             ;   in Loop: Header=BB4_357 Depth=4
	s_andn2_saveexec_b64 s[28:29], s[34:35]
; %bb.1465:                             ;   in Loop: Header=BB4_357 Depth=4
	v_or_b32_e32 v45, 0x7b, v4
; %bb.1466:                             ;   in Loop: Header=BB4_357 Depth=4
	s_or_b64 exec, exec, s[28:29]
                                        ; implicit-def: $vgpr0
.LBB4_1467:                             ;   in Loop: Header=BB4_357 Depth=4
	s_andn2_saveexec_b64 s[28:29], s[30:31]
	s_cbranch_execz .LBB4_1473
; %bb.1468:                             ;   in Loop: Header=BB4_357 Depth=4
	v_cmp_ne_u64_e32 vcc, 0, v[60:61]
                                        ; implicit-def: $vgpr45
	s_and_saveexec_b64 s[30:31], vcc
	s_xor_b64 vcc, exec, s[30:31]
; %bb.1469:                             ;   in Loop: Header=BB4_357 Depth=4
	v_or_b32_sdwa v45, v0, s44 dst_sel:DWORD dst_unused:UNUSED_PAD src0_sel:BYTE_3 src1_sel:DWORD
                                        ; implicit-def: $vgpr0
; %bb.1470:                             ;   in Loop: Header=BB4_357 Depth=4
	s_andn2_saveexec_b64 s[30:31], vcc
; %bb.1471:                             ;   in Loop: Header=BB4_357 Depth=4
	v_cmp_lt_i32_e32 vcc, -1, v0
	v_bfrev_b32_e32 v0, 0.5
	v_mov_b32_e32 v1, 0x7c
	v_cndmask_b32_e32 v45, v0, v1, vcc
; %bb.1472:                             ;   in Loop: Header=BB4_357 Depth=4
	s_or_b64 exec, exec, s[30:31]
.LBB4_1473:                             ;   in Loop: Header=BB4_357 Depth=4
	s_or_b64 exec, exec, s[28:29]
	v_cmp_lt_u64_e32 vcc, s[56:57], v[14:15]
	v_mov_b32_e32 v1, 0
	v_mov_b32_e32 v2, 0
	s_and_saveexec_b64 s[28:29], vcc
	s_cbranch_execz .LBB4_1481
; %bb.1474:                             ;   in Loop: Header=BB4_357 Depth=4
	v_lshrrev_b32_e32 v0, 24, v15
	v_cmp_ne_u32_e32 vcc, s81, v0
	v_bfrev_b32_e32 v2, 1
	s_and_saveexec_b64 s[30:31], vcc
	s_cbranch_execz .LBB4_1480
; %bb.1475:                             ;   in Loop: Header=BB4_357 Depth=4
	v_and_b32_e32 v2, 0x7c000000, v15
	v_bfe_u32 v4, v15, 24, 2
	v_cmp_ne_u32_e32 vcc, s82, v2
                                        ; implicit-def: $vgpr2
	s_and_saveexec_b64 s[34:35], vcc
	s_xor_b64 s[34:35], exec, s[34:35]
	s_cbranch_execz .LBB4_1477
; %bb.1476:                             ;   in Loop: Header=BB4_357 Depth=4
	v_ffbh_u32_e32 v14, v4
	v_min_u32_e32 v14, 32, v14
	v_subrev_u32_e32 v56, 29, v14
	v_lshlrev_b64 v[56:57], v56, v[0:1]
	v_bfe_u32 v2, v15, 26, 5
	v_sub_u32_e32 v0, 30, v14
	v_and_b32_e32 v14, 3, v56
	v_cmp_eq_u32_e32 vcc, 0, v2
	v_cndmask_b32_e32 v0, v2, v0, vcc
	v_cndmask_b32_e32 v2, v4, v14, vcc
	v_and_b32_e32 v4, 0x80000000, v15
	v_lshl_add_u32 v0, v0, 23, v4
	v_lshl_or_b32 v0, v2, 21, v0
	v_add_u32_e32 v2, 0x38000000, v0
                                        ; implicit-def: $vgpr4
                                        ; implicit-def: $vgpr14_vgpr15
.LBB4_1477:                             ;   in Loop: Header=BB4_357 Depth=4
	s_andn2_saveexec_b64 s[34:35], s[34:35]
; %bb.1478:                             ;   in Loop: Header=BB4_357 Depth=4
	v_cmp_lt_i64_e32 vcc, -1, v[14:15]
	v_mov_b32_e32 v0, 0xff800000
	v_cndmask_b32_e32 v0, v0, v47, vcc
	v_cmp_eq_u32_e32 vcc, 0, v4
	v_mov_b32_e32 v2, 0x7f800001
	v_cndmask_b32_e32 v2, v2, v0, vcc
; %bb.1479:                             ;   in Loop: Header=BB4_357 Depth=4
	s_or_b64 exec, exec, s[34:35]
.LBB4_1480:                             ;   in Loop: Header=BB4_357 Depth=4
	s_or_b64 exec, exec, s[30:31]
.LBB4_1481:                             ;   in Loop: Header=BB4_357 Depth=4
	s_or_b64 exec, exec, s[28:29]
	v_cmp_lt_u64_e32 vcc, s[56:57], v[10:11]
	s_and_saveexec_b64 s[28:29], vcc
	s_cbranch_execz .LBB4_1489
; %bb.1482:                             ;   in Loop: Header=BB4_357 Depth=4
	v_lshrrev_b32_e32 v0, 24, v11
	v_cmp_ne_u32_e32 vcc, s81, v0
	v_bfrev_b32_e32 v1, 1
	s_and_saveexec_b64 s[30:31], vcc
	s_cbranch_execz .LBB4_1488
; %bb.1483:                             ;   in Loop: Header=BB4_357 Depth=4
	v_and_b32_e32 v1, 0x7c000000, v11
	v_bfe_u32 v4, v11, 24, 2
	v_cmp_ne_u32_e32 vcc, s82, v1
                                        ; implicit-def: $vgpr1
	s_and_saveexec_b64 s[34:35], vcc
	s_xor_b64 s[34:35], exec, s[34:35]
	s_cbranch_execz .LBB4_1485
; %bb.1484:                             ;   in Loop: Header=BB4_357 Depth=4
	v_ffbh_u32_e32 v1, v4
	v_min_u32_e32 v14, 32, v1
	v_subrev_u32_e32 v1, 29, v14
	v_lshlrev_b64 v[0:1], v1, v[0:1]
	v_bfe_u32 v10, v11, 26, 5
	v_sub_u32_e32 v1, 30, v14
	v_and_b32_e32 v0, 3, v0
	v_cmp_eq_u32_e32 vcc, 0, v10
	v_cndmask_b32_e32 v1, v10, v1, vcc
	v_cndmask_b32_e32 v0, v4, v0, vcc
	v_and_b32_e32 v4, 0x80000000, v11
	v_lshl_add_u32 v1, v1, 23, v4
	v_lshl_or_b32 v0, v0, 21, v1
	v_add_u32_e32 v1, 0x38000000, v0
                                        ; implicit-def: $vgpr4
                                        ; implicit-def: $vgpr10_vgpr11
.LBB4_1485:                             ;   in Loop: Header=BB4_357 Depth=4
	s_andn2_saveexec_b64 s[34:35], s[34:35]
; %bb.1486:                             ;   in Loop: Header=BB4_357 Depth=4
	v_cmp_lt_i64_e32 vcc, -1, v[10:11]
	v_mov_b32_e32 v0, 0xff800000
	v_cndmask_b32_e32 v0, v0, v47, vcc
	v_cmp_eq_u32_e32 vcc, 0, v4
	v_mov_b32_e32 v1, 0x7f800001
	v_cndmask_b32_e32 v1, v1, v0, vcc
; %bb.1487:                             ;   in Loop: Header=BB4_357 Depth=4
	s_or_b64 exec, exec, s[34:35]
.LBB4_1488:                             ;   in Loop: Header=BB4_357 Depth=4
	s_or_b64 exec, exec, s[30:31]
.LBB4_1489:                             ;   in Loop: Header=BB4_357 Depth=4
	s_or_b64 exec, exec, s[28:29]
	v_mul_f32_e32 v1, v2, v1
	v_and_b32_e32 v10, 0x7f800000, v1
	v_mov_b32_e32 v11, v61
	v_cmp_ne_u64_e32 vcc, s[62:63], v[10:11]
	v_and_b32_e32 v60, 0x7fffff, v1
                                        ; implicit-def: $vgpr0
	s_and_saveexec_b64 s[28:29], vcc
	s_xor_b64 s[30:31], exec, s[28:29]
	s_cbranch_execz .LBB4_1503
; %bb.1490:                             ;   in Loop: Header=BB4_357 Depth=4
	v_and_b32_e32 v10, 0x7fffffff, v1
	v_mov_b32_e32 v11, v61
	v_cmp_gt_u64_e32 vcc, s[78:79], v[10:11]
	v_and_b32_sdwa v4, v1, s81 dst_sel:DWORD dst_unused:UNUSED_PAD src0_sel:BYTE_3 src1_sel:DWORD
                                        ; implicit-def: $vgpr0
	s_and_saveexec_b64 s[28:29], vcc
	s_xor_b64 s[34:35], exec, s[28:29]
	s_cbranch_execz .LBB4_1500
; %bb.1491:                             ;   in Loop: Header=BB4_357 Depth=4
	v_mov_b32_e32 v0, 0
	v_cmp_ne_u32_e32 vcc, 0, v1
	s_and_saveexec_b64 s[36:37], vcc
	s_cbranch_execz .LBB4_1499
; %bb.1492:                             ;   in Loop: Header=BB4_357 Depth=4
	v_bfe_u32 v10, v1, 23, 8
	v_cmp_gt_u32_e64 s[28:29], s47, v10
	v_sub_u32_e32 v0, 0x71, v10
	v_cmp_eq_u32_e32 vcc, 0, v10
	v_cndmask_b32_e64 v0, 0, v0, s[28:29]
	v_mov_b32_e32 v2, 0x70
	v_cndmask_b32_e32 v11, v0, v2, vcc
	v_or_b32_e32 v1, 0x800000, v60
	v_add_u32_e32 v0, 21, v11
	v_cndmask_b32_e32 v60, v1, v60, vcc
	v_lshlrev_b64 v[0:1], v0, -1
	v_add_u32_e32 v2, 20, v11
	v_lshlrev_b64 v[14:15], v2, 1
	v_bfi_b32 v1, v1, 0, 0
	v_bfi_b32 v0, v0, 0, v60
	v_cmp_eq_u64_e64 s[28:29], v[0:1], v[14:15]
	v_lshrrev_b64 v[0:1], v11, v[60:61]
	v_mov_b32_e32 v2, v1
	v_mov_b32_e32 v1, v0
	s_and_saveexec_b64 s[38:39], s[28:29]
; %bb.1493:                             ;   in Loop: Header=BB4_357 Depth=4
	v_bfe_u32 v1, v0, 21, 1
	v_add_co_u32_e64 v1, s[28:29], v0, v1
	v_add_co_u32_e64 v1, s[28:29], -1, v1
; %bb.1494:                             ;   in Loop: Header=BB4_357 Depth=4
	s_or_b64 exec, exec, s[38:39]
	v_add_u32_e32 v2, 0xffffff81, v10
	v_mov_b32_e32 v10, 0xffffff82
	v_cndmask_b32_e32 v2, v2, v10, vcc
	v_lshrrev_b32_e32 v10, 23, v0
	v_add3_u32 v11, v11, v2, v10
	v_add_u32_e32 v10, 14, v11
	v_and_b32_e32 v1, 0x1fffff, v1
	v_add_u32_e32 v60, v1, v0
	v_cmp_ne_u32_e32 vcc, 0, v10
                                        ; implicit-def: $vgpr0_vgpr1
                                        ; implicit-def: $vgpr2
	s_and_saveexec_b64 s[28:29], vcc
	s_xor_b64 s[28:29], exec, s[28:29]
; %bb.1495:                             ;   in Loop: Header=BB4_357 Depth=4
	v_cmp_lt_u64_e32 vcc, s[88:89], v[60:61]
	v_add_u32_e32 v0, 15, v11
	v_cndmask_b32_e32 v2, v10, v0, vcc
	v_cndmask_b32_e64 v0, 0, 1, vcc
	v_lshrrev_b64 v[0:1], v0, v[60:61]
; %bb.1496:                             ;   in Loop: Header=BB4_357 Depth=4
	s_andn2_saveexec_b64 s[28:29], s[28:29]
; %bb.1497:                             ;   in Loop: Header=BB4_357 Depth=4
	v_mov_b32_e32 v0, v60
	v_bfe_u32 v2, v60, 23, 1
	v_mov_b32_e32 v1, v61
; %bb.1498:                             ;   in Loop: Header=BB4_357 Depth=4
	s_or_b64 exec, exec, s[28:29]
	v_lshrrev_b64 v[0:1], 21, v[0:1]
	v_cmp_gt_i32_e32 vcc, 32, v2
	v_cndmask_b32_e32 v1, 0, v1, vcc
	v_cndmask_b32_e32 v0, 3, v0, vcc
	v_cmp_eq_u64_e64 s[28:29], 0, v[0:1]
	v_min_i32_e32 v1, 31, v2
	v_lshlrev_b32_e32 v1, 2, v1
	v_cmp_eq_u32_e32 vcc, 0, v2
	v_and_b32_e32 v1, 0xfc, v1
	v_and_or_b32 v0, v0, 3, v1
	s_and_b64 s[28:29], vcc, s[28:29]
	v_cndmask_b32_e64 v0, v0, 0, s[28:29]
	v_or_b32_e32 v0, v0, v4
.LBB4_1499:                             ;   in Loop: Header=BB4_357 Depth=4
	s_or_b64 exec, exec, s[36:37]
                                        ; implicit-def: $vgpr4
.LBB4_1500:                             ;   in Loop: Header=BB4_357 Depth=4
	s_andn2_saveexec_b64 s[28:29], s[34:35]
; %bb.1501:                             ;   in Loop: Header=BB4_357 Depth=4
	v_or_b32_e32 v0, 0x7b, v4
; %bb.1502:                             ;   in Loop: Header=BB4_357 Depth=4
	s_or_b64 exec, exec, s[28:29]
                                        ; implicit-def: $vgpr1
.LBB4_1503:                             ;   in Loop: Header=BB4_357 Depth=4
	s_andn2_saveexec_b64 s[28:29], s[30:31]
	s_cbranch_execz .LBB4_356
; %bb.1504:                             ;   in Loop: Header=BB4_357 Depth=4
	v_cmp_ne_u64_e32 vcc, 0, v[60:61]
                                        ; implicit-def: $vgpr0
	s_and_saveexec_b64 s[30:31], vcc
	s_xor_b64 vcc, exec, s[30:31]
; %bb.1505:                             ;   in Loop: Header=BB4_357 Depth=4
	v_or_b32_sdwa v0, v1, s44 dst_sel:DWORD dst_unused:UNUSED_PAD src0_sel:BYTE_3 src1_sel:DWORD
                                        ; implicit-def: $vgpr1
; %bb.1506:                             ;   in Loop: Header=BB4_357 Depth=4
	s_andn2_saveexec_b64 s[30:31], vcc
	s_cbranch_execz .LBB4_355
; %bb.1507:                             ;   in Loop: Header=BB4_357 Depth=4
	v_cmp_lt_i32_e32 vcc, -1, v1
	v_bfrev_b32_e32 v0, 0.5
	v_mov_b32_e32 v1, 0x7c
	v_cndmask_b32_e32 v0, v0, v1, vcc
	s_branch .LBB4_355
.LBB4_1508:                             ;   in Loop: Header=BB4_274 Depth=3
	s_or_b64 exec, exec, s[42:43]
	buffer_load_dword v1, off, s[0:3], s33 offset:208 ; 4-byte Folded Reload
.LBB4_1509:                             ;   in Loop: Header=BB4_274 Depth=3
	s_or_b64 exec, exec, s[40:41]
	buffer_load_dword v0, off, s[0:3], s33 offset:116 ; 4-byte Folded Reload
	s_waitcnt vmcnt(1)
	v_lshlrev_b32_e32 v4, 11, v1
	s_mov_b64 s[28:29], 0
	v_mov_b32_e32 v8, 0
                                        ; implicit-def: $vgpr9
                                        ; implicit-def: $vgpr2
	s_waitcnt vmcnt(0)
	v_cmp_ne_u32_e32 vcc, v0, v4
                                        ; implicit-def: $vgpr0
	s_and_saveexec_b64 s[30:31], vcc
	s_cbranch_execz .LBB4_2061
; %bb.1510:                             ;   in Loop: Header=BB4_274 Depth=3
	buffer_load_dword v0, off, s[0:3], s33 offset:116 ; 4-byte Folded Reload
	buffer_load_dword v2, off, s[0:3], s33 offset:228 ; 4-byte Folded Reload
	s_waitcnt vmcnt(1)
	v_sub_u32_e32 v1, v0, v4
	v_lshlrev_b32_e32 v0, 6, v3
	s_waitcnt vmcnt(0)
	v_sub_u32_e32 v0, v2, v0
	v_ashrrev_i32_e32 v2, 31, v0
	v_lshrrev_b32_e32 v2, 26, v2
	v_add_u32_e32 v2, v0, v2
	v_ashrrev_i32_e32 v3, 6, v2
	v_and_b32_e32 v2, 0xffffffc0, v2
	v_sub_u32_e32 v5, v0, v2
	v_ashrrev_i32_e32 v2, 31, v1
	v_lshrrev_b32_e32 v2, 22, v2
	v_add_u32_e32 v2, v1, v2
	v_and_b32_e32 v6, 0xfffffc00, v2
	v_lshlrev_b32_e32 v0, 4, v5
	v_sub_u32_e32 v22, v1, v6
	v_lshl_add_u32 v0, v3, 10, v0
	v_ashrrev_i32_e32 v7, 10, v2
	v_cmp_lt_i32_e32 vcc, 15, v22
	v_sub_u32_e32 v23, v1, v0
	v_addc_co_u32_e64 v1, s[28:29], 0, v7, vcc
	v_sub_u32_e32 v7, v1, v3
	v_cmp_lt_i32_e64 s[28:29], 15, v23
	s_and_saveexec_b64 s[34:35], s[28:29]
	s_cbranch_execz .LBB4_2058
; %bb.1511:                             ;   in Loop: Header=BB4_274 Depth=3
	v_add_u32_e32 v2, v0, v4
	s_trap 2
	ds_read_b64 v[0:1], v0
	buffer_load_dword v8, off, s[0:3], s33 offset:152 ; 4-byte Folded Reload
	buffer_load_dword v9, off, s[0:3], s33 offset:156 ; 4-byte Folded Reload
	v_ashrrev_i32_e32 v3, 31, v2
	s_mov_b64 s[36:37], 0
	s_waitcnt vmcnt(1)
	v_add_co_u32_e64 v16, s[28:29], v2, v8
	s_waitcnt vmcnt(0)
	v_addc_co_u32_e64 v17, s[28:29], v3, v9, s[28:29]
	s_waitcnt lgkmcnt(0)
	v_add_co_u32_e64 v18, s[28:29], v0, v2
	v_addc_co_u32_e64 v19, s[28:29], v1, v3, s[28:29]
	buffer_load_dword v0, off, s[0:3], s33 offset:200 ; 4-byte Folded Reload
	buffer_load_dword v1, off, s[0:3], s33 offset:204 ; 4-byte Folded Reload
	s_waitcnt vmcnt(1)
	v_add_co_u32_e64 v20, s[28:29], v2, v0
	s_waitcnt vmcnt(0)
	v_addc_co_u32_e64 v21, s[28:29], v3, v1, s[28:29]
	s_branch .LBB4_1514
.LBB4_1512:                             ;   in Loop: Header=BB4_1514 Depth=4
	s_or_b64 exec, exec, s[42:43]
.LBB4_1513:                             ;   in Loop: Header=BB4_1514 Depth=4
	s_or_b64 exec, exec, s[40:41]
	v_lshl_or_b32 v1, v29, 8, v28
	v_lshlrev_b32_e32 v2, 16, v30
	v_lshlrev_b32_e32 v8, 24, v8
	v_or3_b32 v11, v1, v2, v8
	v_lshl_or_b32 v1, v25, 8, v24
	v_lshlrev_b32_e32 v2, 16, v26
	v_lshlrev_b32_e32 v8, 24, v27
	v_or3_b32 v10, v1, v2, v8
	;; [unrolled: 4-line block ×3, first 2 shown]
	v_lshlrev_b32_e32 v0, 24, v0
	v_lshlrev_b32_e32 v1, 16, v35
	v_lshl_or_b32 v2, v34, 8, v3
	v_or3_b32 v13, v2, v1, v0
	buffer_load_dword v0, off, s[0:3], s33 offset:68 ; 4-byte Folded Reload
	s_waitcnt vmcnt(0)
	v_add_co_u32_e64 v16, s[28:29], v16, v0
	v_addc_co_u32_e64 v17, s[28:29], 0, v17, s[28:29]
	v_add_co_u32_e64 v18, s[28:29], v18, v0
	v_addc_co_u32_e64 v19, s[28:29], 0, v19, s[28:29]
	global_store_dwordx4 v[20:21], v[10:13], off glc slc
	v_add_co_u32_e64 v20, s[28:29], v20, v0
	v_sub_u32_e32 v23, v23, v0
	buffer_load_dword v0, off, s[0:3], s33 offset:64 ; 4-byte Folded Reload
	v_addc_co_u32_e64 v21, s[28:29], 0, v21, s[28:29]
	v_cmp_gt_i32_e64 s[28:29], 16, v23
	s_or_b64 s[36:37], s[28:29], s[36:37]
	s_waitcnt vmcnt(0)
	v_sub_u32_e32 v7, v7, v0
	s_andn2_b64 exec, exec, s[36:37]
	s_cbranch_execz .LBB4_2057
.LBB4_1514:                             ;   Parent Loop BB4_47 Depth=1
                                        ;     Parent Loop BB4_271 Depth=2
                                        ;       Parent Loop BB4_274 Depth=3
                                        ; =>      This Inner Loop Header: Depth=4
	global_load_dwordx4 v[12:15], v[16:17], off glc slc
	global_load_dwordx4 v[8:11], v[18:19], off glc slc
	v_mov_b32_e32 v0, 0
	s_waitcnt vmcnt(1)
	v_cmp_ne_u16_sdwa s[28:29], v12, v61 src0_sel:BYTE_0 src1_sel:DWORD
	s_and_saveexec_b64 s[40:41], s[28:29]
	s_cbranch_execz .LBB4_1522
; %bb.1515:                             ;   in Loop: Header=BB4_1514 Depth=4
	v_cmp_ne_u16_sdwa s[28:29], sext(v12), s70 src0_sel:BYTE_0 src1_sel:DWORD
	v_bfrev_b32_e32 v0, 1
	s_and_saveexec_b64 s[42:43], s[28:29]
	s_cbranch_execz .LBB4_1521
; %bb.1516:                             ;   in Loop: Header=BB4_1514 Depth=4
	v_and_b32_e32 v0, 0x7c, v12
	v_and_b32_e32 v1, 3, v12
	v_cmp_ne_u32_e64 s[28:29], s71, v0
                                        ; implicit-def: $vgpr0
	s_and_saveexec_b64 s[38:39], s[28:29]
	s_xor_b64 s[38:39], exec, s[38:39]
	s_cbranch_execz .LBB4_1518
; %bb.1517:                             ;   in Loop: Header=BB4_1514 Depth=4
	v_ffbh_u32_e32 v2, v1
	v_min_u32_e32 v24, 32, v2
	v_subrev_u32_e32 v2, 29, v24
	v_lshlrev_b64 v[2:3], v2, v[12:13]
	v_bfe_u32 v0, v12, 2, 5
	v_and_b32_e32 v2, 3, v2
	v_cmp_eq_u32_e64 s[28:29], 0, v0
	v_sub_u32_e32 v3, 30, v24
	v_cndmask_b32_e64 v1, v1, v2, s[28:29]
	v_lshlrev_b32_e32 v2, 24, v12
	v_cndmask_b32_e64 v0, v0, v3, s[28:29]
	v_and_b32_e32 v2, 0x80000000, v2
	v_lshl_add_u32 v0, v0, 23, v2
	v_lshl_or_b32 v0, v1, 21, v0
	v_add_u32_e32 v0, 0x38000000, v0
                                        ; implicit-def: $vgpr1
.LBB4_1518:                             ;   in Loop: Header=BB4_1514 Depth=4
	s_andn2_saveexec_b64 s[38:39], s[38:39]
; %bb.1519:                             ;   in Loop: Header=BB4_1514 Depth=4
	v_mov_b32_e32 v0, -1
	v_cmp_gt_i16_sdwa s[28:29], sext(v12), v0 src0_sel:BYTE_0 src1_sel:DWORD
	v_mov_b32_e32 v0, 0xff800000
	v_cndmask_b32_e64 v0, v0, v47, s[28:29]
	v_cmp_eq_u32_e64 s[28:29], 0, v1
	v_mov_b32_e32 v1, 0x7f800001
	v_cndmask_b32_e64 v0, v1, v0, s[28:29]
; %bb.1520:                             ;   in Loop: Header=BB4_1514 Depth=4
	s_or_b64 exec, exec, s[38:39]
.LBB4_1521:                             ;   in Loop: Header=BB4_1514 Depth=4
	s_or_b64 exec, exec, s[42:43]
.LBB4_1522:                             ;   in Loop: Header=BB4_1514 Depth=4
	s_or_b64 exec, exec, s[40:41]
	s_waitcnt vmcnt(0)
	v_cmp_gt_i16_sdwa s[40:41], v8, s44 src0_sel:BYTE_0 src1_sel:DWORD
	s_mov_b64 s[28:29], 0
	s_and_saveexec_b64 s[42:43], s[40:41]
	s_xor_b64 s[40:41], exec, s[42:43]
	s_cbranch_execz .LBB4_2037
; %bb.1523:                             ;   in Loop: Header=BB4_1514 Depth=4
	v_cmp_eq_u16_sdwa s[38:39], v8, s81 src0_sel:BYTE_0 src1_sel:DWORD
	s_mov_b64 s[28:29], -1
	s_and_saveexec_b64 s[42:43], s[38:39]
; %bb.1524:                             ;   in Loop: Header=BB4_1514 Depth=4
	s_xor_b64 s[28:29], exec, -1
; %bb.1525:                             ;   in Loop: Header=BB4_1514 Depth=4
	s_or_b64 exec, exec, s[42:43]
	s_and_b64 s[28:29], s[28:29], exec
	s_or_saveexec_b64 s[40:41], s[40:41]
	v_bfrev_b32_e32 v1, 1
	s_xor_b64 exec, exec, s[40:41]
	s_cbranch_execnz .LBB4_2038
.LBB4_1526:                             ;   in Loop: Header=BB4_1514 Depth=4
	s_or_b64 exec, exec, s[40:41]
	s_and_saveexec_b64 s[38:39], s[28:29]
	s_cbranch_execz .LBB4_1528
.LBB4_1527:                             ;   in Loop: Header=BB4_1514 Depth=4
	v_and_b32_e32 v3, 3, v8
	v_and_b32_e32 v1, 0x7c, v8
	v_cmp_eq_u32_e64 s[28:29], s71, v1
	v_ffbh_u32_e32 v1, v3
	v_min_u32_e32 v25, 32, v1
	v_subrev_u32_e32 v1, 29, v25
	v_bfe_u32 v24, v8, 2, 5
	v_lshlrev_b64 v[1:2], v1, v[8:9]
	v_cmp_eq_u32_e64 s[40:41], 0, v24
	v_sub_u32_e32 v2, 30, v25
	v_cndmask_b32_e64 v2, v24, v2, s[40:41]
	v_lshlrev_b32_e32 v24, 24, v8
	v_and_b32_e32 v1, 3, v1
	v_and_b32_e32 v24, 0x80000000, v24
	v_cndmask_b32_e64 v1, v3, v1, s[40:41]
	v_lshl_add_u32 v2, v2, 23, v24
	v_lshl_or_b32 v1, v1, 21, v2
	v_mov_b32_e32 v2, -1
	v_cmp_gt_i16_sdwa s[42:43], sext(v8), v2 src0_sel:BYTE_0 src1_sel:DWORD
	v_mov_b32_e32 v2, 0xff800000
	v_cmp_eq_u32_e64 s[40:41], 0, v3
	v_cndmask_b32_e64 v2, v2, v47, s[42:43]
	v_mov_b32_e32 v3, 0x7f800001
	v_add_u32_e32 v1, 0x38000000, v1
	v_cndmask_b32_e64 v2, v3, v2, s[40:41]
	v_cndmask_b32_e64 v1, v1, v2, s[28:29]
.LBB4_1528:                             ;   in Loop: Header=BB4_1514 Depth=4
	s_or_b64 exec, exec, s[38:39]
	v_mul_f32_e32 v0, v0, v1
	v_and_b32_e32 v1, 0x7f800000, v0
	v_mov_b32_e32 v2, v61
	v_cmp_ne_u64_e64 s[28:29], s[62:63], v[1:2]
	v_and_b32_e32 v60, 0x7fffff, v0
                                        ; implicit-def: $vgpr24
	s_and_saveexec_b64 s[40:41], s[28:29]
	s_xor_b64 s[42:43], exec, s[40:41]
	s_cbranch_execz .LBB4_1542
; %bb.1529:                             ;   in Loop: Header=BB4_1514 Depth=4
	v_and_b32_e32 v1, 0x7fffffff, v0
	v_mov_b32_e32 v2, v61
	v_cmp_gt_u64_e64 s[28:29], s[78:79], v[1:2]
	v_and_b32_sdwa v3, v0, s81 dst_sel:DWORD dst_unused:UNUSED_PAD src0_sel:BYTE_3 src1_sel:DWORD
                                        ; implicit-def: $vgpr24
	s_and_saveexec_b64 s[40:41], s[28:29]
	s_xor_b64 s[38:39], exec, s[40:41]
	s_cbranch_execz .LBB4_1539
; %bb.1530:                             ;   in Loop: Header=BB4_1514 Depth=4
	v_mov_b32_e32 v24, 0
	v_cmp_ne_u32_e64 s[28:29], 0, v0
	s_and_saveexec_b64 s[48:49], s[28:29]
	s_cbranch_execz .LBB4_1538
; %bb.1531:                             ;   in Loop: Header=BB4_1514 Depth=4
	v_bfe_u32 v24, v0, 23, 8
	v_cmp_gt_u32_e64 s[40:41], s47, v24
	v_sub_u32_e32 v0, 0x71, v24
	v_cmp_eq_u32_e64 s[28:29], 0, v24
	v_cndmask_b32_e64 v0, 0, v0, s[40:41]
	v_mov_b32_e32 v2, 0x70
	v_cndmask_b32_e64 v25, v0, v2, s[28:29]
	v_or_b32_e32 v1, 0x800000, v60
	v_add_u32_e32 v0, 21, v25
	v_cndmask_b32_e64 v60, v1, v60, s[28:29]
	v_lshlrev_b64 v[0:1], v0, -1
	v_add_u32_e32 v2, 20, v25
	v_lshlrev_b64 v[26:27], v2, 1
	v_bfi_b32 v1, v1, 0, 0
	v_bfi_b32 v0, v0, 0, v60
	v_cmp_eq_u64_e64 s[40:41], v[0:1], v[26:27]
	v_lshrrev_b64 v[0:1], v25, v[60:61]
	v_mov_b32_e32 v2, v1
	v_mov_b32_e32 v1, v0
	s_and_saveexec_b64 s[50:51], s[40:41]
; %bb.1532:                             ;   in Loop: Header=BB4_1514 Depth=4
	v_bfe_u32 v1, v0, 21, 1
	v_add_co_u32_e64 v1, s[40:41], v0, v1
	v_add_co_u32_e64 v1, s[40:41], -1, v1
; %bb.1533:                             ;   in Loop: Header=BB4_1514 Depth=4
	s_or_b64 exec, exec, s[50:51]
	v_add_u32_e32 v2, 0xffffff81, v24
	v_mov_b32_e32 v24, 0xffffff82
	v_cndmask_b32_e64 v2, v2, v24, s[28:29]
	v_lshrrev_b32_e32 v24, 23, v0
	v_add3_u32 v25, v25, v2, v24
	v_add_u32_e32 v24, 14, v25
	v_and_b32_e32 v1, 0x1fffff, v1
	v_add_u32_e32 v60, v1, v0
	v_cmp_ne_u32_e64 s[28:29], 0, v24
                                        ; implicit-def: $vgpr0_vgpr1
                                        ; implicit-def: $vgpr2
	s_and_saveexec_b64 s[40:41], s[28:29]
	s_xor_b64 s[40:41], exec, s[40:41]
; %bb.1534:                             ;   in Loop: Header=BB4_1514 Depth=4
	v_cmp_lt_u64_e64 s[28:29], s[88:89], v[60:61]
	v_add_u32_e32 v0, 15, v25
	v_cndmask_b32_e64 v2, v24, v0, s[28:29]
	v_cndmask_b32_e64 v0, 0, 1, s[28:29]
	v_lshrrev_b64 v[0:1], v0, v[60:61]
; %bb.1535:                             ;   in Loop: Header=BB4_1514 Depth=4
	s_andn2_saveexec_b64 s[28:29], s[40:41]
; %bb.1536:                             ;   in Loop: Header=BB4_1514 Depth=4
	v_mov_b32_e32 v0, v60
	v_bfe_u32 v2, v60, 23, 1
	v_mov_b32_e32 v1, v61
; %bb.1537:                             ;   in Loop: Header=BB4_1514 Depth=4
	s_or_b64 exec, exec, s[28:29]
	v_lshrrev_b64 v[0:1], 21, v[0:1]
	v_cmp_gt_i32_e64 s[28:29], 32, v2
	v_cndmask_b32_e64 v1, 0, v1, s[28:29]
	v_cndmask_b32_e64 v0, 3, v0, s[28:29]
	v_cmp_eq_u64_e64 s[40:41], 0, v[0:1]
	v_min_i32_e32 v1, 31, v2
	v_lshlrev_b32_e32 v1, 2, v1
	v_cmp_eq_u32_e64 s[28:29], 0, v2
	v_and_b32_e32 v1, 0xfc, v1
	v_and_or_b32 v0, v0, 3, v1
	s_and_b64 s[28:29], s[28:29], s[40:41]
	v_cndmask_b32_e64 v0, v0, 0, s[28:29]
	v_or_b32_e32 v24, v0, v3
.LBB4_1538:                             ;   in Loop: Header=BB4_1514 Depth=4
	s_or_b64 exec, exec, s[48:49]
                                        ; implicit-def: $vgpr3
.LBB4_1539:                             ;   in Loop: Header=BB4_1514 Depth=4
	s_andn2_saveexec_b64 s[28:29], s[38:39]
; %bb.1540:                             ;   in Loop: Header=BB4_1514 Depth=4
	v_or_b32_e32 v24, 0x7b, v3
; %bb.1541:                             ;   in Loop: Header=BB4_1514 Depth=4
	s_or_b64 exec, exec, s[28:29]
                                        ; implicit-def: $vgpr0
.LBB4_1542:                             ;   in Loop: Header=BB4_1514 Depth=4
	s_andn2_saveexec_b64 s[40:41], s[42:43]
	s_cbranch_execz .LBB4_1548
; %bb.1543:                             ;   in Loop: Header=BB4_1514 Depth=4
	v_cmp_ne_u64_e64 s[28:29], 0, v[60:61]
                                        ; implicit-def: $vgpr24
	s_and_saveexec_b64 s[42:43], s[28:29]
	s_xor_b64 s[28:29], exec, s[42:43]
; %bb.1544:                             ;   in Loop: Header=BB4_1514 Depth=4
	v_or_b32_sdwa v24, v0, s44 dst_sel:DWORD dst_unused:UNUSED_PAD src0_sel:BYTE_3 src1_sel:DWORD
                                        ; implicit-def: $vgpr0
; %bb.1545:                             ;   in Loop: Header=BB4_1514 Depth=4
	s_andn2_saveexec_b64 s[42:43], s[28:29]
; %bb.1546:                             ;   in Loop: Header=BB4_1514 Depth=4
	v_cmp_lt_i32_e64 s[28:29], -1, v0
	v_bfrev_b32_e32 v0, 0.5
	v_mov_b32_e32 v1, 0x7c
	v_cndmask_b32_e64 v24, v0, v1, s[28:29]
; %bb.1547:                             ;   in Loop: Header=BB4_1514 Depth=4
	s_or_b64 exec, exec, s[42:43]
.LBB4_1548:                             ;   in Loop: Header=BB4_1514 Depth=4
	s_or_b64 exec, exec, s[40:41]
	v_lshrrev_b16_e32 v60, 8, v12
	v_cmp_ne_u16_e64 s[28:29], 0, v60
	v_mov_b32_e32 v0, 0
	s_and_saveexec_b64 s[40:41], s[28:29]
	s_cbranch_execz .LBB4_1556
; %bb.1549:                             ;   in Loop: Header=BB4_1514 Depth=4
	v_cmp_ne_u16_e64 s[28:29], s81, v60
	v_bfrev_b32_e32 v0, 1
	s_and_saveexec_b64 s[42:43], s[28:29]
	s_cbranch_execz .LBB4_1555
; %bb.1550:                             ;   in Loop: Header=BB4_1514 Depth=4
	v_and_b32_e32 v0, 0x7c, v60
	v_and_b32_e32 v1, 3, v60
	v_cmp_ne_u32_e64 s[28:29], s71, v0
                                        ; implicit-def: $vgpr0
	s_and_saveexec_b64 s[38:39], s[28:29]
	s_xor_b64 s[38:39], exec, s[38:39]
	s_cbranch_execz .LBB4_1552
; %bb.1551:                             ;   in Loop: Header=BB4_1514 Depth=4
	v_ffbh_u32_e32 v2, v1
	v_min_u32_e32 v25, 32, v2
	v_subrev_u32_e32 v2, 29, v25
	v_lshlrev_b64 v[2:3], v2, v[60:61]
	v_bfe_u32 v0, v60, 2, 5
	v_and_b32_e32 v2, 3, v2
	v_cmp_eq_u32_e64 s[28:29], 0, v0
	v_sub_u32_e32 v3, 30, v25
	v_cndmask_b32_e64 v1, v1, v2, s[28:29]
	v_lshlrev_b32_e32 v2, 16, v12
	v_cndmask_b32_e64 v0, v0, v3, s[28:29]
	v_and_b32_e32 v2, 0x80000000, v2
	v_lshl_add_u32 v0, v0, 23, v2
	v_lshl_or_b32 v0, v1, 21, v0
	v_add_u32_e32 v0, 0x38000000, v0
                                        ; implicit-def: $vgpr1
.LBB4_1552:                             ;   in Loop: Header=BB4_1514 Depth=4
	s_andn2_saveexec_b64 s[38:39], s[38:39]
; %bb.1553:                             ;   in Loop: Header=BB4_1514 Depth=4
	v_cmp_lt_i16_e64 s[28:29], -1, v12
	v_mov_b32_e32 v0, 0xff800000
	v_cndmask_b32_e64 v0, v0, v47, s[28:29]
	v_cmp_eq_u32_e64 s[28:29], 0, v1
	v_mov_b32_e32 v1, 0x7f800001
	v_cndmask_b32_e64 v0, v1, v0, s[28:29]
; %bb.1554:                             ;   in Loop: Header=BB4_1514 Depth=4
	s_or_b64 exec, exec, s[38:39]
.LBB4_1555:                             ;   in Loop: Header=BB4_1514 Depth=4
	s_or_b64 exec, exec, s[42:43]
.LBB4_1556:                             ;   in Loop: Header=BB4_1514 Depth=4
	s_or_b64 exec, exec, s[40:41]
	v_lshrrev_b16_e32 v60, 8, v8
	v_cmp_lt_i16_e64 s[28:29], s44, v60
	s_mov_b64 s[40:41], 0
	s_and_saveexec_b64 s[42:43], s[28:29]
	s_xor_b64 s[42:43], exec, s[42:43]
	s_cbranch_execz .LBB4_2039
; %bb.1557:                             ;   in Loop: Header=BB4_1514 Depth=4
	v_cmp_eq_u16_e64 s[28:29], s81, v60
	s_mov_b64 s[40:41], -1
	s_and_saveexec_b64 s[38:39], s[28:29]
; %bb.1558:                             ;   in Loop: Header=BB4_1514 Depth=4
	s_xor_b64 s[40:41], exec, -1
; %bb.1559:                             ;   in Loop: Header=BB4_1514 Depth=4
	s_or_b64 exec, exec, s[38:39]
	s_and_b64 s[40:41], s[40:41], exec
	s_or_saveexec_b64 s[42:43], s[42:43]
	v_bfrev_b32_e32 v1, 1
	s_xor_b64 exec, exec, s[42:43]
	s_cbranch_execnz .LBB4_2040
.LBB4_1560:                             ;   in Loop: Header=BB4_1514 Depth=4
	s_or_b64 exec, exec, s[42:43]
	s_and_saveexec_b64 s[38:39], s[40:41]
	s_cbranch_execz .LBB4_1562
.LBB4_1561:                             ;   in Loop: Header=BB4_1514 Depth=4
	v_and_b32_e32 v3, 3, v60
	v_and_b32_e32 v1, 0x7c, v60
	v_cmp_eq_u32_e64 s[28:29], s71, v1
	v_ffbh_u32_e32 v1, v3
	v_min_u32_e32 v26, 32, v1
	v_subrev_u32_e32 v1, 29, v26
	v_bfe_u32 v25, v60, 2, 5
	v_lshlrev_b64 v[1:2], v1, v[60:61]
	v_cmp_eq_u32_e64 s[40:41], 0, v25
	v_sub_u32_e32 v2, 30, v26
	v_cndmask_b32_e64 v2, v25, v2, s[40:41]
	v_lshlrev_b32_e32 v25, 24, v60
	v_and_b32_e32 v1, 3, v1
	v_and_b32_e32 v25, 0x80000000, v25
	v_cndmask_b32_e64 v1, v3, v1, s[40:41]
	v_lshl_add_u32 v2, v2, 23, v25
	v_lshl_or_b32 v1, v1, 21, v2
	v_cmp_lt_i16_e64 s[42:43], -1, v8
	v_mov_b32_e32 v2, 0xff800000
	v_cmp_eq_u32_e64 s[40:41], 0, v3
	v_cndmask_b32_e64 v2, v2, v47, s[42:43]
	v_mov_b32_e32 v3, 0x7f800001
	v_add_u32_e32 v1, 0x38000000, v1
	v_cndmask_b32_e64 v2, v3, v2, s[40:41]
	v_cndmask_b32_e64 v1, v1, v2, s[28:29]
.LBB4_1562:                             ;   in Loop: Header=BB4_1514 Depth=4
	s_or_b64 exec, exec, s[38:39]
	v_mul_f32_e32 v0, v0, v1
	v_and_b32_e32 v1, 0x7f800000, v0
	v_mov_b32_e32 v2, v61
	v_cmp_ne_u64_e64 s[28:29], s[62:63], v[1:2]
	v_and_b32_e32 v60, 0x7fffff, v0
                                        ; implicit-def: $vgpr25
	s_and_saveexec_b64 s[40:41], s[28:29]
	s_xor_b64 s[42:43], exec, s[40:41]
	s_cbranch_execz .LBB4_1576
; %bb.1563:                             ;   in Loop: Header=BB4_1514 Depth=4
	v_and_b32_e32 v1, 0x7fffffff, v0
	v_mov_b32_e32 v2, v61
	v_cmp_gt_u64_e64 s[28:29], s[78:79], v[1:2]
	v_and_b32_sdwa v3, v0, s81 dst_sel:DWORD dst_unused:UNUSED_PAD src0_sel:BYTE_3 src1_sel:DWORD
                                        ; implicit-def: $vgpr25
	s_and_saveexec_b64 s[40:41], s[28:29]
	s_xor_b64 s[38:39], exec, s[40:41]
	s_cbranch_execz .LBB4_1573
; %bb.1564:                             ;   in Loop: Header=BB4_1514 Depth=4
	v_mov_b32_e32 v25, 0
	v_cmp_ne_u32_e64 s[28:29], 0, v0
	s_and_saveexec_b64 s[48:49], s[28:29]
	s_cbranch_execz .LBB4_1572
; %bb.1565:                             ;   in Loop: Header=BB4_1514 Depth=4
	v_bfe_u32 v25, v0, 23, 8
	v_cmp_gt_u32_e64 s[40:41], s47, v25
	v_sub_u32_e32 v0, 0x71, v25
	v_cmp_eq_u32_e64 s[28:29], 0, v25
	v_cndmask_b32_e64 v0, 0, v0, s[40:41]
	v_mov_b32_e32 v2, 0x70
	v_cndmask_b32_e64 v26, v0, v2, s[28:29]
	v_or_b32_e32 v1, 0x800000, v60
	v_add_u32_e32 v0, 21, v26
	v_cndmask_b32_e64 v60, v1, v60, s[28:29]
	v_lshlrev_b64 v[0:1], v0, -1
	v_add_u32_e32 v2, 20, v26
	v_lshlrev_b64 v[27:28], v2, 1
	v_bfi_b32 v1, v1, 0, 0
	v_bfi_b32 v0, v0, 0, v60
	v_cmp_eq_u64_e64 s[40:41], v[0:1], v[27:28]
	v_lshrrev_b64 v[0:1], v26, v[60:61]
	v_mov_b32_e32 v2, v1
	v_mov_b32_e32 v1, v0
	s_and_saveexec_b64 s[50:51], s[40:41]
; %bb.1566:                             ;   in Loop: Header=BB4_1514 Depth=4
	v_bfe_u32 v1, v0, 21, 1
	v_add_co_u32_e64 v1, s[40:41], v0, v1
	v_add_co_u32_e64 v1, s[40:41], -1, v1
; %bb.1567:                             ;   in Loop: Header=BB4_1514 Depth=4
	s_or_b64 exec, exec, s[50:51]
	v_add_u32_e32 v2, 0xffffff81, v25
	v_mov_b32_e32 v25, 0xffffff82
	v_cndmask_b32_e64 v2, v2, v25, s[28:29]
	v_lshrrev_b32_e32 v25, 23, v0
	v_add3_u32 v26, v26, v2, v25
	v_add_u32_e32 v25, 14, v26
	v_and_b32_e32 v1, 0x1fffff, v1
	v_add_u32_e32 v60, v1, v0
	v_cmp_ne_u32_e64 s[28:29], 0, v25
                                        ; implicit-def: $vgpr0_vgpr1
                                        ; implicit-def: $vgpr2
	s_and_saveexec_b64 s[40:41], s[28:29]
	s_xor_b64 s[40:41], exec, s[40:41]
; %bb.1568:                             ;   in Loop: Header=BB4_1514 Depth=4
	v_cmp_lt_u64_e64 s[28:29], s[88:89], v[60:61]
	v_add_u32_e32 v0, 15, v26
	v_cndmask_b32_e64 v2, v25, v0, s[28:29]
	v_cndmask_b32_e64 v0, 0, 1, s[28:29]
	v_lshrrev_b64 v[0:1], v0, v[60:61]
; %bb.1569:                             ;   in Loop: Header=BB4_1514 Depth=4
	s_andn2_saveexec_b64 s[28:29], s[40:41]
; %bb.1570:                             ;   in Loop: Header=BB4_1514 Depth=4
	v_mov_b32_e32 v0, v60
	v_bfe_u32 v2, v60, 23, 1
	v_mov_b32_e32 v1, v61
; %bb.1571:                             ;   in Loop: Header=BB4_1514 Depth=4
	s_or_b64 exec, exec, s[28:29]
	v_lshrrev_b64 v[0:1], 21, v[0:1]
	v_cmp_gt_i32_e64 s[28:29], 32, v2
	v_cndmask_b32_e64 v1, 0, v1, s[28:29]
	v_cndmask_b32_e64 v0, 3, v0, s[28:29]
	v_cmp_eq_u64_e64 s[40:41], 0, v[0:1]
	v_min_i32_e32 v1, 31, v2
	v_lshlrev_b32_e32 v1, 2, v1
	v_cmp_eq_u32_e64 s[28:29], 0, v2
	v_and_b32_e32 v1, 0xfc, v1
	v_and_or_b32 v0, v0, 3, v1
	s_and_b64 s[28:29], s[28:29], s[40:41]
	v_cndmask_b32_e64 v0, v0, 0, s[28:29]
	v_or_b32_e32 v25, v0, v3
.LBB4_1572:                             ;   in Loop: Header=BB4_1514 Depth=4
	s_or_b64 exec, exec, s[48:49]
                                        ; implicit-def: $vgpr3
.LBB4_1573:                             ;   in Loop: Header=BB4_1514 Depth=4
	s_andn2_saveexec_b64 s[28:29], s[38:39]
; %bb.1574:                             ;   in Loop: Header=BB4_1514 Depth=4
	v_or_b32_e32 v25, 0x7b, v3
; %bb.1575:                             ;   in Loop: Header=BB4_1514 Depth=4
	s_or_b64 exec, exec, s[28:29]
                                        ; implicit-def: $vgpr0
.LBB4_1576:                             ;   in Loop: Header=BB4_1514 Depth=4
	s_andn2_saveexec_b64 s[40:41], s[42:43]
	s_cbranch_execz .LBB4_1582
; %bb.1577:                             ;   in Loop: Header=BB4_1514 Depth=4
	v_cmp_ne_u64_e64 s[28:29], 0, v[60:61]
                                        ; implicit-def: $vgpr25
	s_and_saveexec_b64 s[42:43], s[28:29]
	s_xor_b64 s[28:29], exec, s[42:43]
; %bb.1578:                             ;   in Loop: Header=BB4_1514 Depth=4
	v_or_b32_sdwa v25, v0, s44 dst_sel:DWORD dst_unused:UNUSED_PAD src0_sel:BYTE_3 src1_sel:DWORD
                                        ; implicit-def: $vgpr0
; %bb.1579:                             ;   in Loop: Header=BB4_1514 Depth=4
	s_andn2_saveexec_b64 s[42:43], s[28:29]
; %bb.1580:                             ;   in Loop: Header=BB4_1514 Depth=4
	v_cmp_lt_i32_e64 s[28:29], -1, v0
	v_bfrev_b32_e32 v0, 0.5
	v_mov_b32_e32 v1, 0x7c
	v_cndmask_b32_e64 v25, v0, v1, s[28:29]
; %bb.1581:                             ;   in Loop: Header=BB4_1514 Depth=4
	s_or_b64 exec, exec, s[42:43]
.LBB4_1582:                             ;   in Loop: Header=BB4_1514 Depth=4
	s_or_b64 exec, exec, s[40:41]
	v_lshrrev_b32_e32 v0, 16, v12
	v_cmp_ne_u16_sdwa s[28:29], v0, v61 src0_sel:BYTE_0 src1_sel:DWORD
	v_mov_b32_e32 v1, 0
	s_and_saveexec_b64 s[40:41], s[28:29]
	s_cbranch_execz .LBB4_1590
; %bb.1583:                             ;   in Loop: Header=BB4_1514 Depth=4
	v_cmp_ne_u16_sdwa s[28:29], v0, s81 src0_sel:BYTE_0 src1_sel:DWORD
	v_bfrev_b32_e32 v1, 1
	s_and_saveexec_b64 s[42:43], s[28:29]
	s_cbranch_execz .LBB4_1589
; %bb.1584:                             ;   in Loop: Header=BB4_1514 Depth=4
	v_and_b32_e32 v1, 0x7c0000, v12
	v_bfe_u32 v2, v12, 16, 2
	v_cmp_ne_u32_e64 s[28:29], s45, v1
                                        ; implicit-def: $vgpr1
	s_and_saveexec_b64 s[38:39], s[28:29]
	s_xor_b64 s[38:39], exec, s[38:39]
	s_cbranch_execz .LBB4_1586
; %bb.1585:                             ;   in Loop: Header=BB4_1514 Depth=4
	v_ffbh_u32_e32 v1, v2
	v_min_u32_e32 v26, 32, v1
	v_subrev_u32_e32 v1, 29, v26
	v_lshlrev_b64 v[0:1], v1, v[0:1]
	v_bfe_u32 v3, v12, 18, 5
	v_and_b32_e32 v0, 3, v0
	v_cmp_eq_u32_e64 s[28:29], 0, v3
	v_sub_u32_e32 v1, 30, v26
	v_cndmask_b32_e64 v0, v2, v0, s[28:29]
	v_lshlrev_b32_e32 v2, 8, v12
	v_cndmask_b32_e64 v1, v3, v1, s[28:29]
	v_and_b32_e32 v2, 0x80000000, v2
	v_lshl_add_u32 v1, v1, 23, v2
	v_lshl_or_b32 v0, v0, 21, v1
	v_add_u32_e32 v1, 0x38000000, v0
                                        ; implicit-def: $vgpr2
                                        ; implicit-def: $vgpr0
.LBB4_1586:                             ;   in Loop: Header=BB4_1514 Depth=4
	s_andn2_saveexec_b64 s[38:39], s[38:39]
; %bb.1587:                             ;   in Loop: Header=BB4_1514 Depth=4
	v_mov_b32_e32 v1, -1
	v_cmp_gt_i16_sdwa s[28:29], sext(v0), v1 src0_sel:BYTE_0 src1_sel:DWORD
	v_mov_b32_e32 v0, 0xff800000
	v_cndmask_b32_e64 v0, v0, v47, s[28:29]
	v_cmp_eq_u32_e64 s[28:29], 0, v2
	v_mov_b32_e32 v1, 0x7f800001
	v_cndmask_b32_e64 v1, v1, v0, s[28:29]
; %bb.1588:                             ;   in Loop: Header=BB4_1514 Depth=4
	s_or_b64 exec, exec, s[38:39]
.LBB4_1589:                             ;   in Loop: Header=BB4_1514 Depth=4
	s_or_b64 exec, exec, s[42:43]
.LBB4_1590:                             ;   in Loop: Header=BB4_1514 Depth=4
	s_or_b64 exec, exec, s[40:41]
	v_lshrrev_b32_e32 v0, 16, v8
	v_cmp_gt_i16_sdwa s[40:41], v0, s44 src0_sel:BYTE_0 src1_sel:DWORD
	s_mov_b64 s[28:29], 0
	s_and_saveexec_b64 s[42:43], s[40:41]
	s_xor_b64 s[40:41], exec, s[42:43]
	s_cbranch_execz .LBB4_2041
; %bb.1591:                             ;   in Loop: Header=BB4_1514 Depth=4
	v_cmp_eq_u16_sdwa s[38:39], v0, s81 src0_sel:BYTE_0 src1_sel:DWORD
	s_mov_b64 s[28:29], -1
	s_and_saveexec_b64 s[42:43], s[38:39]
; %bb.1592:                             ;   in Loop: Header=BB4_1514 Depth=4
	s_xor_b64 s[28:29], exec, -1
; %bb.1593:                             ;   in Loop: Header=BB4_1514 Depth=4
	s_or_b64 exec, exec, s[42:43]
	s_and_b64 s[28:29], s[28:29], exec
	s_or_saveexec_b64 s[40:41], s[40:41]
	v_bfrev_b32_e32 v2, 1
	s_xor_b64 exec, exec, s[40:41]
	s_cbranch_execnz .LBB4_2042
.LBB4_1594:                             ;   in Loop: Header=BB4_1514 Depth=4
	s_or_b64 exec, exec, s[40:41]
	s_and_saveexec_b64 s[38:39], s[28:29]
	s_cbranch_execz .LBB4_1596
.LBB4_1595:                             ;   in Loop: Header=BB4_1514 Depth=4
	v_and_b32_e32 v26, 3, v0
	v_and_b32_e32 v2, 0x7c0000, v8
	v_cmp_eq_u32_e64 s[28:29], s45, v2
	v_ffbh_u32_e32 v2, v26
	v_min_u32_e32 v28, 32, v2
	v_subrev_u32_e32 v2, 29, v28
	v_bfe_u32 v27, v8, 18, 5
	v_lshlrev_b64 v[2:3], v2, v[0:1]
	v_cmp_eq_u32_e64 s[40:41], 0, v27
	v_sub_u32_e32 v3, 30, v28
	v_cndmask_b32_e64 v3, v27, v3, s[40:41]
	v_lshlrev_b32_e32 v27, 24, v0
	v_and_b32_e32 v2, 3, v2
	v_and_b32_e32 v27, 0x80000000, v27
	v_cndmask_b32_e64 v2, v26, v2, s[40:41]
	v_lshl_add_u32 v3, v3, 23, v27
	v_lshl_or_b32 v2, v2, 21, v3
	v_mov_b32_e32 v3, -1
	v_cmp_gt_i16_sdwa s[42:43], sext(v0), v3 src0_sel:BYTE_0 src1_sel:DWORD
	v_mov_b32_e32 v0, 0xff800000
	v_cmp_eq_u32_e64 s[40:41], 0, v26
	v_cndmask_b32_e64 v0, v0, v47, s[42:43]
	v_mov_b32_e32 v3, 0x7f800001
	v_add_u32_e32 v2, 0x38000000, v2
	v_cndmask_b32_e64 v0, v3, v0, s[40:41]
	v_cndmask_b32_e64 v2, v2, v0, s[28:29]
.LBB4_1596:                             ;   in Loop: Header=BB4_1514 Depth=4
	s_or_b64 exec, exec, s[38:39]
	v_mul_f32_e32 v0, v1, v2
	v_and_b32_e32 v1, 0x7f800000, v0
	v_mov_b32_e32 v2, v61
	v_cmp_ne_u64_e64 s[28:29], s[62:63], v[1:2]
	v_and_b32_e32 v60, 0x7fffff, v0
                                        ; implicit-def: $vgpr26
	s_and_saveexec_b64 s[40:41], s[28:29]
	s_xor_b64 s[42:43], exec, s[40:41]
	s_cbranch_execz .LBB4_1610
; %bb.1597:                             ;   in Loop: Header=BB4_1514 Depth=4
	v_and_b32_e32 v1, 0x7fffffff, v0
	v_mov_b32_e32 v2, v61
	v_cmp_gt_u64_e64 s[28:29], s[78:79], v[1:2]
	v_and_b32_sdwa v3, v0, s81 dst_sel:DWORD dst_unused:UNUSED_PAD src0_sel:BYTE_3 src1_sel:DWORD
                                        ; implicit-def: $vgpr26
	s_and_saveexec_b64 s[40:41], s[28:29]
	s_xor_b64 s[38:39], exec, s[40:41]
	s_cbranch_execz .LBB4_1607
; %bb.1598:                             ;   in Loop: Header=BB4_1514 Depth=4
	v_mov_b32_e32 v26, 0
	v_cmp_ne_u32_e64 s[28:29], 0, v0
	s_and_saveexec_b64 s[48:49], s[28:29]
	s_cbranch_execz .LBB4_1606
; %bb.1599:                             ;   in Loop: Header=BB4_1514 Depth=4
	v_bfe_u32 v26, v0, 23, 8
	v_cmp_gt_u32_e64 s[40:41], s47, v26
	v_sub_u32_e32 v0, 0x71, v26
	v_cmp_eq_u32_e64 s[28:29], 0, v26
	v_cndmask_b32_e64 v0, 0, v0, s[40:41]
	v_mov_b32_e32 v2, 0x70
	v_cndmask_b32_e64 v27, v0, v2, s[28:29]
	v_or_b32_e32 v1, 0x800000, v60
	v_add_u32_e32 v0, 21, v27
	v_cndmask_b32_e64 v60, v1, v60, s[28:29]
	v_lshlrev_b64 v[0:1], v0, -1
	v_add_u32_e32 v2, 20, v27
	v_lshlrev_b64 v[28:29], v2, 1
	v_bfi_b32 v1, v1, 0, 0
	v_bfi_b32 v0, v0, 0, v60
	v_cmp_eq_u64_e64 s[40:41], v[0:1], v[28:29]
	v_lshrrev_b64 v[0:1], v27, v[60:61]
	v_mov_b32_e32 v2, v1
	v_mov_b32_e32 v1, v0
	s_and_saveexec_b64 s[50:51], s[40:41]
; %bb.1600:                             ;   in Loop: Header=BB4_1514 Depth=4
	v_bfe_u32 v1, v0, 21, 1
	v_add_co_u32_e64 v1, s[40:41], v0, v1
	v_add_co_u32_e64 v1, s[40:41], -1, v1
; %bb.1601:                             ;   in Loop: Header=BB4_1514 Depth=4
	s_or_b64 exec, exec, s[50:51]
	v_add_u32_e32 v2, 0xffffff81, v26
	v_mov_b32_e32 v26, 0xffffff82
	v_cndmask_b32_e64 v2, v2, v26, s[28:29]
	v_lshrrev_b32_e32 v26, 23, v0
	v_add3_u32 v27, v27, v2, v26
	v_add_u32_e32 v26, 14, v27
	v_and_b32_e32 v1, 0x1fffff, v1
	v_add_u32_e32 v60, v1, v0
	v_cmp_ne_u32_e64 s[28:29], 0, v26
                                        ; implicit-def: $vgpr0_vgpr1
                                        ; implicit-def: $vgpr2
	s_and_saveexec_b64 s[40:41], s[28:29]
	s_xor_b64 s[40:41], exec, s[40:41]
; %bb.1602:                             ;   in Loop: Header=BB4_1514 Depth=4
	v_cmp_lt_u64_e64 s[28:29], s[88:89], v[60:61]
	v_add_u32_e32 v0, 15, v27
	v_cndmask_b32_e64 v2, v26, v0, s[28:29]
	v_cndmask_b32_e64 v0, 0, 1, s[28:29]
	v_lshrrev_b64 v[0:1], v0, v[60:61]
; %bb.1603:                             ;   in Loop: Header=BB4_1514 Depth=4
	s_andn2_saveexec_b64 s[28:29], s[40:41]
; %bb.1604:                             ;   in Loop: Header=BB4_1514 Depth=4
	v_mov_b32_e32 v0, v60
	v_bfe_u32 v2, v60, 23, 1
	v_mov_b32_e32 v1, v61
; %bb.1605:                             ;   in Loop: Header=BB4_1514 Depth=4
	s_or_b64 exec, exec, s[28:29]
	v_lshrrev_b64 v[0:1], 21, v[0:1]
	v_cmp_gt_i32_e64 s[28:29], 32, v2
	v_cndmask_b32_e64 v1, 0, v1, s[28:29]
	v_cndmask_b32_e64 v0, 3, v0, s[28:29]
	v_cmp_eq_u64_e64 s[40:41], 0, v[0:1]
	v_min_i32_e32 v1, 31, v2
	v_lshlrev_b32_e32 v1, 2, v1
	v_cmp_eq_u32_e64 s[28:29], 0, v2
	v_and_b32_e32 v1, 0xfc, v1
	v_and_or_b32 v0, v0, 3, v1
	s_and_b64 s[28:29], s[28:29], s[40:41]
	v_cndmask_b32_e64 v0, v0, 0, s[28:29]
	v_or_b32_e32 v26, v0, v3
.LBB4_1606:                             ;   in Loop: Header=BB4_1514 Depth=4
	s_or_b64 exec, exec, s[48:49]
                                        ; implicit-def: $vgpr3
.LBB4_1607:                             ;   in Loop: Header=BB4_1514 Depth=4
	s_andn2_saveexec_b64 s[28:29], s[38:39]
; %bb.1608:                             ;   in Loop: Header=BB4_1514 Depth=4
	v_or_b32_e32 v26, 0x7b, v3
; %bb.1609:                             ;   in Loop: Header=BB4_1514 Depth=4
	s_or_b64 exec, exec, s[28:29]
                                        ; implicit-def: $vgpr0
.LBB4_1610:                             ;   in Loop: Header=BB4_1514 Depth=4
	s_andn2_saveexec_b64 s[40:41], s[42:43]
	s_cbranch_execz .LBB4_1616
; %bb.1611:                             ;   in Loop: Header=BB4_1514 Depth=4
	v_cmp_ne_u64_e64 s[28:29], 0, v[60:61]
                                        ; implicit-def: $vgpr26
	s_and_saveexec_b64 s[42:43], s[28:29]
	s_xor_b64 s[28:29], exec, s[42:43]
; %bb.1612:                             ;   in Loop: Header=BB4_1514 Depth=4
	v_or_b32_sdwa v26, v0, s44 dst_sel:DWORD dst_unused:UNUSED_PAD src0_sel:BYTE_3 src1_sel:DWORD
                                        ; implicit-def: $vgpr0
; %bb.1613:                             ;   in Loop: Header=BB4_1514 Depth=4
	s_andn2_saveexec_b64 s[42:43], s[28:29]
; %bb.1614:                             ;   in Loop: Header=BB4_1514 Depth=4
	v_cmp_lt_i32_e64 s[28:29], -1, v0
	v_bfrev_b32_e32 v0, 0.5
	v_mov_b32_e32 v1, 0x7c
	v_cndmask_b32_e64 v26, v0, v1, s[28:29]
; %bb.1615:                             ;   in Loop: Header=BB4_1514 Depth=4
	s_or_b64 exec, exec, s[42:43]
.LBB4_1616:                             ;   in Loop: Header=BB4_1514 Depth=4
	s_or_b64 exec, exec, s[40:41]
	v_cmp_lt_u32_e64 s[28:29], s57, v12
	v_mov_b32_e32 v1, 0
	s_and_saveexec_b64 s[40:41], s[28:29]
	s_cbranch_execz .LBB4_1624
; %bb.1617:                             ;   in Loop: Header=BB4_1514 Depth=4
	v_lshrrev_b32_e32 v0, 24, v12
	v_cmp_ne_u32_e64 s[28:29], s81, v0
	v_bfrev_b32_e32 v1, 1
	s_and_saveexec_b64 s[42:43], s[28:29]
	s_cbranch_execz .LBB4_1623
; %bb.1618:                             ;   in Loop: Header=BB4_1514 Depth=4
	v_and_b32_e32 v1, 0x7c000000, v12
	v_bfe_u32 v2, v12, 24, 2
	v_cmp_ne_u32_e64 s[28:29], s82, v1
                                        ; implicit-def: $vgpr1
	s_and_saveexec_b64 s[38:39], s[28:29]
	s_xor_b64 s[38:39], exec, s[38:39]
	s_cbranch_execz .LBB4_1620
; %bb.1619:                             ;   in Loop: Header=BB4_1514 Depth=4
	v_ffbh_u32_e32 v1, v2
	v_min_u32_e32 v27, 32, v1
	v_subrev_u32_e32 v1, 29, v27
	v_lshlrev_b64 v[0:1], v1, v[0:1]
	v_bfe_u32 v3, v12, 26, 5
	v_sub_u32_e32 v1, 30, v27
	v_and_b32_e32 v0, 3, v0
	v_cmp_eq_u32_e64 s[28:29], 0, v3
	v_cndmask_b32_e64 v1, v3, v1, s[28:29]
	v_cndmask_b32_e64 v0, v2, v0, s[28:29]
	v_and_b32_e32 v2, 0x80000000, v12
	v_lshl_add_u32 v1, v1, 23, v2
	v_lshl_or_b32 v0, v0, 21, v1
	v_add_u32_e32 v1, 0x38000000, v0
                                        ; implicit-def: $vgpr2
.LBB4_1620:                             ;   in Loop: Header=BB4_1514 Depth=4
	s_andn2_saveexec_b64 s[38:39], s[38:39]
; %bb.1621:                             ;   in Loop: Header=BB4_1514 Depth=4
	v_cmp_lt_i32_e64 s[28:29], -1, v12
	v_mov_b32_e32 v0, 0xff800000
	v_cndmask_b32_e64 v0, v0, v47, s[28:29]
	v_cmp_eq_u32_e64 s[28:29], 0, v2
	v_mov_b32_e32 v1, 0x7f800001
	v_cndmask_b32_e64 v1, v1, v0, s[28:29]
; %bb.1622:                             ;   in Loop: Header=BB4_1514 Depth=4
	s_or_b64 exec, exec, s[38:39]
.LBB4_1623:                             ;   in Loop: Header=BB4_1514 Depth=4
	s_or_b64 exec, exec, s[42:43]
.LBB4_1624:                             ;   in Loop: Header=BB4_1514 Depth=4
	s_or_b64 exec, exec, s[40:41]
	v_bfe_u32 v27, v8, 24, 2
	v_and_b32_e32 v2, 0x7c000000, v8
	v_cmp_eq_u32_e64 s[28:29], s82, v2
	v_ffbh_u32_e32 v2, v27
	v_min_u32_e32 v29, 32, v2
	v_lshrrev_b32_e32 v0, 24, v8
	v_subrev_u32_e32 v2, 29, v29
	v_bfe_u32 v28, v8, 26, 5
	v_lshlrev_b64 v[2:3], v2, v[0:1]
	v_cmp_eq_u32_e64 s[40:41], 0, v28
	v_sub_u32_e32 v3, 30, v29
	v_and_b32_e32 v2, 3, v2
	v_cndmask_b32_e64 v3, v28, v3, s[40:41]
	v_and_b32_e32 v28, 0x80000000, v8
	v_cndmask_b32_e64 v2, v27, v2, s[40:41]
	v_lshl_add_u32 v3, v3, 23, v28
	v_lshl_or_b32 v2, v2, 21, v3
	v_cmp_lt_i32_e64 s[42:43], -1, v8
	v_mov_b32_e32 v3, 0xff800000
	v_cmp_eq_u32_e64 s[40:41], 0, v27
	v_cndmask_b32_e64 v3, v3, v47, s[42:43]
	v_mov_b32_e32 v27, 0x7f800001
	v_add_u32_e32 v2, 0x38000000, v2
	v_cndmask_b32_e64 v3, v27, v3, s[40:41]
	v_cndmask_b32_e64 v2, v2, v3, s[28:29]
	v_cmp_ne_u32_e64 s[28:29], s81, v0
	v_bfrev_b32_e32 v0, 1
	v_cndmask_b32_e64 v0, v0, v2, s[28:29]
	v_cmp_lt_u32_e64 s[28:29], s57, v8
	v_cndmask_b32_e64 v0, 0, v0, s[28:29]
	v_mul_f32_e32 v0, v0, v1
	v_and_b32_e32 v1, 0x7f800000, v0
	v_mov_b32_e32 v2, v61
	v_cmp_ne_u64_e64 s[28:29], s[62:63], v[1:2]
	v_and_b32_e32 v60, 0x7fffff, v0
                                        ; implicit-def: $vgpr27
	s_and_saveexec_b64 s[40:41], s[28:29]
	s_xor_b64 s[42:43], exec, s[40:41]
	s_cbranch_execz .LBB4_1638
; %bb.1625:                             ;   in Loop: Header=BB4_1514 Depth=4
	v_and_b32_e32 v1, 0x7fffffff, v0
	v_mov_b32_e32 v2, v61
	v_cmp_gt_u64_e64 s[28:29], s[78:79], v[1:2]
	v_and_b32_sdwa v3, v0, s81 dst_sel:DWORD dst_unused:UNUSED_PAD src0_sel:BYTE_3 src1_sel:DWORD
                                        ; implicit-def: $vgpr27
	s_and_saveexec_b64 s[40:41], s[28:29]
	s_xor_b64 s[38:39], exec, s[40:41]
	s_cbranch_execz .LBB4_1635
; %bb.1626:                             ;   in Loop: Header=BB4_1514 Depth=4
	v_mov_b32_e32 v27, 0
	v_cmp_ne_u32_e64 s[28:29], 0, v0
	s_and_saveexec_b64 s[48:49], s[28:29]
	s_cbranch_execz .LBB4_1634
; %bb.1627:                             ;   in Loop: Header=BB4_1514 Depth=4
	v_bfe_u32 v27, v0, 23, 8
	v_cmp_gt_u32_e64 s[40:41], s47, v27
	v_sub_u32_e32 v0, 0x71, v27
	v_cmp_eq_u32_e64 s[28:29], 0, v27
	v_cndmask_b32_e64 v0, 0, v0, s[40:41]
	v_mov_b32_e32 v2, 0x70
	v_cndmask_b32_e64 v28, v0, v2, s[28:29]
	v_or_b32_e32 v1, 0x800000, v60
	v_add_u32_e32 v0, 21, v28
	v_cndmask_b32_e64 v60, v1, v60, s[28:29]
	v_lshlrev_b64 v[0:1], v0, -1
	v_add_u32_e32 v2, 20, v28
	v_lshlrev_b64 v[29:30], v2, 1
	v_bfi_b32 v1, v1, 0, 0
	v_bfi_b32 v0, v0, 0, v60
	v_cmp_eq_u64_e64 s[40:41], v[0:1], v[29:30]
	v_lshrrev_b64 v[0:1], v28, v[60:61]
	v_mov_b32_e32 v2, v1
	v_mov_b32_e32 v1, v0
	s_and_saveexec_b64 s[50:51], s[40:41]
; %bb.1628:                             ;   in Loop: Header=BB4_1514 Depth=4
	v_bfe_u32 v1, v0, 21, 1
	v_add_co_u32_e64 v1, s[40:41], v0, v1
	v_add_co_u32_e64 v1, s[40:41], -1, v1
; %bb.1629:                             ;   in Loop: Header=BB4_1514 Depth=4
	s_or_b64 exec, exec, s[50:51]
	v_add_u32_e32 v2, 0xffffff81, v27
	v_mov_b32_e32 v27, 0xffffff82
	v_cndmask_b32_e64 v2, v2, v27, s[28:29]
	v_lshrrev_b32_e32 v27, 23, v0
	v_add3_u32 v28, v28, v2, v27
	v_add_u32_e32 v27, 14, v28
	v_and_b32_e32 v1, 0x1fffff, v1
	v_add_u32_e32 v60, v1, v0
	v_cmp_ne_u32_e64 s[28:29], 0, v27
                                        ; implicit-def: $vgpr0_vgpr1
                                        ; implicit-def: $vgpr2
	s_and_saveexec_b64 s[40:41], s[28:29]
	s_xor_b64 s[40:41], exec, s[40:41]
; %bb.1630:                             ;   in Loop: Header=BB4_1514 Depth=4
	v_cmp_lt_u64_e64 s[28:29], s[88:89], v[60:61]
	v_add_u32_e32 v0, 15, v28
	v_cndmask_b32_e64 v2, v27, v0, s[28:29]
	v_cndmask_b32_e64 v0, 0, 1, s[28:29]
	v_lshrrev_b64 v[0:1], v0, v[60:61]
; %bb.1631:                             ;   in Loop: Header=BB4_1514 Depth=4
	s_andn2_saveexec_b64 s[28:29], s[40:41]
; %bb.1632:                             ;   in Loop: Header=BB4_1514 Depth=4
	v_mov_b32_e32 v0, v60
	v_bfe_u32 v2, v60, 23, 1
	v_mov_b32_e32 v1, v61
; %bb.1633:                             ;   in Loop: Header=BB4_1514 Depth=4
	s_or_b64 exec, exec, s[28:29]
	v_lshrrev_b64 v[0:1], 21, v[0:1]
	v_cmp_gt_i32_e64 s[28:29], 32, v2
	v_cndmask_b32_e64 v1, 0, v1, s[28:29]
	v_cndmask_b32_e64 v0, 3, v0, s[28:29]
	v_cmp_eq_u64_e64 s[40:41], 0, v[0:1]
	v_min_i32_e32 v1, 31, v2
	v_lshlrev_b32_e32 v1, 2, v1
	v_cmp_eq_u32_e64 s[28:29], 0, v2
	v_and_b32_e32 v1, 0xfc, v1
	v_and_or_b32 v0, v0, 3, v1
	s_and_b64 s[28:29], s[28:29], s[40:41]
	v_cndmask_b32_e64 v0, v0, 0, s[28:29]
	v_or_b32_e32 v27, v0, v3
.LBB4_1634:                             ;   in Loop: Header=BB4_1514 Depth=4
	s_or_b64 exec, exec, s[48:49]
                                        ; implicit-def: $vgpr3
.LBB4_1635:                             ;   in Loop: Header=BB4_1514 Depth=4
	s_andn2_saveexec_b64 s[28:29], s[38:39]
; %bb.1636:                             ;   in Loop: Header=BB4_1514 Depth=4
	v_or_b32_e32 v27, 0x7b, v3
; %bb.1637:                             ;   in Loop: Header=BB4_1514 Depth=4
	s_or_b64 exec, exec, s[28:29]
                                        ; implicit-def: $vgpr0
.LBB4_1638:                             ;   in Loop: Header=BB4_1514 Depth=4
	s_andn2_saveexec_b64 s[40:41], s[42:43]
	s_cbranch_execz .LBB4_1644
; %bb.1639:                             ;   in Loop: Header=BB4_1514 Depth=4
	v_cmp_ne_u64_e64 s[28:29], 0, v[60:61]
                                        ; implicit-def: $vgpr27
	s_and_saveexec_b64 s[42:43], s[28:29]
	s_xor_b64 s[28:29], exec, s[42:43]
; %bb.1640:                             ;   in Loop: Header=BB4_1514 Depth=4
	v_or_b32_sdwa v27, v0, s44 dst_sel:DWORD dst_unused:UNUSED_PAD src0_sel:BYTE_3 src1_sel:DWORD
                                        ; implicit-def: $vgpr0
; %bb.1641:                             ;   in Loop: Header=BB4_1514 Depth=4
	s_andn2_saveexec_b64 s[42:43], s[28:29]
; %bb.1642:                             ;   in Loop: Header=BB4_1514 Depth=4
	v_cmp_lt_i32_e64 s[28:29], -1, v0
	v_bfrev_b32_e32 v0, 0.5
	v_mov_b32_e32 v1, 0x7c
	v_cndmask_b32_e64 v27, v0, v1, s[28:29]
; %bb.1643:                             ;   in Loop: Header=BB4_1514 Depth=4
	s_or_b64 exec, exec, s[42:43]
.LBB4_1644:                             ;   in Loop: Header=BB4_1514 Depth=4
	s_or_b64 exec, exec, s[40:41]
	v_mov_b32_e32 v60, v13
	v_cmp_ne_u16_sdwa s[28:29], v13, v61 src0_sel:BYTE_0 src1_sel:DWORD
	v_mov_b32_e32 v2, 0
	s_and_saveexec_b64 s[40:41], s[28:29]
	s_cbranch_execz .LBB4_1652
; %bb.1645:                             ;   in Loop: Header=BB4_1514 Depth=4
	v_cmp_ne_u16_sdwa s[28:29], v13, s81 src0_sel:BYTE_0 src1_sel:DWORD
	v_bfrev_b32_e32 v2, 1
	s_and_saveexec_b64 s[42:43], s[28:29]
	s_cbranch_execz .LBB4_1651
; %bb.1646:                             ;   in Loop: Header=BB4_1514 Depth=4
	v_and_b32_e32 v1, 0x7c, v13
	v_and_b32_e32 v0, 3, v13
	v_cmp_ne_u32_e64 s[28:29], s71, v1
                                        ; implicit-def: $vgpr2
	s_and_saveexec_b64 s[38:39], s[28:29]
	s_xor_b64 s[38:39], exec, s[38:39]
	s_cbranch_execz .LBB4_1648
; %bb.1647:                             ;   in Loop: Header=BB4_1514 Depth=4
	v_ffbh_u32_e32 v1, v0
	v_min_u32_e32 v28, 32, v1
	v_subrev_u32_e32 v1, 29, v28
	v_lshlrev_b64 v[1:2], v1, v[60:61]
	v_bfe_u32 v3, v13, 2, 5
	v_and_b32_e32 v1, 3, v1
	v_cmp_eq_u32_e64 s[28:29], 0, v3
	v_sub_u32_e32 v2, 30, v28
	v_cndmask_b32_e64 v0, v0, v1, s[28:29]
	v_lshlrev_b32_e32 v1, 24, v13
	v_cndmask_b32_e64 v2, v3, v2, s[28:29]
	v_and_b32_e32 v1, 0x80000000, v1
	v_lshl_add_u32 v1, v2, 23, v1
	v_lshl_or_b32 v0, v0, 21, v1
	v_add_u32_e32 v2, 0x38000000, v0
                                        ; implicit-def: $vgpr0
.LBB4_1648:                             ;   in Loop: Header=BB4_1514 Depth=4
	s_andn2_saveexec_b64 s[38:39], s[38:39]
; %bb.1649:                             ;   in Loop: Header=BB4_1514 Depth=4
	v_mov_b32_e32 v1, -1
	v_cmp_gt_i16_sdwa s[28:29], sext(v13), v1 src0_sel:BYTE_0 src1_sel:DWORD
	v_mov_b32_e32 v1, 0xff800000
	v_cndmask_b32_e64 v1, v1, v47, s[28:29]
	v_cmp_eq_u32_e64 s[28:29], 0, v0
	v_mov_b32_e32 v0, 0x7f800001
	v_cndmask_b32_e64 v2, v0, v1, s[28:29]
; %bb.1650:                             ;   in Loop: Header=BB4_1514 Depth=4
	s_or_b64 exec, exec, s[38:39]
.LBB4_1651:                             ;   in Loop: Header=BB4_1514 Depth=4
	s_or_b64 exec, exec, s[42:43]
.LBB4_1652:                             ;   in Loop: Header=BB4_1514 Depth=4
	s_or_b64 exec, exec, s[40:41]
	v_cmp_gt_i16_sdwa s[40:41], v9, s44 src0_sel:BYTE_0 src1_sel:DWORD
	s_mov_b64 s[28:29], 0
	s_and_saveexec_b64 s[42:43], s[40:41]
	s_xor_b64 s[40:41], exec, s[42:43]
	s_cbranch_execz .LBB4_1656
; %bb.1653:                             ;   in Loop: Header=BB4_1514 Depth=4
	v_cmp_eq_u16_sdwa s[38:39], v9, s81 src0_sel:BYTE_0 src1_sel:DWORD
	s_mov_b64 s[28:29], -1
	s_and_saveexec_b64 s[42:43], s[38:39]
; %bb.1654:                             ;   in Loop: Header=BB4_1514 Depth=4
	s_xor_b64 s[28:29], exec, -1
; %bb.1655:                             ;   in Loop: Header=BB4_1514 Depth=4
	s_or_b64 exec, exec, s[42:43]
	s_and_b64 s[28:29], s[28:29], exec
.LBB4_1656:                             ;   in Loop: Header=BB4_1514 Depth=4
	s_or_saveexec_b64 s[40:41], s[40:41]
	v_bfrev_b32_e32 v3, 1
	s_xor_b64 exec, exec, s[40:41]
; %bb.1657:                             ;   in Loop: Header=BB4_1514 Depth=4
	v_cmp_ne_u16_sdwa s[42:43], v9, v61 src0_sel:BYTE_0 src1_sel:DWORD
	s_andn2_b64 s[28:29], s[28:29], exec
	s_and_b64 s[42:43], s[42:43], exec
	v_mov_b32_e32 v3, 0
	s_or_b64 s[28:29], s[28:29], s[42:43]
; %bb.1658:                             ;   in Loop: Header=BB4_1514 Depth=4
	s_or_b64 exec, exec, s[40:41]
	v_mov_b32_e32 v0, v9
	v_mov_b32_e32 v1, v61
	s_and_saveexec_b64 s[38:39], s[28:29]
	s_cbranch_execz .LBB4_1660
; %bb.1659:                             ;   in Loop: Header=BB4_1514 Depth=4
	v_and_b32_e32 v3, 3, v9
	v_and_b32_e32 v28, 0x7c, v9
	v_cmp_eq_u32_e64 s[28:29], s71, v28
	v_ffbh_u32_e32 v28, v3
	v_min_u32_e32 v31, 32, v28
	v_subrev_u32_e32 v28, 29, v31
	v_lshlrev_b64 v[28:29], v28, v[0:1]
	v_bfe_u32 v30, v9, 2, 5
	v_cmp_eq_u32_e64 s[40:41], 0, v30
	v_sub_u32_e32 v1, 30, v31
	v_and_b32_e32 v28, 3, v28
	v_lshlrev_b32_e32 v29, 24, v9
	v_cndmask_b32_e64 v1, v30, v1, s[40:41]
	v_cndmask_b32_e64 v28, v3, v28, s[40:41]
	v_and_b32_e32 v29, 0x80000000, v29
	v_cmp_eq_u32_e64 s[40:41], 0, v3
	v_mov_b32_e32 v3, -1
	v_lshl_add_u32 v1, v1, 23, v29
	v_cmp_gt_i16_sdwa s[42:43], sext(v9), v3 src0_sel:BYTE_0 src1_sel:DWORD
	v_mov_b32_e32 v3, 0xff800000
	v_lshl_or_b32 v1, v28, 21, v1
	v_cndmask_b32_e64 v3, v3, v47, s[42:43]
	v_mov_b32_e32 v28, 0x7f800001
	v_add_u32_e32 v1, 0x38000000, v1
	v_cndmask_b32_e64 v3, v28, v3, s[40:41]
	v_cndmask_b32_e64 v3, v1, v3, s[28:29]
.LBB4_1660:                             ;   in Loop: Header=BB4_1514 Depth=4
	s_or_b64 exec, exec, s[38:39]
	v_mul_f32_e32 v3, v2, v3
	v_and_b32_e32 v28, 0x7f800000, v3
	v_mov_b32_e32 v29, v61
	v_cmp_ne_u64_e64 s[28:29], s[62:63], v[28:29]
	v_and_b32_e32 v1, 0x7fffff, v3
	v_mov_b32_e32 v2, v61
                                        ; implicit-def: $vgpr28
	s_and_saveexec_b64 s[40:41], s[28:29]
	s_xor_b64 s[42:43], exec, s[40:41]
	s_cbranch_execz .LBB4_1674
; %bb.1661:                             ;   in Loop: Header=BB4_1514 Depth=4
	v_and_b32_e32 v28, 0x7fffffff, v3
	v_mov_b32_e32 v29, v61
	v_cmp_gt_u64_e64 s[28:29], s[78:79], v[28:29]
	v_and_b32_sdwa v29, v3, s81 dst_sel:DWORD dst_unused:UNUSED_PAD src0_sel:BYTE_3 src1_sel:DWORD
                                        ; implicit-def: $vgpr28
	s_and_saveexec_b64 s[40:41], s[28:29]
	s_xor_b64 s[38:39], exec, s[40:41]
	s_cbranch_execz .LBB4_1671
; %bb.1662:                             ;   in Loop: Header=BB4_1514 Depth=4
	v_mov_b32_e32 v28, 0
	v_cmp_ne_u32_e64 s[28:29], 0, v3
	s_and_saveexec_b64 s[48:49], s[28:29]
	s_cbranch_execz .LBB4_1670
; %bb.1663:                             ;   in Loop: Header=BB4_1514 Depth=4
	v_bfe_u32 v28, v3, 23, 8
	v_cmp_gt_u32_e64 s[40:41], s47, v28
	v_sub_u32_e32 v3, 0x71, v28
	v_cmp_eq_u32_e64 s[28:29], 0, v28
	v_cndmask_b32_e64 v3, 0, v3, s[40:41]
	v_mov_b32_e32 v30, 0x70
	v_cndmask_b32_e64 v30, v3, v30, s[28:29]
	v_add_u32_e32 v3, 21, v30
	v_or_b32_e32 v31, 0x800000, v1
	v_lshlrev_b64 v[34:35], v3, -1
	v_cndmask_b32_e64 v1, v31, v1, s[28:29]
	v_add_u32_e32 v3, 20, v30
	v_bfi_b32 v34, v34, 0, v1
	v_lshlrev_b64 v[36:37], v3, 1
	v_lshrrev_b64 v[1:2], v30, v[1:2]
	v_bfi_b32 v35, v35, 0, 0
	v_cmp_eq_u64_e64 s[40:41], v[34:35], v[36:37]
	v_mov_b32_e32 v3, v2
	v_mov_b32_e32 v2, v1
	s_and_saveexec_b64 s[50:51], s[40:41]
; %bb.1664:                             ;   in Loop: Header=BB4_1514 Depth=4
	v_bfe_u32 v2, v1, 21, 1
	v_add_co_u32_e64 v2, s[40:41], v1, v2
	v_add_co_u32_e64 v2, s[40:41], -1, v2
; %bb.1665:                             ;   in Loop: Header=BB4_1514 Depth=4
	s_or_b64 exec, exec, s[50:51]
	v_add_u32_e32 v3, 0xffffff81, v28
	v_mov_b32_e32 v28, 0xffffff82
	v_cndmask_b32_e64 v3, v3, v28, s[28:29]
	v_lshrrev_b32_e32 v28, 23, v1
	v_add3_u32 v30, v30, v3, v28
	v_add_u32_e32 v28, 14, v30
	v_and_b32_e32 v2, 0x1fffff, v2
	v_add_u32_e32 v1, v2, v1
	v_mov_b32_e32 v2, v61
	v_cmp_ne_u32_e64 s[28:29], 0, v28
                                        ; implicit-def: $vgpr3
	s_and_saveexec_b64 s[40:41], s[28:29]
	s_xor_b64 s[40:41], exec, s[40:41]
; %bb.1666:                             ;   in Loop: Header=BB4_1514 Depth=4
	v_cmp_lt_u64_e64 s[28:29], s[88:89], v[1:2]
	v_add_u32_e32 v3, 15, v30
	v_cndmask_b32_e64 v3, v28, v3, s[28:29]
	v_cndmask_b32_e64 v28, 0, 1, s[28:29]
	v_lshrrev_b64 v[1:2], v28, v[1:2]
; %bb.1667:                             ;   in Loop: Header=BB4_1514 Depth=4
	s_andn2_saveexec_b64 s[28:29], s[40:41]
; %bb.1668:                             ;   in Loop: Header=BB4_1514 Depth=4
	v_bfe_u32 v3, v1, 23, 1
; %bb.1669:                             ;   in Loop: Header=BB4_1514 Depth=4
	s_or_b64 exec, exec, s[28:29]
	v_lshrrev_b64 v[1:2], 21, v[1:2]
	v_cmp_gt_i32_e64 s[28:29], 32, v3
	v_cndmask_b32_e64 v2, 0, v2, s[28:29]
	v_cndmask_b32_e64 v1, 3, v1, s[28:29]
	v_cmp_eq_u64_e64 s[40:41], 0, v[1:2]
	v_min_i32_e32 v2, 31, v3
	v_lshlrev_b32_e32 v2, 2, v2
	v_cmp_eq_u32_e64 s[28:29], 0, v3
	v_and_b32_e32 v2, 0xfc, v2
	v_and_or_b32 v1, v1, 3, v2
	s_and_b64 s[28:29], s[28:29], s[40:41]
	v_cndmask_b32_e64 v1, v1, 0, s[28:29]
	v_or_b32_e32 v28, v1, v29
.LBB4_1670:                             ;   in Loop: Header=BB4_1514 Depth=4
	s_or_b64 exec, exec, s[48:49]
                                        ; implicit-def: $vgpr29
.LBB4_1671:                             ;   in Loop: Header=BB4_1514 Depth=4
	s_andn2_saveexec_b64 s[28:29], s[38:39]
; %bb.1672:                             ;   in Loop: Header=BB4_1514 Depth=4
	v_or_b32_e32 v28, 0x7b, v29
; %bb.1673:                             ;   in Loop: Header=BB4_1514 Depth=4
	s_or_b64 exec, exec, s[28:29]
                                        ; implicit-def: $vgpr3
                                        ; implicit-def: $vgpr1_vgpr2
.LBB4_1674:                             ;   in Loop: Header=BB4_1514 Depth=4
	s_andn2_saveexec_b64 s[40:41], s[42:43]
	s_cbranch_execz .LBB4_1680
; %bb.1675:                             ;   in Loop: Header=BB4_1514 Depth=4
	v_cmp_ne_u64_e64 s[28:29], 0, v[1:2]
                                        ; implicit-def: $vgpr28
	s_and_saveexec_b64 s[42:43], s[28:29]
	s_xor_b64 s[28:29], exec, s[42:43]
; %bb.1676:                             ;   in Loop: Header=BB4_1514 Depth=4
	v_or_b32_sdwa v28, v3, s44 dst_sel:DWORD dst_unused:UNUSED_PAD src0_sel:BYTE_3 src1_sel:DWORD
                                        ; implicit-def: $vgpr3
; %bb.1677:                             ;   in Loop: Header=BB4_1514 Depth=4
	s_andn2_saveexec_b64 s[42:43], s[28:29]
; %bb.1678:                             ;   in Loop: Header=BB4_1514 Depth=4
	v_cmp_lt_i32_e64 s[28:29], -1, v3
	v_bfrev_b32_e32 v1, 0.5
	v_mov_b32_e32 v2, 0x7c
	v_cndmask_b32_e64 v28, v1, v2, s[28:29]
; %bb.1679:                             ;   in Loop: Header=BB4_1514 Depth=4
	s_or_b64 exec, exec, s[42:43]
.LBB4_1680:                             ;   in Loop: Header=BB4_1514 Depth=4
	s_or_b64 exec, exec, s[40:41]
	v_lshrrev_b16_e32 v1, 8, v60
	v_cmp_ne_u16_e64 s[28:29], 0, v1
	v_mov_b32_e32 v2, 0
	s_and_saveexec_b64 s[40:41], s[28:29]
	s_cbranch_execz .LBB4_1688
; %bb.1681:                             ;   in Loop: Header=BB4_1514 Depth=4
	v_cmp_ne_u16_e64 s[28:29], s81, v1
	v_bfrev_b32_e32 v2, 1
	s_and_saveexec_b64 s[42:43], s[28:29]
	s_cbranch_execz .LBB4_1687
; %bb.1682:                             ;   in Loop: Header=BB4_1514 Depth=4
	v_and_b32_e32 v2, 0x7c, v1
	v_and_b32_e32 v3, 3, v1
	v_cmp_ne_u32_e64 s[28:29], s71, v2
                                        ; implicit-def: $vgpr2
	s_and_saveexec_b64 s[38:39], s[28:29]
	s_xor_b64 s[38:39], exec, s[38:39]
	s_cbranch_execz .LBB4_1684
; %bb.1683:                             ;   in Loop: Header=BB4_1514 Depth=4
	v_ffbh_u32_e32 v30, v3
	v_min_u32_e32 v30, 32, v30
	v_mov_b32_e32 v2, v61
	v_subrev_u32_e32 v31, 29, v30
	v_bfe_u32 v29, v1, 2, 5
	v_lshlrev_b64 v[1:2], v31, v[1:2]
	v_cmp_eq_u32_e64 s[28:29], 0, v29
	v_and_b32_e32 v1, 3, v1
	v_sub_u32_e32 v2, 30, v30
	v_cndmask_b32_e64 v1, v3, v1, s[28:29]
	v_lshlrev_b32_e32 v3, 16, v60
	v_cndmask_b32_e64 v2, v29, v2, s[28:29]
	v_and_b32_e32 v3, 0x80000000, v3
	v_lshl_add_u32 v2, v2, 23, v3
	v_lshl_or_b32 v1, v1, 21, v2
	v_add_u32_e32 v2, 0x38000000, v1
                                        ; implicit-def: $vgpr3
.LBB4_1684:                             ;   in Loop: Header=BB4_1514 Depth=4
	s_andn2_saveexec_b64 s[38:39], s[38:39]
; %bb.1685:                             ;   in Loop: Header=BB4_1514 Depth=4
	v_cmp_lt_i16_e64 s[28:29], -1, v60
	v_mov_b32_e32 v1, 0xff800000
	v_cndmask_b32_e64 v1, v1, v47, s[28:29]
	v_cmp_eq_u32_e64 s[28:29], 0, v3
	v_mov_b32_e32 v2, 0x7f800001
	v_cndmask_b32_e64 v2, v2, v1, s[28:29]
; %bb.1686:                             ;   in Loop: Header=BB4_1514 Depth=4
	s_or_b64 exec, exec, s[38:39]
.LBB4_1687:                             ;   in Loop: Header=BB4_1514 Depth=4
	s_or_b64 exec, exec, s[42:43]
.LBB4_1688:                             ;   in Loop: Header=BB4_1514 Depth=4
	s_or_b64 exec, exec, s[40:41]
	v_lshrrev_b16_e32 v60, 8, v0
	v_cmp_lt_i16_e64 s[28:29], s44, v60
	s_mov_b64 s[40:41], 0
	s_and_saveexec_b64 s[42:43], s[28:29]
	s_xor_b64 s[42:43], exec, s[42:43]
	s_cbranch_execz .LBB4_2043
; %bb.1689:                             ;   in Loop: Header=BB4_1514 Depth=4
	v_cmp_eq_u16_e64 s[28:29], s81, v60
	s_mov_b64 s[40:41], -1
	s_and_saveexec_b64 s[38:39], s[28:29]
; %bb.1690:                             ;   in Loop: Header=BB4_1514 Depth=4
	s_xor_b64 s[40:41], exec, -1
; %bb.1691:                             ;   in Loop: Header=BB4_1514 Depth=4
	s_or_b64 exec, exec, s[38:39]
	s_and_b64 s[40:41], s[40:41], exec
	s_or_saveexec_b64 s[42:43], s[42:43]
	v_bfrev_b32_e32 v1, 1
	s_xor_b64 exec, exec, s[42:43]
	s_cbranch_execnz .LBB4_2044
.LBB4_1692:                             ;   in Loop: Header=BB4_1514 Depth=4
	s_or_b64 exec, exec, s[42:43]
	s_and_saveexec_b64 s[38:39], s[40:41]
	s_cbranch_execz .LBB4_1694
.LBB4_1693:                             ;   in Loop: Header=BB4_1514 Depth=4
	v_and_b32_e32 v1, 3, v60
	v_and_b32_e32 v29, 0x7c, v60
	v_cmp_eq_u32_e64 s[28:29], s71, v29
	v_ffbh_u32_e32 v29, v1
	v_min_u32_e32 v31, 32, v29
	v_subrev_u32_e32 v29, 29, v31
	v_bfe_u32 v3, v60, 2, 5
	v_lshlrev_b64 v[29:30], v29, v[60:61]
	v_cmp_eq_u32_e64 s[40:41], 0, v3
	v_sub_u32_e32 v30, 30, v31
	v_cndmask_b32_e64 v3, v3, v30, s[40:41]
	v_lshlrev_b32_e32 v30, 24, v60
	v_and_b32_e32 v29, 3, v29
	v_and_b32_e32 v30, 0x80000000, v30
	v_cndmask_b32_e64 v29, v1, v29, s[40:41]
	v_lshl_add_u32 v3, v3, 23, v30
	v_cmp_lt_i16_e64 s[42:43], -1, v0
	v_mov_b32_e32 v0, 0xff800000
	v_lshl_or_b32 v3, v29, 21, v3
	v_cmp_eq_u32_e64 s[40:41], 0, v1
	v_cndmask_b32_e64 v0, v0, v47, s[42:43]
	v_mov_b32_e32 v1, 0x7f800001
	v_add_u32_e32 v3, 0x38000000, v3
	v_cndmask_b32_e64 v0, v1, v0, s[40:41]
	v_cndmask_b32_e64 v1, v3, v0, s[28:29]
.LBB4_1694:                             ;   in Loop: Header=BB4_1514 Depth=4
	s_or_b64 exec, exec, s[38:39]
	v_mul_f32_e32 v0, v2, v1
	v_and_b32_e32 v1, 0x7f800000, v0
	v_mov_b32_e32 v2, v61
	v_cmp_ne_u64_e64 s[28:29], s[62:63], v[1:2]
	v_and_b32_e32 v60, 0x7fffff, v0
                                        ; implicit-def: $vgpr29
	s_and_saveexec_b64 s[40:41], s[28:29]
	s_xor_b64 s[42:43], exec, s[40:41]
	s_cbranch_execz .LBB4_1708
; %bb.1695:                             ;   in Loop: Header=BB4_1514 Depth=4
	v_and_b32_e32 v1, 0x7fffffff, v0
	v_mov_b32_e32 v2, v61
	v_cmp_gt_u64_e64 s[28:29], s[78:79], v[1:2]
	v_and_b32_sdwa v3, v0, s81 dst_sel:DWORD dst_unused:UNUSED_PAD src0_sel:BYTE_3 src1_sel:DWORD
                                        ; implicit-def: $vgpr29
	s_and_saveexec_b64 s[40:41], s[28:29]
	s_xor_b64 s[38:39], exec, s[40:41]
	s_cbranch_execz .LBB4_1705
; %bb.1696:                             ;   in Loop: Header=BB4_1514 Depth=4
	v_mov_b32_e32 v29, 0
	v_cmp_ne_u32_e64 s[28:29], 0, v0
	s_and_saveexec_b64 s[48:49], s[28:29]
	s_cbranch_execz .LBB4_1704
; %bb.1697:                             ;   in Loop: Header=BB4_1514 Depth=4
	v_bfe_u32 v29, v0, 23, 8
	v_cmp_gt_u32_e64 s[40:41], s47, v29
	v_sub_u32_e32 v0, 0x71, v29
	v_cmp_eq_u32_e64 s[28:29], 0, v29
	v_cndmask_b32_e64 v0, 0, v0, s[40:41]
	v_mov_b32_e32 v2, 0x70
	v_cndmask_b32_e64 v30, v0, v2, s[28:29]
	v_or_b32_e32 v1, 0x800000, v60
	v_add_u32_e32 v0, 21, v30
	v_cndmask_b32_e64 v60, v1, v60, s[28:29]
	v_lshlrev_b64 v[0:1], v0, -1
	v_add_u32_e32 v2, 20, v30
	v_lshlrev_b64 v[34:35], v2, 1
	v_bfi_b32 v1, v1, 0, 0
	v_bfi_b32 v0, v0, 0, v60
	v_cmp_eq_u64_e64 s[40:41], v[0:1], v[34:35]
	v_lshrrev_b64 v[0:1], v30, v[60:61]
	v_mov_b32_e32 v2, v1
	v_mov_b32_e32 v1, v0
	s_and_saveexec_b64 s[50:51], s[40:41]
; %bb.1698:                             ;   in Loop: Header=BB4_1514 Depth=4
	v_bfe_u32 v1, v0, 21, 1
	v_add_co_u32_e64 v1, s[40:41], v0, v1
	v_add_co_u32_e64 v1, s[40:41], -1, v1
; %bb.1699:                             ;   in Loop: Header=BB4_1514 Depth=4
	s_or_b64 exec, exec, s[50:51]
	v_add_u32_e32 v2, 0xffffff81, v29
	v_mov_b32_e32 v29, 0xffffff82
	v_cndmask_b32_e64 v2, v2, v29, s[28:29]
	v_lshrrev_b32_e32 v29, 23, v0
	v_add3_u32 v30, v30, v2, v29
	v_add_u32_e32 v29, 14, v30
	v_and_b32_e32 v1, 0x1fffff, v1
	v_add_u32_e32 v60, v1, v0
	v_cmp_ne_u32_e64 s[28:29], 0, v29
                                        ; implicit-def: $vgpr0_vgpr1
                                        ; implicit-def: $vgpr2
	s_and_saveexec_b64 s[40:41], s[28:29]
	s_xor_b64 s[40:41], exec, s[40:41]
; %bb.1700:                             ;   in Loop: Header=BB4_1514 Depth=4
	v_cmp_lt_u64_e64 s[28:29], s[88:89], v[60:61]
	v_add_u32_e32 v0, 15, v30
	v_cndmask_b32_e64 v2, v29, v0, s[28:29]
	v_cndmask_b32_e64 v0, 0, 1, s[28:29]
	v_lshrrev_b64 v[0:1], v0, v[60:61]
; %bb.1701:                             ;   in Loop: Header=BB4_1514 Depth=4
	s_andn2_saveexec_b64 s[28:29], s[40:41]
; %bb.1702:                             ;   in Loop: Header=BB4_1514 Depth=4
	v_mov_b32_e32 v0, v60
	v_bfe_u32 v2, v60, 23, 1
	v_mov_b32_e32 v1, v61
; %bb.1703:                             ;   in Loop: Header=BB4_1514 Depth=4
	s_or_b64 exec, exec, s[28:29]
	v_lshrrev_b64 v[0:1], 21, v[0:1]
	v_cmp_gt_i32_e64 s[28:29], 32, v2
	v_cndmask_b32_e64 v1, 0, v1, s[28:29]
	v_cndmask_b32_e64 v0, 3, v0, s[28:29]
	v_cmp_eq_u64_e64 s[40:41], 0, v[0:1]
	v_min_i32_e32 v1, 31, v2
	v_lshlrev_b32_e32 v1, 2, v1
	v_cmp_eq_u32_e64 s[28:29], 0, v2
	v_and_b32_e32 v1, 0xfc, v1
	v_and_or_b32 v0, v0, 3, v1
	s_and_b64 s[28:29], s[28:29], s[40:41]
	v_cndmask_b32_e64 v0, v0, 0, s[28:29]
	v_or_b32_e32 v29, v0, v3
.LBB4_1704:                             ;   in Loop: Header=BB4_1514 Depth=4
	s_or_b64 exec, exec, s[48:49]
                                        ; implicit-def: $vgpr3
.LBB4_1705:                             ;   in Loop: Header=BB4_1514 Depth=4
	s_andn2_saveexec_b64 s[28:29], s[38:39]
; %bb.1706:                             ;   in Loop: Header=BB4_1514 Depth=4
	v_or_b32_e32 v29, 0x7b, v3
; %bb.1707:                             ;   in Loop: Header=BB4_1514 Depth=4
	s_or_b64 exec, exec, s[28:29]
                                        ; implicit-def: $vgpr0
.LBB4_1708:                             ;   in Loop: Header=BB4_1514 Depth=4
	s_andn2_saveexec_b64 s[40:41], s[42:43]
	s_cbranch_execz .LBB4_1714
; %bb.1709:                             ;   in Loop: Header=BB4_1514 Depth=4
	v_cmp_ne_u64_e64 s[28:29], 0, v[60:61]
                                        ; implicit-def: $vgpr29
	s_and_saveexec_b64 s[42:43], s[28:29]
	s_xor_b64 s[28:29], exec, s[42:43]
; %bb.1710:                             ;   in Loop: Header=BB4_1514 Depth=4
	v_or_b32_sdwa v29, v0, s44 dst_sel:DWORD dst_unused:UNUSED_PAD src0_sel:BYTE_3 src1_sel:DWORD
                                        ; implicit-def: $vgpr0
; %bb.1711:                             ;   in Loop: Header=BB4_1514 Depth=4
	s_andn2_saveexec_b64 s[42:43], s[28:29]
; %bb.1712:                             ;   in Loop: Header=BB4_1514 Depth=4
	v_cmp_lt_i32_e64 s[28:29], -1, v0
	v_bfrev_b32_e32 v0, 0.5
	v_mov_b32_e32 v1, 0x7c
	v_cndmask_b32_e64 v29, v0, v1, s[28:29]
; %bb.1713:                             ;   in Loop: Header=BB4_1514 Depth=4
	s_or_b64 exec, exec, s[42:43]
.LBB4_1714:                             ;   in Loop: Header=BB4_1514 Depth=4
	s_or_b64 exec, exec, s[40:41]
	v_lshrrev_b32_e32 v0, 16, v13
	v_cmp_ne_u16_sdwa s[28:29], v0, v61 src0_sel:BYTE_0 src1_sel:DWORD
	v_mov_b32_e32 v1, 0
	s_and_saveexec_b64 s[40:41], s[28:29]
	s_cbranch_execz .LBB4_1722
; %bb.1715:                             ;   in Loop: Header=BB4_1514 Depth=4
	v_cmp_ne_u16_sdwa s[28:29], v0, s81 src0_sel:BYTE_0 src1_sel:DWORD
	v_bfrev_b32_e32 v1, 1
	s_and_saveexec_b64 s[42:43], s[28:29]
	s_cbranch_execz .LBB4_1721
; %bb.1716:                             ;   in Loop: Header=BB4_1514 Depth=4
	v_and_b32_e32 v1, 0x7c0000, v13
	v_bfe_u32 v2, v13, 16, 2
	v_cmp_ne_u32_e64 s[28:29], s45, v1
                                        ; implicit-def: $vgpr1
	s_and_saveexec_b64 s[38:39], s[28:29]
	s_xor_b64 s[38:39], exec, s[38:39]
	s_cbranch_execz .LBB4_1718
; %bb.1717:                             ;   in Loop: Header=BB4_1514 Depth=4
	v_ffbh_u32_e32 v1, v2
	v_min_u32_e32 v30, 32, v1
	v_subrev_u32_e32 v1, 29, v30
	v_lshlrev_b64 v[0:1], v1, v[0:1]
	v_bfe_u32 v3, v13, 18, 5
	v_and_b32_e32 v0, 3, v0
	v_cmp_eq_u32_e64 s[28:29], 0, v3
	v_sub_u32_e32 v1, 30, v30
	v_cndmask_b32_e64 v0, v2, v0, s[28:29]
	v_lshlrev_b32_e32 v2, 8, v13
	v_cndmask_b32_e64 v1, v3, v1, s[28:29]
	v_and_b32_e32 v2, 0x80000000, v2
	v_lshl_add_u32 v1, v1, 23, v2
	v_lshl_or_b32 v0, v0, 21, v1
	v_add_u32_e32 v1, 0x38000000, v0
                                        ; implicit-def: $vgpr2
                                        ; implicit-def: $vgpr0
.LBB4_1718:                             ;   in Loop: Header=BB4_1514 Depth=4
	s_andn2_saveexec_b64 s[38:39], s[38:39]
; %bb.1719:                             ;   in Loop: Header=BB4_1514 Depth=4
	v_mov_b32_e32 v1, -1
	v_cmp_gt_i16_sdwa s[28:29], sext(v0), v1 src0_sel:BYTE_0 src1_sel:DWORD
	v_mov_b32_e32 v0, 0xff800000
	v_cndmask_b32_e64 v0, v0, v47, s[28:29]
	v_cmp_eq_u32_e64 s[28:29], 0, v2
	v_mov_b32_e32 v1, 0x7f800001
	v_cndmask_b32_e64 v1, v1, v0, s[28:29]
; %bb.1720:                             ;   in Loop: Header=BB4_1514 Depth=4
	s_or_b64 exec, exec, s[38:39]
.LBB4_1721:                             ;   in Loop: Header=BB4_1514 Depth=4
	s_or_b64 exec, exec, s[42:43]
.LBB4_1722:                             ;   in Loop: Header=BB4_1514 Depth=4
	s_or_b64 exec, exec, s[40:41]
	v_lshrrev_b32_e32 v0, 16, v9
	v_cmp_gt_i16_sdwa s[40:41], v0, s44 src0_sel:BYTE_0 src1_sel:DWORD
	s_mov_b64 s[28:29], 0
	s_and_saveexec_b64 s[42:43], s[40:41]
	s_xor_b64 s[40:41], exec, s[42:43]
	s_cbranch_execz .LBB4_2045
; %bb.1723:                             ;   in Loop: Header=BB4_1514 Depth=4
	v_cmp_eq_u16_sdwa s[38:39], v0, s81 src0_sel:BYTE_0 src1_sel:DWORD
	s_mov_b64 s[28:29], -1
	s_and_saveexec_b64 s[42:43], s[38:39]
; %bb.1724:                             ;   in Loop: Header=BB4_1514 Depth=4
	s_xor_b64 s[28:29], exec, -1
; %bb.1725:                             ;   in Loop: Header=BB4_1514 Depth=4
	s_or_b64 exec, exec, s[42:43]
	s_and_b64 s[28:29], s[28:29], exec
	s_or_saveexec_b64 s[40:41], s[40:41]
	v_bfrev_b32_e32 v2, 1
	s_xor_b64 exec, exec, s[40:41]
	s_cbranch_execnz .LBB4_2046
.LBB4_1726:                             ;   in Loop: Header=BB4_1514 Depth=4
	s_or_b64 exec, exec, s[40:41]
	s_and_saveexec_b64 s[38:39], s[28:29]
	s_cbranch_execz .LBB4_1728
.LBB4_1727:                             ;   in Loop: Header=BB4_1514 Depth=4
	v_and_b32_e32 v30, 3, v0
	v_and_b32_e32 v2, 0x7c0000, v9
	v_cmp_eq_u32_e64 s[28:29], s45, v2
	v_ffbh_u32_e32 v2, v30
	v_min_u32_e32 v34, 32, v2
	v_subrev_u32_e32 v2, 29, v34
	v_bfe_u32 v31, v9, 18, 5
	v_lshlrev_b64 v[2:3], v2, v[0:1]
	v_cmp_eq_u32_e64 s[40:41], 0, v31
	v_sub_u32_e32 v3, 30, v34
	v_cndmask_b32_e64 v3, v31, v3, s[40:41]
	v_lshlrev_b32_e32 v31, 24, v0
	v_and_b32_e32 v2, 3, v2
	v_and_b32_e32 v31, 0x80000000, v31
	v_cndmask_b32_e64 v2, v30, v2, s[40:41]
	v_lshl_add_u32 v3, v3, 23, v31
	v_lshl_or_b32 v2, v2, 21, v3
	v_mov_b32_e32 v3, -1
	v_cmp_gt_i16_sdwa s[42:43], sext(v0), v3 src0_sel:BYTE_0 src1_sel:DWORD
	v_mov_b32_e32 v0, 0xff800000
	v_cmp_eq_u32_e64 s[40:41], 0, v30
	v_cndmask_b32_e64 v0, v0, v47, s[42:43]
	v_mov_b32_e32 v3, 0x7f800001
	v_add_u32_e32 v2, 0x38000000, v2
	v_cndmask_b32_e64 v0, v3, v0, s[40:41]
	v_cndmask_b32_e64 v2, v2, v0, s[28:29]
.LBB4_1728:                             ;   in Loop: Header=BB4_1514 Depth=4
	s_or_b64 exec, exec, s[38:39]
	v_mul_f32_e32 v0, v1, v2
	v_and_b32_e32 v1, 0x7f800000, v0
	v_mov_b32_e32 v2, v61
	v_cmp_ne_u64_e64 s[28:29], s[62:63], v[1:2]
	v_and_b32_e32 v60, 0x7fffff, v0
                                        ; implicit-def: $vgpr30
	s_and_saveexec_b64 s[40:41], s[28:29]
	s_xor_b64 s[42:43], exec, s[40:41]
	s_cbranch_execz .LBB4_1742
; %bb.1729:                             ;   in Loop: Header=BB4_1514 Depth=4
	v_and_b32_e32 v1, 0x7fffffff, v0
	v_mov_b32_e32 v2, v61
	v_cmp_gt_u64_e64 s[28:29], s[78:79], v[1:2]
	v_and_b32_sdwa v3, v0, s81 dst_sel:DWORD dst_unused:UNUSED_PAD src0_sel:BYTE_3 src1_sel:DWORD
                                        ; implicit-def: $vgpr30
	s_and_saveexec_b64 s[40:41], s[28:29]
	s_xor_b64 s[38:39], exec, s[40:41]
	s_cbranch_execz .LBB4_1739
; %bb.1730:                             ;   in Loop: Header=BB4_1514 Depth=4
	v_mov_b32_e32 v30, 0
	v_cmp_ne_u32_e64 s[28:29], 0, v0
	s_and_saveexec_b64 s[48:49], s[28:29]
	s_cbranch_execz .LBB4_1738
; %bb.1731:                             ;   in Loop: Header=BB4_1514 Depth=4
	v_bfe_u32 v30, v0, 23, 8
	v_cmp_gt_u32_e64 s[40:41], s47, v30
	v_sub_u32_e32 v0, 0x71, v30
	v_cmp_eq_u32_e64 s[28:29], 0, v30
	v_cndmask_b32_e64 v0, 0, v0, s[40:41]
	v_mov_b32_e32 v2, 0x70
	v_cndmask_b32_e64 v31, v0, v2, s[28:29]
	v_or_b32_e32 v1, 0x800000, v60
	v_add_u32_e32 v0, 21, v31
	v_cndmask_b32_e64 v60, v1, v60, s[28:29]
	v_lshlrev_b64 v[0:1], v0, -1
	v_add_u32_e32 v2, 20, v31
	v_lshlrev_b64 v[34:35], v2, 1
	v_bfi_b32 v1, v1, 0, 0
	v_bfi_b32 v0, v0, 0, v60
	v_cmp_eq_u64_e64 s[40:41], v[0:1], v[34:35]
	v_lshrrev_b64 v[0:1], v31, v[60:61]
	v_mov_b32_e32 v2, v1
	v_mov_b32_e32 v1, v0
	s_and_saveexec_b64 s[50:51], s[40:41]
; %bb.1732:                             ;   in Loop: Header=BB4_1514 Depth=4
	v_bfe_u32 v1, v0, 21, 1
	v_add_co_u32_e64 v1, s[40:41], v0, v1
	v_add_co_u32_e64 v1, s[40:41], -1, v1
; %bb.1733:                             ;   in Loop: Header=BB4_1514 Depth=4
	s_or_b64 exec, exec, s[50:51]
	v_add_u32_e32 v2, 0xffffff81, v30
	v_mov_b32_e32 v30, 0xffffff82
	v_cndmask_b32_e64 v2, v2, v30, s[28:29]
	v_lshrrev_b32_e32 v30, 23, v0
	v_add3_u32 v31, v31, v2, v30
	v_add_u32_e32 v30, 14, v31
	v_and_b32_e32 v1, 0x1fffff, v1
	v_add_u32_e32 v60, v1, v0
	v_cmp_ne_u32_e64 s[28:29], 0, v30
                                        ; implicit-def: $vgpr0_vgpr1
                                        ; implicit-def: $vgpr2
	s_and_saveexec_b64 s[40:41], s[28:29]
	s_xor_b64 s[40:41], exec, s[40:41]
; %bb.1734:                             ;   in Loop: Header=BB4_1514 Depth=4
	v_cmp_lt_u64_e64 s[28:29], s[88:89], v[60:61]
	v_add_u32_e32 v0, 15, v31
	v_cndmask_b32_e64 v2, v30, v0, s[28:29]
	v_cndmask_b32_e64 v0, 0, 1, s[28:29]
	v_lshrrev_b64 v[0:1], v0, v[60:61]
; %bb.1735:                             ;   in Loop: Header=BB4_1514 Depth=4
	s_andn2_saveexec_b64 s[28:29], s[40:41]
; %bb.1736:                             ;   in Loop: Header=BB4_1514 Depth=4
	v_mov_b32_e32 v0, v60
	v_bfe_u32 v2, v60, 23, 1
	v_mov_b32_e32 v1, v61
; %bb.1737:                             ;   in Loop: Header=BB4_1514 Depth=4
	s_or_b64 exec, exec, s[28:29]
	v_lshrrev_b64 v[0:1], 21, v[0:1]
	v_cmp_gt_i32_e64 s[28:29], 32, v2
	v_cndmask_b32_e64 v1, 0, v1, s[28:29]
	v_cndmask_b32_e64 v0, 3, v0, s[28:29]
	v_cmp_eq_u64_e64 s[40:41], 0, v[0:1]
	v_min_i32_e32 v1, 31, v2
	v_lshlrev_b32_e32 v1, 2, v1
	v_cmp_eq_u32_e64 s[28:29], 0, v2
	v_and_b32_e32 v1, 0xfc, v1
	v_and_or_b32 v0, v0, 3, v1
	s_and_b64 s[28:29], s[28:29], s[40:41]
	v_cndmask_b32_e64 v0, v0, 0, s[28:29]
	v_or_b32_e32 v30, v0, v3
.LBB4_1738:                             ;   in Loop: Header=BB4_1514 Depth=4
	s_or_b64 exec, exec, s[48:49]
                                        ; implicit-def: $vgpr3
.LBB4_1739:                             ;   in Loop: Header=BB4_1514 Depth=4
	s_andn2_saveexec_b64 s[28:29], s[38:39]
; %bb.1740:                             ;   in Loop: Header=BB4_1514 Depth=4
	v_or_b32_e32 v30, 0x7b, v3
; %bb.1741:                             ;   in Loop: Header=BB4_1514 Depth=4
	s_or_b64 exec, exec, s[28:29]
                                        ; implicit-def: $vgpr0
.LBB4_1742:                             ;   in Loop: Header=BB4_1514 Depth=4
	s_andn2_saveexec_b64 s[40:41], s[42:43]
	s_cbranch_execz .LBB4_1748
; %bb.1743:                             ;   in Loop: Header=BB4_1514 Depth=4
	v_cmp_ne_u64_e64 s[28:29], 0, v[60:61]
                                        ; implicit-def: $vgpr30
	s_and_saveexec_b64 s[42:43], s[28:29]
	s_xor_b64 s[28:29], exec, s[42:43]
; %bb.1744:                             ;   in Loop: Header=BB4_1514 Depth=4
	v_or_b32_sdwa v30, v0, s44 dst_sel:DWORD dst_unused:UNUSED_PAD src0_sel:BYTE_3 src1_sel:DWORD
                                        ; implicit-def: $vgpr0
; %bb.1745:                             ;   in Loop: Header=BB4_1514 Depth=4
	s_andn2_saveexec_b64 s[42:43], s[28:29]
; %bb.1746:                             ;   in Loop: Header=BB4_1514 Depth=4
	v_cmp_lt_i32_e64 s[28:29], -1, v0
	v_bfrev_b32_e32 v0, 0.5
	v_mov_b32_e32 v1, 0x7c
	v_cndmask_b32_e64 v30, v0, v1, s[28:29]
; %bb.1747:                             ;   in Loop: Header=BB4_1514 Depth=4
	s_or_b64 exec, exec, s[42:43]
.LBB4_1748:                             ;   in Loop: Header=BB4_1514 Depth=4
	s_or_b64 exec, exec, s[40:41]
	v_cmp_lt_u64_e64 s[28:29], s[56:57], v[12:13]
	v_mov_b32_e32 v1, 0
	s_and_saveexec_b64 s[40:41], s[28:29]
	s_cbranch_execz .LBB4_1756
; %bb.1749:                             ;   in Loop: Header=BB4_1514 Depth=4
	v_lshrrev_b32_e32 v0, 24, v13
	v_cmp_ne_u32_e64 s[28:29], s81, v0
	v_bfrev_b32_e32 v1, 1
	s_and_saveexec_b64 s[42:43], s[28:29]
	s_cbranch_execz .LBB4_1755
; %bb.1750:                             ;   in Loop: Header=BB4_1514 Depth=4
	v_and_b32_e32 v1, 0x7c000000, v13
	v_bfe_u32 v2, v13, 24, 2
	v_cmp_ne_u32_e64 s[28:29], s82, v1
                                        ; implicit-def: $vgpr1
	s_and_saveexec_b64 s[38:39], s[28:29]
	s_xor_b64 s[38:39], exec, s[38:39]
	s_cbranch_execz .LBB4_1752
; %bb.1751:                             ;   in Loop: Header=BB4_1514 Depth=4
	v_ffbh_u32_e32 v1, v2
	v_min_u32_e32 v31, 32, v1
	v_subrev_u32_e32 v1, 29, v31
	v_lshlrev_b64 v[0:1], v1, v[0:1]
	v_bfe_u32 v3, v13, 26, 5
	v_sub_u32_e32 v1, 30, v31
	v_and_b32_e32 v0, 3, v0
	v_cmp_eq_u32_e64 s[28:29], 0, v3
	v_cndmask_b32_e64 v1, v3, v1, s[28:29]
	v_cndmask_b32_e64 v0, v2, v0, s[28:29]
	v_and_b32_e32 v2, 0x80000000, v13
	v_lshl_add_u32 v1, v1, 23, v2
	v_lshl_or_b32 v0, v0, 21, v1
	v_add_u32_e32 v1, 0x38000000, v0
                                        ; implicit-def: $vgpr2
.LBB4_1752:                             ;   in Loop: Header=BB4_1514 Depth=4
	s_andn2_saveexec_b64 s[38:39], s[38:39]
; %bb.1753:                             ;   in Loop: Header=BB4_1514 Depth=4
	v_cmp_lt_i64_e64 s[28:29], -1, v[12:13]
	v_mov_b32_e32 v0, 0xff800000
	v_cndmask_b32_e64 v0, v0, v47, s[28:29]
	v_cmp_eq_u32_e64 s[28:29], 0, v2
	v_mov_b32_e32 v1, 0x7f800001
	v_cndmask_b32_e64 v1, v1, v0, s[28:29]
; %bb.1754:                             ;   in Loop: Header=BB4_1514 Depth=4
	s_or_b64 exec, exec, s[38:39]
.LBB4_1755:                             ;   in Loop: Header=BB4_1514 Depth=4
	s_or_b64 exec, exec, s[42:43]
.LBB4_1756:                             ;   in Loop: Header=BB4_1514 Depth=4
	s_or_b64 exec, exec, s[40:41]
	v_bfe_u32 v12, v9, 24, 2
	v_and_b32_e32 v2, 0x7c000000, v9
	v_cmp_eq_u32_e64 s[28:29], s82, v2
	v_ffbh_u32_e32 v2, v12
	v_min_u32_e32 v31, 32, v2
	v_lshrrev_b32_e32 v0, 24, v9
	v_subrev_u32_e32 v2, 29, v31
	v_bfe_u32 v13, v9, 26, 5
	v_lshlrev_b64 v[2:3], v2, v[0:1]
	v_cmp_eq_u32_e64 s[40:41], 0, v13
	v_sub_u32_e32 v3, 30, v31
	v_and_b32_e32 v2, 3, v2
	v_cndmask_b32_e64 v3, v13, v3, s[40:41]
	v_and_b32_e32 v13, 0x80000000, v9
	v_cndmask_b32_e64 v2, v12, v2, s[40:41]
	v_lshl_add_u32 v3, v3, 23, v13
	v_cmp_lt_i64_e64 s[42:43], -1, v[8:9]
	v_lshl_or_b32 v2, v2, 21, v3
	v_mov_b32_e32 v3, 0xff800000
	v_cmp_eq_u32_e64 s[40:41], 0, v12
	v_cndmask_b32_e64 v3, v3, v47, s[42:43]
	v_mov_b32_e32 v12, 0x7f800001
	v_add_u32_e32 v2, 0x38000000, v2
	v_cndmask_b32_e64 v3, v12, v3, s[40:41]
	v_cndmask_b32_e64 v2, v2, v3, s[28:29]
	v_cmp_ne_u32_e64 s[28:29], s81, v0
	v_bfrev_b32_e32 v0, 1
	v_cndmask_b32_e64 v0, v0, v2, s[28:29]
	v_cmp_lt_u64_e64 s[28:29], s[56:57], v[8:9]
	v_mov_b32_e32 v2, v61
	v_cndmask_b32_e64 v0, 0, v0, s[28:29]
	v_mul_f32_e32 v0, v0, v1
	v_and_b32_e32 v1, 0x7f800000, v0
	v_cmp_ne_u64_e64 s[28:29], s[62:63], v[1:2]
	v_and_b32_e32 v60, 0x7fffff, v0
                                        ; implicit-def: $vgpr8
	s_and_saveexec_b64 s[40:41], s[28:29]
	s_xor_b64 s[42:43], exec, s[40:41]
	s_cbranch_execz .LBB4_1770
; %bb.1757:                             ;   in Loop: Header=BB4_1514 Depth=4
	v_and_b32_e32 v1, 0x7fffffff, v0
	v_mov_b32_e32 v2, v61
	v_cmp_gt_u64_e64 s[28:29], s[78:79], v[1:2]
	v_and_b32_sdwa v3, v0, s81 dst_sel:DWORD dst_unused:UNUSED_PAD src0_sel:BYTE_3 src1_sel:DWORD
                                        ; implicit-def: $vgpr8
	s_and_saveexec_b64 s[40:41], s[28:29]
	s_xor_b64 s[38:39], exec, s[40:41]
	s_cbranch_execz .LBB4_1767
; %bb.1758:                             ;   in Loop: Header=BB4_1514 Depth=4
	v_mov_b32_e32 v8, 0
	v_cmp_ne_u32_e64 s[28:29], 0, v0
	s_and_saveexec_b64 s[48:49], s[28:29]
	s_cbranch_execz .LBB4_1766
; %bb.1759:                             ;   in Loop: Header=BB4_1514 Depth=4
	v_bfe_u32 v8, v0, 23, 8
	v_cmp_gt_u32_e64 s[40:41], s47, v8
	v_sub_u32_e32 v0, 0x71, v8
	v_cmp_eq_u32_e64 s[28:29], 0, v8
	v_cndmask_b32_e64 v0, 0, v0, s[40:41]
	v_mov_b32_e32 v2, 0x70
	v_cndmask_b32_e64 v9, v0, v2, s[28:29]
	v_or_b32_e32 v1, 0x800000, v60
	v_add_u32_e32 v0, 21, v9
	v_cndmask_b32_e64 v60, v1, v60, s[28:29]
	v_lshlrev_b64 v[0:1], v0, -1
	v_add_u32_e32 v2, 20, v9
	v_lshlrev_b64 v[12:13], v2, 1
	v_bfi_b32 v1, v1, 0, 0
	v_bfi_b32 v0, v0, 0, v60
	v_cmp_eq_u64_e64 s[40:41], v[0:1], v[12:13]
	v_lshrrev_b64 v[0:1], v9, v[60:61]
	v_mov_b32_e32 v2, v1
	v_mov_b32_e32 v1, v0
	s_and_saveexec_b64 s[50:51], s[40:41]
; %bb.1760:                             ;   in Loop: Header=BB4_1514 Depth=4
	v_bfe_u32 v1, v0, 21, 1
	v_add_co_u32_e64 v1, s[40:41], v0, v1
	v_add_co_u32_e64 v1, s[40:41], -1, v1
; %bb.1761:                             ;   in Loop: Header=BB4_1514 Depth=4
	s_or_b64 exec, exec, s[50:51]
	v_add_u32_e32 v2, 0xffffff81, v8
	v_mov_b32_e32 v8, 0xffffff82
	v_cndmask_b32_e64 v2, v2, v8, s[28:29]
	v_lshrrev_b32_e32 v8, 23, v0
	v_add3_u32 v9, v9, v2, v8
	v_add_u32_e32 v8, 14, v9
	v_and_b32_e32 v1, 0x1fffff, v1
	v_add_u32_e32 v60, v1, v0
	v_cmp_ne_u32_e64 s[28:29], 0, v8
                                        ; implicit-def: $vgpr0_vgpr1
                                        ; implicit-def: $vgpr2
	s_and_saveexec_b64 s[40:41], s[28:29]
	s_xor_b64 s[40:41], exec, s[40:41]
; %bb.1762:                             ;   in Loop: Header=BB4_1514 Depth=4
	v_cmp_lt_u64_e64 s[28:29], s[88:89], v[60:61]
	v_add_u32_e32 v0, 15, v9
	v_cndmask_b32_e64 v2, v8, v0, s[28:29]
	v_cndmask_b32_e64 v0, 0, 1, s[28:29]
	v_lshrrev_b64 v[0:1], v0, v[60:61]
; %bb.1763:                             ;   in Loop: Header=BB4_1514 Depth=4
	s_andn2_saveexec_b64 s[28:29], s[40:41]
; %bb.1764:                             ;   in Loop: Header=BB4_1514 Depth=4
	v_mov_b32_e32 v0, v60
	v_bfe_u32 v2, v60, 23, 1
	v_mov_b32_e32 v1, v61
; %bb.1765:                             ;   in Loop: Header=BB4_1514 Depth=4
	s_or_b64 exec, exec, s[28:29]
	v_lshrrev_b64 v[0:1], 21, v[0:1]
	v_cmp_gt_i32_e64 s[28:29], 32, v2
	v_cndmask_b32_e64 v1, 0, v1, s[28:29]
	v_cndmask_b32_e64 v0, 3, v0, s[28:29]
	v_cmp_eq_u64_e64 s[40:41], 0, v[0:1]
	v_min_i32_e32 v1, 31, v2
	v_lshlrev_b32_e32 v1, 2, v1
	v_cmp_eq_u32_e64 s[28:29], 0, v2
	v_and_b32_e32 v1, 0xfc, v1
	v_and_or_b32 v0, v0, 3, v1
	s_and_b64 s[28:29], s[28:29], s[40:41]
	v_cndmask_b32_e64 v0, v0, 0, s[28:29]
	v_or_b32_e32 v8, v0, v3
.LBB4_1766:                             ;   in Loop: Header=BB4_1514 Depth=4
	s_or_b64 exec, exec, s[48:49]
                                        ; implicit-def: $vgpr3
.LBB4_1767:                             ;   in Loop: Header=BB4_1514 Depth=4
	s_andn2_saveexec_b64 s[28:29], s[38:39]
; %bb.1768:                             ;   in Loop: Header=BB4_1514 Depth=4
	v_or_b32_e32 v8, 0x7b, v3
; %bb.1769:                             ;   in Loop: Header=BB4_1514 Depth=4
	s_or_b64 exec, exec, s[28:29]
                                        ; implicit-def: $vgpr0
.LBB4_1770:                             ;   in Loop: Header=BB4_1514 Depth=4
	s_andn2_saveexec_b64 s[40:41], s[42:43]
	s_cbranch_execz .LBB4_1776
; %bb.1771:                             ;   in Loop: Header=BB4_1514 Depth=4
	v_cmp_ne_u64_e64 s[28:29], 0, v[60:61]
                                        ; implicit-def: $vgpr8
	s_and_saveexec_b64 s[42:43], s[28:29]
	s_xor_b64 s[28:29], exec, s[42:43]
; %bb.1772:                             ;   in Loop: Header=BB4_1514 Depth=4
	v_or_b32_sdwa v8, v0, s44 dst_sel:DWORD dst_unused:UNUSED_PAD src0_sel:BYTE_3 src1_sel:DWORD
                                        ; implicit-def: $vgpr0
; %bb.1773:                             ;   in Loop: Header=BB4_1514 Depth=4
	s_andn2_saveexec_b64 s[42:43], s[28:29]
; %bb.1774:                             ;   in Loop: Header=BB4_1514 Depth=4
	v_cmp_lt_i32_e64 s[28:29], -1, v0
	v_bfrev_b32_e32 v0, 0.5
	v_mov_b32_e32 v1, 0x7c
	v_cndmask_b32_e64 v8, v0, v1, s[28:29]
; %bb.1775:                             ;   in Loop: Header=BB4_1514 Depth=4
	s_or_b64 exec, exec, s[42:43]
.LBB4_1776:                             ;   in Loop: Header=BB4_1514 Depth=4
	s_or_b64 exec, exec, s[40:41]
	v_cmp_ne_u16_sdwa s[28:29], v14, v61 src0_sel:BYTE_0 src1_sel:DWORD
	v_mov_b32_e32 v0, 0
	s_and_saveexec_b64 s[40:41], s[28:29]
	s_cbranch_execz .LBB4_1784
; %bb.1777:                             ;   in Loop: Header=BB4_1514 Depth=4
	v_cmp_ne_u16_sdwa s[28:29], sext(v14), s70 src0_sel:BYTE_0 src1_sel:DWORD
	v_bfrev_b32_e32 v0, 1
	s_and_saveexec_b64 s[42:43], s[28:29]
	s_cbranch_execz .LBB4_1783
; %bb.1778:                             ;   in Loop: Header=BB4_1514 Depth=4
	v_and_b32_e32 v0, 0x7c, v14
	v_and_b32_e32 v1, 3, v14
	v_cmp_ne_u32_e64 s[28:29], s71, v0
                                        ; implicit-def: $vgpr0
	s_and_saveexec_b64 s[38:39], s[28:29]
	s_xor_b64 s[38:39], exec, s[38:39]
	s_cbranch_execz .LBB4_1780
; %bb.1779:                             ;   in Loop: Header=BB4_1514 Depth=4
	v_ffbh_u32_e32 v2, v1
	v_min_u32_e32 v9, 32, v2
	v_subrev_u32_e32 v2, 29, v9
	v_lshlrev_b64 v[2:3], v2, v[14:15]
	v_bfe_u32 v0, v14, 2, 5
	v_and_b32_e32 v2, 3, v2
	v_cmp_eq_u32_e64 s[28:29], 0, v0
	v_sub_u32_e32 v3, 30, v9
	v_cndmask_b32_e64 v1, v1, v2, s[28:29]
	v_lshlrev_b32_e32 v2, 24, v14
	v_cndmask_b32_e64 v0, v0, v3, s[28:29]
	v_and_b32_e32 v2, 0x80000000, v2
	v_lshl_add_u32 v0, v0, 23, v2
	v_lshl_or_b32 v0, v1, 21, v0
	v_add_u32_e32 v0, 0x38000000, v0
                                        ; implicit-def: $vgpr1
.LBB4_1780:                             ;   in Loop: Header=BB4_1514 Depth=4
	s_andn2_saveexec_b64 s[38:39], s[38:39]
; %bb.1781:                             ;   in Loop: Header=BB4_1514 Depth=4
	v_mov_b32_e32 v0, -1
	v_cmp_gt_i16_sdwa s[28:29], sext(v14), v0 src0_sel:BYTE_0 src1_sel:DWORD
	v_mov_b32_e32 v0, 0xff800000
	v_cndmask_b32_e64 v0, v0, v47, s[28:29]
	v_cmp_eq_u32_e64 s[28:29], 0, v1
	v_mov_b32_e32 v1, 0x7f800001
	v_cndmask_b32_e64 v0, v1, v0, s[28:29]
; %bb.1782:                             ;   in Loop: Header=BB4_1514 Depth=4
	s_or_b64 exec, exec, s[38:39]
.LBB4_1783:                             ;   in Loop: Header=BB4_1514 Depth=4
	s_or_b64 exec, exec, s[42:43]
.LBB4_1784:                             ;   in Loop: Header=BB4_1514 Depth=4
	s_or_b64 exec, exec, s[40:41]
	v_cmp_gt_i16_sdwa s[40:41], v10, s44 src0_sel:BYTE_0 src1_sel:DWORD
	s_mov_b64 s[28:29], 0
	s_and_saveexec_b64 s[42:43], s[40:41]
	s_xor_b64 s[40:41], exec, s[42:43]
	s_cbranch_execz .LBB4_2047
; %bb.1785:                             ;   in Loop: Header=BB4_1514 Depth=4
	v_cmp_eq_u16_sdwa s[38:39], v10, s81 src0_sel:BYTE_0 src1_sel:DWORD
	s_mov_b64 s[28:29], -1
	s_and_saveexec_b64 s[42:43], s[38:39]
; %bb.1786:                             ;   in Loop: Header=BB4_1514 Depth=4
	s_xor_b64 s[28:29], exec, -1
; %bb.1787:                             ;   in Loop: Header=BB4_1514 Depth=4
	s_or_b64 exec, exec, s[42:43]
	s_and_b64 s[28:29], s[28:29], exec
	s_or_saveexec_b64 s[40:41], s[40:41]
	v_bfrev_b32_e32 v1, 1
	s_xor_b64 exec, exec, s[40:41]
	s_cbranch_execnz .LBB4_2048
.LBB4_1788:                             ;   in Loop: Header=BB4_1514 Depth=4
	s_or_b64 exec, exec, s[40:41]
	s_and_saveexec_b64 s[38:39], s[28:29]
	s_cbranch_execz .LBB4_1790
.LBB4_1789:                             ;   in Loop: Header=BB4_1514 Depth=4
	v_and_b32_e32 v3, 3, v10
	v_and_b32_e32 v1, 0x7c, v10
	v_cmp_eq_u32_e64 s[28:29], s71, v1
	v_ffbh_u32_e32 v1, v3
	v_min_u32_e32 v12, 32, v1
	v_subrev_u32_e32 v1, 29, v12
	v_bfe_u32 v9, v10, 2, 5
	v_lshlrev_b64 v[1:2], v1, v[10:11]
	v_cmp_eq_u32_e64 s[40:41], 0, v9
	v_sub_u32_e32 v2, 30, v12
	v_cndmask_b32_e64 v2, v9, v2, s[40:41]
	v_lshlrev_b32_e32 v9, 24, v10
	v_and_b32_e32 v1, 3, v1
	v_and_b32_e32 v9, 0x80000000, v9
	v_cndmask_b32_e64 v1, v3, v1, s[40:41]
	v_lshl_add_u32 v2, v2, 23, v9
	v_lshl_or_b32 v1, v1, 21, v2
	v_mov_b32_e32 v2, -1
	v_cmp_gt_i16_sdwa s[42:43], sext(v10), v2 src0_sel:BYTE_0 src1_sel:DWORD
	v_mov_b32_e32 v2, 0xff800000
	v_cmp_eq_u32_e64 s[40:41], 0, v3
	v_cndmask_b32_e64 v2, v2, v47, s[42:43]
	v_mov_b32_e32 v3, 0x7f800001
	v_add_u32_e32 v1, 0x38000000, v1
	v_cndmask_b32_e64 v2, v3, v2, s[40:41]
	v_cndmask_b32_e64 v1, v1, v2, s[28:29]
.LBB4_1790:                             ;   in Loop: Header=BB4_1514 Depth=4
	s_or_b64 exec, exec, s[38:39]
	v_mul_f32_e32 v0, v0, v1
	v_and_b32_e32 v1, 0x7f800000, v0
	v_mov_b32_e32 v2, v61
	v_cmp_ne_u64_e64 s[28:29], s[62:63], v[1:2]
	v_and_b32_e32 v60, 0x7fffff, v0
                                        ; implicit-def: $vgpr9
	s_and_saveexec_b64 s[40:41], s[28:29]
	s_xor_b64 s[42:43], exec, s[40:41]
	s_cbranch_execz .LBB4_1804
; %bb.1791:                             ;   in Loop: Header=BB4_1514 Depth=4
	v_and_b32_e32 v1, 0x7fffffff, v0
	v_mov_b32_e32 v2, v61
	v_cmp_gt_u64_e64 s[28:29], s[78:79], v[1:2]
	v_and_b32_sdwa v3, v0, s81 dst_sel:DWORD dst_unused:UNUSED_PAD src0_sel:BYTE_3 src1_sel:DWORD
                                        ; implicit-def: $vgpr9
	s_and_saveexec_b64 s[40:41], s[28:29]
	s_xor_b64 s[38:39], exec, s[40:41]
	s_cbranch_execz .LBB4_1801
; %bb.1792:                             ;   in Loop: Header=BB4_1514 Depth=4
	v_mov_b32_e32 v9, 0
	v_cmp_ne_u32_e64 s[28:29], 0, v0
	s_and_saveexec_b64 s[48:49], s[28:29]
	s_cbranch_execz .LBB4_1800
; %bb.1793:                             ;   in Loop: Header=BB4_1514 Depth=4
	v_bfe_u32 v9, v0, 23, 8
	v_cmp_gt_u32_e64 s[40:41], s47, v9
	v_sub_u32_e32 v0, 0x71, v9
	v_cmp_eq_u32_e64 s[28:29], 0, v9
	v_cndmask_b32_e64 v0, 0, v0, s[40:41]
	v_mov_b32_e32 v2, 0x70
	v_cndmask_b32_e64 v12, v0, v2, s[28:29]
	v_or_b32_e32 v1, 0x800000, v60
	v_add_u32_e32 v0, 21, v12
	v_cndmask_b32_e64 v60, v1, v60, s[28:29]
	v_lshlrev_b64 v[0:1], v0, -1
	v_add_u32_e32 v2, 20, v12
	v_lshlrev_b64 v[34:35], v2, 1
	v_bfi_b32 v1, v1, 0, 0
	v_bfi_b32 v0, v0, 0, v60
	v_cmp_eq_u64_e64 s[40:41], v[0:1], v[34:35]
	v_lshrrev_b64 v[0:1], v12, v[60:61]
	v_mov_b32_e32 v2, v1
	v_mov_b32_e32 v1, v0
	s_and_saveexec_b64 s[50:51], s[40:41]
; %bb.1794:                             ;   in Loop: Header=BB4_1514 Depth=4
	v_bfe_u32 v1, v0, 21, 1
	v_add_co_u32_e64 v1, s[40:41], v0, v1
	v_add_co_u32_e64 v1, s[40:41], -1, v1
; %bb.1795:                             ;   in Loop: Header=BB4_1514 Depth=4
	s_or_b64 exec, exec, s[50:51]
	v_add_u32_e32 v2, 0xffffff81, v9
	v_mov_b32_e32 v9, 0xffffff82
	v_cndmask_b32_e64 v2, v2, v9, s[28:29]
	v_lshrrev_b32_e32 v9, 23, v0
	v_add3_u32 v12, v12, v2, v9
	v_add_u32_e32 v9, 14, v12
	v_and_b32_e32 v1, 0x1fffff, v1
	v_add_u32_e32 v60, v1, v0
	v_cmp_ne_u32_e64 s[28:29], 0, v9
                                        ; implicit-def: $vgpr0_vgpr1
                                        ; implicit-def: $vgpr2
	s_and_saveexec_b64 s[40:41], s[28:29]
	s_xor_b64 s[40:41], exec, s[40:41]
; %bb.1796:                             ;   in Loop: Header=BB4_1514 Depth=4
	v_cmp_lt_u64_e64 s[28:29], s[88:89], v[60:61]
	v_add_u32_e32 v0, 15, v12
	v_cndmask_b32_e64 v2, v9, v0, s[28:29]
	v_cndmask_b32_e64 v0, 0, 1, s[28:29]
	v_lshrrev_b64 v[0:1], v0, v[60:61]
; %bb.1797:                             ;   in Loop: Header=BB4_1514 Depth=4
	s_andn2_saveexec_b64 s[28:29], s[40:41]
; %bb.1798:                             ;   in Loop: Header=BB4_1514 Depth=4
	v_mov_b32_e32 v0, v60
	v_bfe_u32 v2, v60, 23, 1
	v_mov_b32_e32 v1, v61
; %bb.1799:                             ;   in Loop: Header=BB4_1514 Depth=4
	s_or_b64 exec, exec, s[28:29]
	v_lshrrev_b64 v[0:1], 21, v[0:1]
	v_cmp_gt_i32_e64 s[28:29], 32, v2
	v_cndmask_b32_e64 v1, 0, v1, s[28:29]
	v_cndmask_b32_e64 v0, 3, v0, s[28:29]
	v_cmp_eq_u64_e64 s[40:41], 0, v[0:1]
	v_min_i32_e32 v1, 31, v2
	v_lshlrev_b32_e32 v1, 2, v1
	v_cmp_eq_u32_e64 s[28:29], 0, v2
	v_and_b32_e32 v1, 0xfc, v1
	v_and_or_b32 v0, v0, 3, v1
	s_and_b64 s[28:29], s[28:29], s[40:41]
	v_cndmask_b32_e64 v0, v0, 0, s[28:29]
	v_or_b32_e32 v9, v0, v3
.LBB4_1800:                             ;   in Loop: Header=BB4_1514 Depth=4
	s_or_b64 exec, exec, s[48:49]
                                        ; implicit-def: $vgpr3
.LBB4_1801:                             ;   in Loop: Header=BB4_1514 Depth=4
	s_andn2_saveexec_b64 s[28:29], s[38:39]
; %bb.1802:                             ;   in Loop: Header=BB4_1514 Depth=4
	v_or_b32_e32 v9, 0x7b, v3
; %bb.1803:                             ;   in Loop: Header=BB4_1514 Depth=4
	s_or_b64 exec, exec, s[28:29]
                                        ; implicit-def: $vgpr0
.LBB4_1804:                             ;   in Loop: Header=BB4_1514 Depth=4
	s_andn2_saveexec_b64 s[40:41], s[42:43]
	s_cbranch_execz .LBB4_1810
; %bb.1805:                             ;   in Loop: Header=BB4_1514 Depth=4
	v_cmp_ne_u64_e64 s[28:29], 0, v[60:61]
                                        ; implicit-def: $vgpr9
	s_and_saveexec_b64 s[42:43], s[28:29]
	s_xor_b64 s[28:29], exec, s[42:43]
; %bb.1806:                             ;   in Loop: Header=BB4_1514 Depth=4
	v_or_b32_sdwa v9, v0, s44 dst_sel:DWORD dst_unused:UNUSED_PAD src0_sel:BYTE_3 src1_sel:DWORD
                                        ; implicit-def: $vgpr0
; %bb.1807:                             ;   in Loop: Header=BB4_1514 Depth=4
	s_andn2_saveexec_b64 s[42:43], s[28:29]
; %bb.1808:                             ;   in Loop: Header=BB4_1514 Depth=4
	v_cmp_lt_i32_e64 s[28:29], -1, v0
	v_bfrev_b32_e32 v0, 0.5
	v_mov_b32_e32 v1, 0x7c
	v_cndmask_b32_e64 v9, v0, v1, s[28:29]
; %bb.1809:                             ;   in Loop: Header=BB4_1514 Depth=4
	s_or_b64 exec, exec, s[42:43]
.LBB4_1810:                             ;   in Loop: Header=BB4_1514 Depth=4
	s_or_b64 exec, exec, s[40:41]
	v_lshrrev_b16_e32 v60, 8, v14
	v_cmp_ne_u16_e64 s[28:29], 0, v60
	v_mov_b32_e32 v0, 0
	s_and_saveexec_b64 s[40:41], s[28:29]
	s_cbranch_execz .LBB4_1818
; %bb.1811:                             ;   in Loop: Header=BB4_1514 Depth=4
	v_cmp_ne_u16_e64 s[28:29], s81, v60
	v_bfrev_b32_e32 v0, 1
	s_and_saveexec_b64 s[42:43], s[28:29]
	s_cbranch_execz .LBB4_1817
; %bb.1812:                             ;   in Loop: Header=BB4_1514 Depth=4
	v_and_b32_e32 v0, 0x7c, v60
	v_and_b32_e32 v1, 3, v60
	v_cmp_ne_u32_e64 s[28:29], s71, v0
                                        ; implicit-def: $vgpr0
	s_and_saveexec_b64 s[38:39], s[28:29]
	s_xor_b64 s[38:39], exec, s[38:39]
	s_cbranch_execz .LBB4_1814
; %bb.1813:                             ;   in Loop: Header=BB4_1514 Depth=4
	v_ffbh_u32_e32 v2, v1
	v_min_u32_e32 v12, 32, v2
	v_subrev_u32_e32 v2, 29, v12
	v_lshlrev_b64 v[2:3], v2, v[60:61]
	v_bfe_u32 v0, v60, 2, 5
	v_and_b32_e32 v2, 3, v2
	v_cmp_eq_u32_e64 s[28:29], 0, v0
	v_sub_u32_e32 v3, 30, v12
	v_cndmask_b32_e64 v1, v1, v2, s[28:29]
	v_lshlrev_b32_e32 v2, 16, v14
	v_cndmask_b32_e64 v0, v0, v3, s[28:29]
	v_and_b32_e32 v2, 0x80000000, v2
	v_lshl_add_u32 v0, v0, 23, v2
	v_lshl_or_b32 v0, v1, 21, v0
	v_add_u32_e32 v0, 0x38000000, v0
                                        ; implicit-def: $vgpr1
.LBB4_1814:                             ;   in Loop: Header=BB4_1514 Depth=4
	s_andn2_saveexec_b64 s[38:39], s[38:39]
; %bb.1815:                             ;   in Loop: Header=BB4_1514 Depth=4
	v_cmp_lt_i16_e64 s[28:29], -1, v14
	v_mov_b32_e32 v0, 0xff800000
	v_cndmask_b32_e64 v0, v0, v47, s[28:29]
	v_cmp_eq_u32_e64 s[28:29], 0, v1
	v_mov_b32_e32 v1, 0x7f800001
	v_cndmask_b32_e64 v0, v1, v0, s[28:29]
; %bb.1816:                             ;   in Loop: Header=BB4_1514 Depth=4
	s_or_b64 exec, exec, s[38:39]
.LBB4_1817:                             ;   in Loop: Header=BB4_1514 Depth=4
	s_or_b64 exec, exec, s[42:43]
.LBB4_1818:                             ;   in Loop: Header=BB4_1514 Depth=4
	s_or_b64 exec, exec, s[40:41]
	v_lshrrev_b16_e32 v60, 8, v10
	v_cmp_lt_i16_e64 s[28:29], s44, v60
	s_mov_b64 s[40:41], 0
	s_and_saveexec_b64 s[42:43], s[28:29]
	s_xor_b64 s[42:43], exec, s[42:43]
	s_cbranch_execz .LBB4_2049
; %bb.1819:                             ;   in Loop: Header=BB4_1514 Depth=4
	v_cmp_eq_u16_e64 s[28:29], s81, v60
	s_mov_b64 s[40:41], -1
	s_and_saveexec_b64 s[38:39], s[28:29]
; %bb.1820:                             ;   in Loop: Header=BB4_1514 Depth=4
	s_xor_b64 s[40:41], exec, -1
; %bb.1821:                             ;   in Loop: Header=BB4_1514 Depth=4
	s_or_b64 exec, exec, s[38:39]
	s_and_b64 s[40:41], s[40:41], exec
	s_or_saveexec_b64 s[42:43], s[42:43]
	v_bfrev_b32_e32 v1, 1
	s_xor_b64 exec, exec, s[42:43]
	s_cbranch_execnz .LBB4_2050
.LBB4_1822:                             ;   in Loop: Header=BB4_1514 Depth=4
	s_or_b64 exec, exec, s[42:43]
	s_and_saveexec_b64 s[38:39], s[40:41]
	s_cbranch_execz .LBB4_1824
.LBB4_1823:                             ;   in Loop: Header=BB4_1514 Depth=4
	v_and_b32_e32 v3, 3, v60
	v_and_b32_e32 v1, 0x7c, v60
	v_cmp_eq_u32_e64 s[28:29], s71, v1
	v_ffbh_u32_e32 v1, v3
	v_min_u32_e32 v13, 32, v1
	v_subrev_u32_e32 v1, 29, v13
	v_bfe_u32 v12, v60, 2, 5
	v_lshlrev_b64 v[1:2], v1, v[60:61]
	v_cmp_eq_u32_e64 s[40:41], 0, v12
	v_sub_u32_e32 v2, 30, v13
	v_cndmask_b32_e64 v2, v12, v2, s[40:41]
	v_lshlrev_b32_e32 v12, 24, v60
	v_and_b32_e32 v1, 3, v1
	v_and_b32_e32 v12, 0x80000000, v12
	v_cndmask_b32_e64 v1, v3, v1, s[40:41]
	v_lshl_add_u32 v2, v2, 23, v12
	v_lshl_or_b32 v1, v1, 21, v2
	v_cmp_lt_i16_e64 s[42:43], -1, v10
	v_mov_b32_e32 v2, 0xff800000
	v_cmp_eq_u32_e64 s[40:41], 0, v3
	v_cndmask_b32_e64 v2, v2, v47, s[42:43]
	v_mov_b32_e32 v3, 0x7f800001
	v_add_u32_e32 v1, 0x38000000, v1
	v_cndmask_b32_e64 v2, v3, v2, s[40:41]
	v_cndmask_b32_e64 v1, v1, v2, s[28:29]
.LBB4_1824:                             ;   in Loop: Header=BB4_1514 Depth=4
	s_or_b64 exec, exec, s[38:39]
	v_mul_f32_e32 v0, v0, v1
	v_and_b32_e32 v1, 0x7f800000, v0
	v_mov_b32_e32 v2, v61
	v_cmp_ne_u64_e64 s[28:29], s[62:63], v[1:2]
	v_and_b32_e32 v60, 0x7fffff, v0
                                        ; implicit-def: $vgpr12
	s_and_saveexec_b64 s[40:41], s[28:29]
	s_xor_b64 s[42:43], exec, s[40:41]
	s_cbranch_execz .LBB4_1838
; %bb.1825:                             ;   in Loop: Header=BB4_1514 Depth=4
	v_and_b32_e32 v1, 0x7fffffff, v0
	v_mov_b32_e32 v2, v61
	v_cmp_gt_u64_e64 s[28:29], s[78:79], v[1:2]
	v_and_b32_sdwa v3, v0, s81 dst_sel:DWORD dst_unused:UNUSED_PAD src0_sel:BYTE_3 src1_sel:DWORD
                                        ; implicit-def: $vgpr12
	s_and_saveexec_b64 s[40:41], s[28:29]
	s_xor_b64 s[38:39], exec, s[40:41]
	s_cbranch_execz .LBB4_1835
; %bb.1826:                             ;   in Loop: Header=BB4_1514 Depth=4
	v_mov_b32_e32 v12, 0
	v_cmp_ne_u32_e64 s[28:29], 0, v0
	s_and_saveexec_b64 s[48:49], s[28:29]
	s_cbranch_execz .LBB4_1834
; %bb.1827:                             ;   in Loop: Header=BB4_1514 Depth=4
	v_bfe_u32 v12, v0, 23, 8
	v_cmp_gt_u32_e64 s[40:41], s47, v12
	v_sub_u32_e32 v0, 0x71, v12
	v_cmp_eq_u32_e64 s[28:29], 0, v12
	v_cndmask_b32_e64 v0, 0, v0, s[40:41]
	v_mov_b32_e32 v2, 0x70
	v_cndmask_b32_e64 v13, v0, v2, s[28:29]
	v_or_b32_e32 v1, 0x800000, v60
	v_add_u32_e32 v0, 21, v13
	v_cndmask_b32_e64 v60, v1, v60, s[28:29]
	v_lshlrev_b64 v[0:1], v0, -1
	v_add_u32_e32 v2, 20, v13
	v_lshlrev_b64 v[34:35], v2, 1
	v_bfi_b32 v1, v1, 0, 0
	v_bfi_b32 v0, v0, 0, v60
	v_cmp_eq_u64_e64 s[40:41], v[0:1], v[34:35]
	v_lshrrev_b64 v[0:1], v13, v[60:61]
	v_mov_b32_e32 v2, v1
	v_mov_b32_e32 v1, v0
	s_and_saveexec_b64 s[50:51], s[40:41]
; %bb.1828:                             ;   in Loop: Header=BB4_1514 Depth=4
	v_bfe_u32 v1, v0, 21, 1
	v_add_co_u32_e64 v1, s[40:41], v0, v1
	v_add_co_u32_e64 v1, s[40:41], -1, v1
; %bb.1829:                             ;   in Loop: Header=BB4_1514 Depth=4
	s_or_b64 exec, exec, s[50:51]
	v_add_u32_e32 v2, 0xffffff81, v12
	v_mov_b32_e32 v12, 0xffffff82
	v_cndmask_b32_e64 v2, v2, v12, s[28:29]
	v_lshrrev_b32_e32 v12, 23, v0
	v_add3_u32 v13, v13, v2, v12
	v_add_u32_e32 v12, 14, v13
	v_and_b32_e32 v1, 0x1fffff, v1
	v_add_u32_e32 v60, v1, v0
	v_cmp_ne_u32_e64 s[28:29], 0, v12
                                        ; implicit-def: $vgpr0_vgpr1
                                        ; implicit-def: $vgpr2
	s_and_saveexec_b64 s[40:41], s[28:29]
	s_xor_b64 s[40:41], exec, s[40:41]
; %bb.1830:                             ;   in Loop: Header=BB4_1514 Depth=4
	v_cmp_lt_u64_e64 s[28:29], s[88:89], v[60:61]
	v_add_u32_e32 v0, 15, v13
	v_cndmask_b32_e64 v2, v12, v0, s[28:29]
	v_cndmask_b32_e64 v0, 0, 1, s[28:29]
	v_lshrrev_b64 v[0:1], v0, v[60:61]
; %bb.1831:                             ;   in Loop: Header=BB4_1514 Depth=4
	s_andn2_saveexec_b64 s[28:29], s[40:41]
; %bb.1832:                             ;   in Loop: Header=BB4_1514 Depth=4
	v_mov_b32_e32 v0, v60
	v_bfe_u32 v2, v60, 23, 1
	v_mov_b32_e32 v1, v61
; %bb.1833:                             ;   in Loop: Header=BB4_1514 Depth=4
	s_or_b64 exec, exec, s[28:29]
	v_lshrrev_b64 v[0:1], 21, v[0:1]
	v_cmp_gt_i32_e64 s[28:29], 32, v2
	v_cndmask_b32_e64 v1, 0, v1, s[28:29]
	v_cndmask_b32_e64 v0, 3, v0, s[28:29]
	v_cmp_eq_u64_e64 s[40:41], 0, v[0:1]
	v_min_i32_e32 v1, 31, v2
	v_lshlrev_b32_e32 v1, 2, v1
	v_cmp_eq_u32_e64 s[28:29], 0, v2
	v_and_b32_e32 v1, 0xfc, v1
	v_and_or_b32 v0, v0, 3, v1
	s_and_b64 s[28:29], s[28:29], s[40:41]
	v_cndmask_b32_e64 v0, v0, 0, s[28:29]
	v_or_b32_e32 v12, v0, v3
.LBB4_1834:                             ;   in Loop: Header=BB4_1514 Depth=4
	s_or_b64 exec, exec, s[48:49]
                                        ; implicit-def: $vgpr3
.LBB4_1835:                             ;   in Loop: Header=BB4_1514 Depth=4
	s_andn2_saveexec_b64 s[28:29], s[38:39]
; %bb.1836:                             ;   in Loop: Header=BB4_1514 Depth=4
	v_or_b32_e32 v12, 0x7b, v3
; %bb.1837:                             ;   in Loop: Header=BB4_1514 Depth=4
	s_or_b64 exec, exec, s[28:29]
                                        ; implicit-def: $vgpr0
.LBB4_1838:                             ;   in Loop: Header=BB4_1514 Depth=4
	s_andn2_saveexec_b64 s[40:41], s[42:43]
	s_cbranch_execz .LBB4_1844
; %bb.1839:                             ;   in Loop: Header=BB4_1514 Depth=4
	v_cmp_ne_u64_e64 s[28:29], 0, v[60:61]
                                        ; implicit-def: $vgpr12
	s_and_saveexec_b64 s[42:43], s[28:29]
	s_xor_b64 s[28:29], exec, s[42:43]
; %bb.1840:                             ;   in Loop: Header=BB4_1514 Depth=4
	v_or_b32_sdwa v12, v0, s44 dst_sel:DWORD dst_unused:UNUSED_PAD src0_sel:BYTE_3 src1_sel:DWORD
                                        ; implicit-def: $vgpr0
; %bb.1841:                             ;   in Loop: Header=BB4_1514 Depth=4
	s_andn2_saveexec_b64 s[42:43], s[28:29]
; %bb.1842:                             ;   in Loop: Header=BB4_1514 Depth=4
	v_cmp_lt_i32_e64 s[28:29], -1, v0
	v_bfrev_b32_e32 v0, 0.5
	v_mov_b32_e32 v1, 0x7c
	v_cndmask_b32_e64 v12, v0, v1, s[28:29]
; %bb.1843:                             ;   in Loop: Header=BB4_1514 Depth=4
	s_or_b64 exec, exec, s[42:43]
.LBB4_1844:                             ;   in Loop: Header=BB4_1514 Depth=4
	s_or_b64 exec, exec, s[40:41]
	v_lshrrev_b32_e32 v0, 16, v14
	v_cmp_ne_u16_sdwa s[28:29], v0, v61 src0_sel:BYTE_0 src1_sel:DWORD
	v_mov_b32_e32 v1, 0
	s_and_saveexec_b64 s[40:41], s[28:29]
	s_cbranch_execz .LBB4_1852
; %bb.1845:                             ;   in Loop: Header=BB4_1514 Depth=4
	v_cmp_ne_u16_sdwa s[28:29], v0, s81 src0_sel:BYTE_0 src1_sel:DWORD
	v_bfrev_b32_e32 v1, 1
	s_and_saveexec_b64 s[42:43], s[28:29]
	s_cbranch_execz .LBB4_1851
; %bb.1846:                             ;   in Loop: Header=BB4_1514 Depth=4
	v_and_b32_e32 v1, 0x7c0000, v14
	v_bfe_u32 v2, v14, 16, 2
	v_cmp_ne_u32_e64 s[28:29], s45, v1
                                        ; implicit-def: $vgpr1
	s_and_saveexec_b64 s[38:39], s[28:29]
	s_xor_b64 s[38:39], exec, s[38:39]
	s_cbranch_execz .LBB4_1848
; %bb.1847:                             ;   in Loop: Header=BB4_1514 Depth=4
	v_ffbh_u32_e32 v1, v2
	v_min_u32_e32 v13, 32, v1
	v_subrev_u32_e32 v1, 29, v13
	v_lshlrev_b64 v[0:1], v1, v[0:1]
	v_bfe_u32 v3, v14, 18, 5
	v_and_b32_e32 v0, 3, v0
	v_cmp_eq_u32_e64 s[28:29], 0, v3
	v_sub_u32_e32 v1, 30, v13
	v_cndmask_b32_e64 v0, v2, v0, s[28:29]
	v_lshlrev_b32_e32 v2, 8, v14
	v_cndmask_b32_e64 v1, v3, v1, s[28:29]
	v_and_b32_e32 v2, 0x80000000, v2
	v_lshl_add_u32 v1, v1, 23, v2
	v_lshl_or_b32 v0, v0, 21, v1
	v_add_u32_e32 v1, 0x38000000, v0
                                        ; implicit-def: $vgpr2
                                        ; implicit-def: $vgpr0
.LBB4_1848:                             ;   in Loop: Header=BB4_1514 Depth=4
	s_andn2_saveexec_b64 s[38:39], s[38:39]
; %bb.1849:                             ;   in Loop: Header=BB4_1514 Depth=4
	v_mov_b32_e32 v1, -1
	v_cmp_gt_i16_sdwa s[28:29], sext(v0), v1 src0_sel:BYTE_0 src1_sel:DWORD
	v_mov_b32_e32 v0, 0xff800000
	v_cndmask_b32_e64 v0, v0, v47, s[28:29]
	v_cmp_eq_u32_e64 s[28:29], 0, v2
	v_mov_b32_e32 v1, 0x7f800001
	v_cndmask_b32_e64 v1, v1, v0, s[28:29]
; %bb.1850:                             ;   in Loop: Header=BB4_1514 Depth=4
	s_or_b64 exec, exec, s[38:39]
.LBB4_1851:                             ;   in Loop: Header=BB4_1514 Depth=4
	s_or_b64 exec, exec, s[42:43]
.LBB4_1852:                             ;   in Loop: Header=BB4_1514 Depth=4
	s_or_b64 exec, exec, s[40:41]
	v_lshrrev_b32_e32 v0, 16, v10
	v_cmp_gt_i16_sdwa s[40:41], v0, s44 src0_sel:BYTE_0 src1_sel:DWORD
	s_mov_b64 s[28:29], 0
	s_and_saveexec_b64 s[42:43], s[40:41]
	s_xor_b64 s[40:41], exec, s[42:43]
	s_cbranch_execz .LBB4_2051
; %bb.1853:                             ;   in Loop: Header=BB4_1514 Depth=4
	v_cmp_eq_u16_sdwa s[38:39], v0, s81 src0_sel:BYTE_0 src1_sel:DWORD
	s_mov_b64 s[28:29], -1
	s_and_saveexec_b64 s[42:43], s[38:39]
; %bb.1854:                             ;   in Loop: Header=BB4_1514 Depth=4
	s_xor_b64 s[28:29], exec, -1
; %bb.1855:                             ;   in Loop: Header=BB4_1514 Depth=4
	s_or_b64 exec, exec, s[42:43]
	s_and_b64 s[28:29], s[28:29], exec
	s_or_saveexec_b64 s[40:41], s[40:41]
	v_bfrev_b32_e32 v2, 1
	s_xor_b64 exec, exec, s[40:41]
	s_cbranch_execnz .LBB4_2052
.LBB4_1856:                             ;   in Loop: Header=BB4_1514 Depth=4
	s_or_b64 exec, exec, s[40:41]
	s_and_saveexec_b64 s[38:39], s[28:29]
	s_cbranch_execz .LBB4_1858
.LBB4_1857:                             ;   in Loop: Header=BB4_1514 Depth=4
	v_and_b32_e32 v13, 3, v0
	v_and_b32_e32 v2, 0x7c0000, v10
	v_cmp_eq_u32_e64 s[28:29], s45, v2
	v_ffbh_u32_e32 v2, v13
	v_min_u32_e32 v34, 32, v2
	v_subrev_u32_e32 v2, 29, v34
	v_bfe_u32 v31, v10, 18, 5
	v_lshlrev_b64 v[2:3], v2, v[0:1]
	v_cmp_eq_u32_e64 s[40:41], 0, v31
	v_sub_u32_e32 v3, 30, v34
	v_cndmask_b32_e64 v3, v31, v3, s[40:41]
	v_lshlrev_b32_e32 v31, 24, v0
	v_and_b32_e32 v2, 3, v2
	v_and_b32_e32 v31, 0x80000000, v31
	v_cndmask_b32_e64 v2, v13, v2, s[40:41]
	v_lshl_add_u32 v3, v3, 23, v31
	v_lshl_or_b32 v2, v2, 21, v3
	v_mov_b32_e32 v3, -1
	v_cmp_gt_i16_sdwa s[42:43], sext(v0), v3 src0_sel:BYTE_0 src1_sel:DWORD
	v_mov_b32_e32 v0, 0xff800000
	v_cmp_eq_u32_e64 s[40:41], 0, v13
	v_cndmask_b32_e64 v0, v0, v47, s[42:43]
	v_mov_b32_e32 v3, 0x7f800001
	v_add_u32_e32 v2, 0x38000000, v2
	v_cndmask_b32_e64 v0, v3, v0, s[40:41]
	v_cndmask_b32_e64 v2, v2, v0, s[28:29]
.LBB4_1858:                             ;   in Loop: Header=BB4_1514 Depth=4
	s_or_b64 exec, exec, s[38:39]
	v_mul_f32_e32 v0, v1, v2
	v_and_b32_e32 v1, 0x7f800000, v0
	v_mov_b32_e32 v2, v61
	v_cmp_ne_u64_e64 s[28:29], s[62:63], v[1:2]
	v_and_b32_e32 v60, 0x7fffff, v0
                                        ; implicit-def: $vgpr13
	s_and_saveexec_b64 s[40:41], s[28:29]
	s_xor_b64 s[42:43], exec, s[40:41]
	s_cbranch_execz .LBB4_1872
; %bb.1859:                             ;   in Loop: Header=BB4_1514 Depth=4
	v_and_b32_e32 v1, 0x7fffffff, v0
	v_mov_b32_e32 v2, v61
	v_cmp_gt_u64_e64 s[28:29], s[78:79], v[1:2]
	v_and_b32_sdwa v3, v0, s81 dst_sel:DWORD dst_unused:UNUSED_PAD src0_sel:BYTE_3 src1_sel:DWORD
                                        ; implicit-def: $vgpr13
	s_and_saveexec_b64 s[40:41], s[28:29]
	s_xor_b64 s[38:39], exec, s[40:41]
	s_cbranch_execz .LBB4_1869
; %bb.1860:                             ;   in Loop: Header=BB4_1514 Depth=4
	v_mov_b32_e32 v13, 0
	v_cmp_ne_u32_e64 s[28:29], 0, v0
	s_and_saveexec_b64 s[48:49], s[28:29]
	s_cbranch_execz .LBB4_1868
; %bb.1861:                             ;   in Loop: Header=BB4_1514 Depth=4
	v_bfe_u32 v13, v0, 23, 8
	v_cmp_gt_u32_e64 s[40:41], s47, v13
	v_sub_u32_e32 v0, 0x71, v13
	v_cmp_eq_u32_e64 s[28:29], 0, v13
	v_cndmask_b32_e64 v0, 0, v0, s[40:41]
	v_mov_b32_e32 v2, 0x70
	v_cndmask_b32_e64 v31, v0, v2, s[28:29]
	v_or_b32_e32 v1, 0x800000, v60
	v_add_u32_e32 v0, 21, v31
	v_cndmask_b32_e64 v60, v1, v60, s[28:29]
	v_lshlrev_b64 v[0:1], v0, -1
	v_add_u32_e32 v2, 20, v31
	v_lshlrev_b64 v[34:35], v2, 1
	v_bfi_b32 v1, v1, 0, 0
	v_bfi_b32 v0, v0, 0, v60
	v_cmp_eq_u64_e64 s[40:41], v[0:1], v[34:35]
	v_lshrrev_b64 v[0:1], v31, v[60:61]
	v_mov_b32_e32 v2, v1
	v_mov_b32_e32 v1, v0
	s_and_saveexec_b64 s[50:51], s[40:41]
; %bb.1862:                             ;   in Loop: Header=BB4_1514 Depth=4
	v_bfe_u32 v1, v0, 21, 1
	v_add_co_u32_e64 v1, s[40:41], v0, v1
	v_add_co_u32_e64 v1, s[40:41], -1, v1
; %bb.1863:                             ;   in Loop: Header=BB4_1514 Depth=4
	s_or_b64 exec, exec, s[50:51]
	v_add_u32_e32 v2, 0xffffff81, v13
	v_mov_b32_e32 v13, 0xffffff82
	v_cndmask_b32_e64 v2, v2, v13, s[28:29]
	v_lshrrev_b32_e32 v13, 23, v0
	v_add3_u32 v31, v31, v2, v13
	v_add_u32_e32 v13, 14, v31
	v_and_b32_e32 v1, 0x1fffff, v1
	v_add_u32_e32 v60, v1, v0
	v_cmp_ne_u32_e64 s[28:29], 0, v13
                                        ; implicit-def: $vgpr0_vgpr1
                                        ; implicit-def: $vgpr2
	s_and_saveexec_b64 s[40:41], s[28:29]
	s_xor_b64 s[40:41], exec, s[40:41]
; %bb.1864:                             ;   in Loop: Header=BB4_1514 Depth=4
	v_cmp_lt_u64_e64 s[28:29], s[88:89], v[60:61]
	v_add_u32_e32 v0, 15, v31
	v_cndmask_b32_e64 v2, v13, v0, s[28:29]
	v_cndmask_b32_e64 v0, 0, 1, s[28:29]
	v_lshrrev_b64 v[0:1], v0, v[60:61]
; %bb.1865:                             ;   in Loop: Header=BB4_1514 Depth=4
	s_andn2_saveexec_b64 s[28:29], s[40:41]
; %bb.1866:                             ;   in Loop: Header=BB4_1514 Depth=4
	v_mov_b32_e32 v0, v60
	v_bfe_u32 v2, v60, 23, 1
	v_mov_b32_e32 v1, v61
; %bb.1867:                             ;   in Loop: Header=BB4_1514 Depth=4
	s_or_b64 exec, exec, s[28:29]
	v_lshrrev_b64 v[0:1], 21, v[0:1]
	v_cmp_gt_i32_e64 s[28:29], 32, v2
	v_cndmask_b32_e64 v1, 0, v1, s[28:29]
	v_cndmask_b32_e64 v0, 3, v0, s[28:29]
	v_cmp_eq_u64_e64 s[40:41], 0, v[0:1]
	v_min_i32_e32 v1, 31, v2
	v_lshlrev_b32_e32 v1, 2, v1
	v_cmp_eq_u32_e64 s[28:29], 0, v2
	v_and_b32_e32 v1, 0xfc, v1
	v_and_or_b32 v0, v0, 3, v1
	s_and_b64 s[28:29], s[28:29], s[40:41]
	v_cndmask_b32_e64 v0, v0, 0, s[28:29]
	v_or_b32_e32 v13, v0, v3
.LBB4_1868:                             ;   in Loop: Header=BB4_1514 Depth=4
	s_or_b64 exec, exec, s[48:49]
                                        ; implicit-def: $vgpr3
.LBB4_1869:                             ;   in Loop: Header=BB4_1514 Depth=4
	s_andn2_saveexec_b64 s[28:29], s[38:39]
; %bb.1870:                             ;   in Loop: Header=BB4_1514 Depth=4
	v_or_b32_e32 v13, 0x7b, v3
; %bb.1871:                             ;   in Loop: Header=BB4_1514 Depth=4
	s_or_b64 exec, exec, s[28:29]
                                        ; implicit-def: $vgpr0
.LBB4_1872:                             ;   in Loop: Header=BB4_1514 Depth=4
	s_andn2_saveexec_b64 s[40:41], s[42:43]
	s_cbranch_execz .LBB4_1878
; %bb.1873:                             ;   in Loop: Header=BB4_1514 Depth=4
	v_cmp_ne_u64_e64 s[28:29], 0, v[60:61]
                                        ; implicit-def: $vgpr13
	s_and_saveexec_b64 s[42:43], s[28:29]
	s_xor_b64 s[28:29], exec, s[42:43]
; %bb.1874:                             ;   in Loop: Header=BB4_1514 Depth=4
	v_or_b32_sdwa v13, v0, s44 dst_sel:DWORD dst_unused:UNUSED_PAD src0_sel:BYTE_3 src1_sel:DWORD
                                        ; implicit-def: $vgpr0
; %bb.1875:                             ;   in Loop: Header=BB4_1514 Depth=4
	s_andn2_saveexec_b64 s[42:43], s[28:29]
; %bb.1876:                             ;   in Loop: Header=BB4_1514 Depth=4
	v_cmp_lt_i32_e64 s[28:29], -1, v0
	v_bfrev_b32_e32 v0, 0.5
	v_mov_b32_e32 v1, 0x7c
	v_cndmask_b32_e64 v13, v0, v1, s[28:29]
; %bb.1877:                             ;   in Loop: Header=BB4_1514 Depth=4
	s_or_b64 exec, exec, s[42:43]
.LBB4_1878:                             ;   in Loop: Header=BB4_1514 Depth=4
	s_or_b64 exec, exec, s[40:41]
	v_cmp_lt_u32_e64 s[28:29], s57, v14
	v_mov_b32_e32 v1, 0
	s_and_saveexec_b64 s[40:41], s[28:29]
	s_cbranch_execz .LBB4_1886
; %bb.1879:                             ;   in Loop: Header=BB4_1514 Depth=4
	v_lshrrev_b32_e32 v0, 24, v14
	v_cmp_ne_u32_e64 s[28:29], s81, v0
	v_bfrev_b32_e32 v1, 1
	s_and_saveexec_b64 s[42:43], s[28:29]
	s_cbranch_execz .LBB4_1885
; %bb.1880:                             ;   in Loop: Header=BB4_1514 Depth=4
	v_and_b32_e32 v1, 0x7c000000, v14
	v_bfe_u32 v2, v14, 24, 2
	v_cmp_ne_u32_e64 s[28:29], s82, v1
                                        ; implicit-def: $vgpr1
	s_and_saveexec_b64 s[38:39], s[28:29]
	s_xor_b64 s[38:39], exec, s[38:39]
	s_cbranch_execz .LBB4_1882
; %bb.1881:                             ;   in Loop: Header=BB4_1514 Depth=4
	v_ffbh_u32_e32 v1, v2
	v_min_u32_e32 v31, 32, v1
	v_subrev_u32_e32 v1, 29, v31
	v_lshlrev_b64 v[0:1], v1, v[0:1]
	v_bfe_u32 v3, v14, 26, 5
	v_sub_u32_e32 v1, 30, v31
	v_and_b32_e32 v0, 3, v0
	v_cmp_eq_u32_e64 s[28:29], 0, v3
	v_cndmask_b32_e64 v1, v3, v1, s[28:29]
	v_cndmask_b32_e64 v0, v2, v0, s[28:29]
	v_and_b32_e32 v2, 0x80000000, v14
	v_lshl_add_u32 v1, v1, 23, v2
	v_lshl_or_b32 v0, v0, 21, v1
	v_add_u32_e32 v1, 0x38000000, v0
                                        ; implicit-def: $vgpr2
.LBB4_1882:                             ;   in Loop: Header=BB4_1514 Depth=4
	s_andn2_saveexec_b64 s[38:39], s[38:39]
; %bb.1883:                             ;   in Loop: Header=BB4_1514 Depth=4
	v_cmp_lt_i32_e64 s[28:29], -1, v14
	v_mov_b32_e32 v0, 0xff800000
	v_cndmask_b32_e64 v0, v0, v47, s[28:29]
	v_cmp_eq_u32_e64 s[28:29], 0, v2
	v_mov_b32_e32 v1, 0x7f800001
	v_cndmask_b32_e64 v1, v1, v0, s[28:29]
; %bb.1884:                             ;   in Loop: Header=BB4_1514 Depth=4
	s_or_b64 exec, exec, s[38:39]
.LBB4_1885:                             ;   in Loop: Header=BB4_1514 Depth=4
	s_or_b64 exec, exec, s[42:43]
.LBB4_1886:                             ;   in Loop: Header=BB4_1514 Depth=4
	s_or_b64 exec, exec, s[40:41]
	v_bfe_u32 v31, v10, 24, 2
	v_and_b32_e32 v2, 0x7c000000, v10
	v_cmp_eq_u32_e64 s[28:29], s82, v2
	v_ffbh_u32_e32 v2, v31
	v_min_u32_e32 v35, 32, v2
	v_lshrrev_b32_e32 v0, 24, v10
	v_subrev_u32_e32 v2, 29, v35
	v_bfe_u32 v34, v10, 26, 5
	v_lshlrev_b64 v[2:3], v2, v[0:1]
	v_cmp_eq_u32_e64 s[40:41], 0, v34
	v_sub_u32_e32 v3, 30, v35
	v_and_b32_e32 v2, 3, v2
	v_cndmask_b32_e64 v3, v34, v3, s[40:41]
	v_and_b32_e32 v34, 0x80000000, v10
	v_cndmask_b32_e64 v2, v31, v2, s[40:41]
	v_lshl_add_u32 v3, v3, 23, v34
	v_lshl_or_b32 v2, v2, 21, v3
	v_cmp_lt_i32_e64 s[42:43], -1, v10
	v_mov_b32_e32 v3, 0xff800000
	v_cmp_eq_u32_e64 s[40:41], 0, v31
	v_cndmask_b32_e64 v3, v3, v47, s[42:43]
	v_mov_b32_e32 v31, 0x7f800001
	v_add_u32_e32 v2, 0x38000000, v2
	v_cndmask_b32_e64 v3, v31, v3, s[40:41]
	v_cndmask_b32_e64 v2, v2, v3, s[28:29]
	v_cmp_ne_u32_e64 s[28:29], s81, v0
	v_bfrev_b32_e32 v0, 1
	v_cndmask_b32_e64 v0, v0, v2, s[28:29]
	v_cmp_lt_u32_e64 s[28:29], s57, v10
	v_cndmask_b32_e64 v0, 0, v0, s[28:29]
	v_mul_f32_e32 v0, v0, v1
	v_and_b32_e32 v1, 0x7f800000, v0
	v_mov_b32_e32 v2, v61
	v_cmp_ne_u64_e64 s[28:29], s[62:63], v[1:2]
	v_and_b32_e32 v60, 0x7fffff, v0
                                        ; implicit-def: $vgpr31
	s_and_saveexec_b64 s[40:41], s[28:29]
	s_xor_b64 s[42:43], exec, s[40:41]
	s_cbranch_execz .LBB4_1900
; %bb.1887:                             ;   in Loop: Header=BB4_1514 Depth=4
	v_and_b32_e32 v1, 0x7fffffff, v0
	v_mov_b32_e32 v2, v61
	v_cmp_gt_u64_e64 s[28:29], s[78:79], v[1:2]
	v_and_b32_sdwa v3, v0, s81 dst_sel:DWORD dst_unused:UNUSED_PAD src0_sel:BYTE_3 src1_sel:DWORD
                                        ; implicit-def: $vgpr31
	s_and_saveexec_b64 s[40:41], s[28:29]
	s_xor_b64 s[38:39], exec, s[40:41]
	s_cbranch_execz .LBB4_1897
; %bb.1888:                             ;   in Loop: Header=BB4_1514 Depth=4
	v_mov_b32_e32 v31, 0
	v_cmp_ne_u32_e64 s[28:29], 0, v0
	s_and_saveexec_b64 s[48:49], s[28:29]
	s_cbranch_execz .LBB4_1896
; %bb.1889:                             ;   in Loop: Header=BB4_1514 Depth=4
	v_bfe_u32 v31, v0, 23, 8
	v_cmp_gt_u32_e64 s[40:41], s47, v31
	v_sub_u32_e32 v0, 0x71, v31
	v_cmp_eq_u32_e64 s[28:29], 0, v31
	v_cndmask_b32_e64 v0, 0, v0, s[40:41]
	v_mov_b32_e32 v2, 0x70
	v_cndmask_b32_e64 v34, v0, v2, s[28:29]
	v_or_b32_e32 v1, 0x800000, v60
	v_add_u32_e32 v0, 21, v34
	v_cndmask_b32_e64 v60, v1, v60, s[28:29]
	v_lshlrev_b64 v[0:1], v0, -1
	v_add_u32_e32 v2, 20, v34
	v_lshlrev_b64 v[35:36], v2, 1
	v_bfi_b32 v1, v1, 0, 0
	v_bfi_b32 v0, v0, 0, v60
	v_cmp_eq_u64_e64 s[40:41], v[0:1], v[35:36]
	v_lshrrev_b64 v[0:1], v34, v[60:61]
	v_mov_b32_e32 v2, v1
	v_mov_b32_e32 v1, v0
	s_and_saveexec_b64 s[50:51], s[40:41]
; %bb.1890:                             ;   in Loop: Header=BB4_1514 Depth=4
	v_bfe_u32 v1, v0, 21, 1
	v_add_co_u32_e64 v1, s[40:41], v0, v1
	v_add_co_u32_e64 v1, s[40:41], -1, v1
; %bb.1891:                             ;   in Loop: Header=BB4_1514 Depth=4
	s_or_b64 exec, exec, s[50:51]
	v_add_u32_e32 v2, 0xffffff81, v31
	v_mov_b32_e32 v31, 0xffffff82
	v_cndmask_b32_e64 v2, v2, v31, s[28:29]
	v_lshrrev_b32_e32 v31, 23, v0
	v_add3_u32 v34, v34, v2, v31
	v_add_u32_e32 v31, 14, v34
	v_and_b32_e32 v1, 0x1fffff, v1
	v_add_u32_e32 v60, v1, v0
	v_cmp_ne_u32_e64 s[28:29], 0, v31
                                        ; implicit-def: $vgpr0_vgpr1
                                        ; implicit-def: $vgpr2
	s_and_saveexec_b64 s[40:41], s[28:29]
	s_xor_b64 s[40:41], exec, s[40:41]
; %bb.1892:                             ;   in Loop: Header=BB4_1514 Depth=4
	v_cmp_lt_u64_e64 s[28:29], s[88:89], v[60:61]
	v_add_u32_e32 v0, 15, v34
	v_cndmask_b32_e64 v2, v31, v0, s[28:29]
	v_cndmask_b32_e64 v0, 0, 1, s[28:29]
	v_lshrrev_b64 v[0:1], v0, v[60:61]
; %bb.1893:                             ;   in Loop: Header=BB4_1514 Depth=4
	s_andn2_saveexec_b64 s[28:29], s[40:41]
; %bb.1894:                             ;   in Loop: Header=BB4_1514 Depth=4
	v_mov_b32_e32 v0, v60
	v_bfe_u32 v2, v60, 23, 1
	v_mov_b32_e32 v1, v61
; %bb.1895:                             ;   in Loop: Header=BB4_1514 Depth=4
	s_or_b64 exec, exec, s[28:29]
	v_lshrrev_b64 v[0:1], 21, v[0:1]
	v_cmp_gt_i32_e64 s[28:29], 32, v2
	v_cndmask_b32_e64 v1, 0, v1, s[28:29]
	v_cndmask_b32_e64 v0, 3, v0, s[28:29]
	v_cmp_eq_u64_e64 s[40:41], 0, v[0:1]
	v_min_i32_e32 v1, 31, v2
	v_lshlrev_b32_e32 v1, 2, v1
	v_cmp_eq_u32_e64 s[28:29], 0, v2
	v_and_b32_e32 v1, 0xfc, v1
	v_and_or_b32 v0, v0, 3, v1
	s_and_b64 s[28:29], s[28:29], s[40:41]
	v_cndmask_b32_e64 v0, v0, 0, s[28:29]
	v_or_b32_e32 v31, v0, v3
.LBB4_1896:                             ;   in Loop: Header=BB4_1514 Depth=4
	s_or_b64 exec, exec, s[48:49]
                                        ; implicit-def: $vgpr3
.LBB4_1897:                             ;   in Loop: Header=BB4_1514 Depth=4
	s_andn2_saveexec_b64 s[28:29], s[38:39]
; %bb.1898:                             ;   in Loop: Header=BB4_1514 Depth=4
	v_or_b32_e32 v31, 0x7b, v3
; %bb.1899:                             ;   in Loop: Header=BB4_1514 Depth=4
	s_or_b64 exec, exec, s[28:29]
                                        ; implicit-def: $vgpr0
.LBB4_1900:                             ;   in Loop: Header=BB4_1514 Depth=4
	s_andn2_saveexec_b64 s[40:41], s[42:43]
	s_cbranch_execz .LBB4_1906
; %bb.1901:                             ;   in Loop: Header=BB4_1514 Depth=4
	v_cmp_ne_u64_e64 s[28:29], 0, v[60:61]
                                        ; implicit-def: $vgpr31
	s_and_saveexec_b64 s[42:43], s[28:29]
	s_xor_b64 s[28:29], exec, s[42:43]
; %bb.1902:                             ;   in Loop: Header=BB4_1514 Depth=4
	v_or_b32_sdwa v31, v0, s44 dst_sel:DWORD dst_unused:UNUSED_PAD src0_sel:BYTE_3 src1_sel:DWORD
                                        ; implicit-def: $vgpr0
; %bb.1903:                             ;   in Loop: Header=BB4_1514 Depth=4
	s_andn2_saveexec_b64 s[42:43], s[28:29]
; %bb.1904:                             ;   in Loop: Header=BB4_1514 Depth=4
	v_cmp_lt_i32_e64 s[28:29], -1, v0
	v_bfrev_b32_e32 v0, 0.5
	v_mov_b32_e32 v1, 0x7c
	v_cndmask_b32_e64 v31, v0, v1, s[28:29]
; %bb.1905:                             ;   in Loop: Header=BB4_1514 Depth=4
	s_or_b64 exec, exec, s[42:43]
.LBB4_1906:                             ;   in Loop: Header=BB4_1514 Depth=4
	s_or_b64 exec, exec, s[40:41]
	v_mov_b32_e32 v60, v15
	v_cmp_ne_u16_sdwa s[28:29], v15, v61 src0_sel:BYTE_0 src1_sel:DWORD
	v_mov_b32_e32 v2, 0
	s_and_saveexec_b64 s[40:41], s[28:29]
	s_cbranch_execz .LBB4_1914
; %bb.1907:                             ;   in Loop: Header=BB4_1514 Depth=4
	v_cmp_ne_u16_sdwa s[28:29], v15, s81 src0_sel:BYTE_0 src1_sel:DWORD
	v_bfrev_b32_e32 v2, 1
	s_and_saveexec_b64 s[42:43], s[28:29]
	s_cbranch_execz .LBB4_1913
; %bb.1908:                             ;   in Loop: Header=BB4_1514 Depth=4
	v_and_b32_e32 v1, 0x7c, v15
	v_and_b32_e32 v0, 3, v15
	v_cmp_ne_u32_e64 s[28:29], s71, v1
                                        ; implicit-def: $vgpr2
	s_and_saveexec_b64 s[38:39], s[28:29]
	s_xor_b64 s[38:39], exec, s[38:39]
	s_cbranch_execz .LBB4_1910
; %bb.1909:                             ;   in Loop: Header=BB4_1514 Depth=4
	v_ffbh_u32_e32 v1, v0
	v_min_u32_e32 v34, 32, v1
	v_subrev_u32_e32 v1, 29, v34
	v_lshlrev_b64 v[1:2], v1, v[60:61]
	v_bfe_u32 v3, v15, 2, 5
	v_and_b32_e32 v1, 3, v1
	v_cmp_eq_u32_e64 s[28:29], 0, v3
	v_sub_u32_e32 v2, 30, v34
	v_cndmask_b32_e64 v0, v0, v1, s[28:29]
	v_lshlrev_b32_e32 v1, 24, v15
	v_cndmask_b32_e64 v2, v3, v2, s[28:29]
	v_and_b32_e32 v1, 0x80000000, v1
	v_lshl_add_u32 v1, v2, 23, v1
	v_lshl_or_b32 v0, v0, 21, v1
	v_add_u32_e32 v2, 0x38000000, v0
                                        ; implicit-def: $vgpr0
.LBB4_1910:                             ;   in Loop: Header=BB4_1514 Depth=4
	s_andn2_saveexec_b64 s[38:39], s[38:39]
; %bb.1911:                             ;   in Loop: Header=BB4_1514 Depth=4
	v_mov_b32_e32 v1, -1
	v_cmp_gt_i16_sdwa s[28:29], sext(v15), v1 src0_sel:BYTE_0 src1_sel:DWORD
	v_mov_b32_e32 v1, 0xff800000
	v_cndmask_b32_e64 v1, v1, v47, s[28:29]
	v_cmp_eq_u32_e64 s[28:29], 0, v0
	v_mov_b32_e32 v0, 0x7f800001
	v_cndmask_b32_e64 v2, v0, v1, s[28:29]
; %bb.1912:                             ;   in Loop: Header=BB4_1514 Depth=4
	s_or_b64 exec, exec, s[38:39]
.LBB4_1913:                             ;   in Loop: Header=BB4_1514 Depth=4
	s_or_b64 exec, exec, s[42:43]
.LBB4_1914:                             ;   in Loop: Header=BB4_1514 Depth=4
	s_or_b64 exec, exec, s[40:41]
	v_cmp_gt_i16_sdwa s[40:41], v11, s44 src0_sel:BYTE_0 src1_sel:DWORD
	s_mov_b64 s[28:29], 0
	s_and_saveexec_b64 s[42:43], s[40:41]
	s_xor_b64 s[40:41], exec, s[42:43]
	s_cbranch_execz .LBB4_1918
; %bb.1915:                             ;   in Loop: Header=BB4_1514 Depth=4
	v_cmp_eq_u16_sdwa s[38:39], v11, s81 src0_sel:BYTE_0 src1_sel:DWORD
	s_mov_b64 s[28:29], -1
	s_and_saveexec_b64 s[42:43], s[38:39]
; %bb.1916:                             ;   in Loop: Header=BB4_1514 Depth=4
	s_xor_b64 s[28:29], exec, -1
; %bb.1917:                             ;   in Loop: Header=BB4_1514 Depth=4
	s_or_b64 exec, exec, s[42:43]
	s_and_b64 s[28:29], s[28:29], exec
.LBB4_1918:                             ;   in Loop: Header=BB4_1514 Depth=4
	s_or_saveexec_b64 s[40:41], s[40:41]
	v_bfrev_b32_e32 v3, 1
	s_xor_b64 exec, exec, s[40:41]
; %bb.1919:                             ;   in Loop: Header=BB4_1514 Depth=4
	v_cmp_ne_u16_sdwa s[42:43], v11, v61 src0_sel:BYTE_0 src1_sel:DWORD
	s_andn2_b64 s[28:29], s[28:29], exec
	s_and_b64 s[42:43], s[42:43], exec
	v_mov_b32_e32 v3, 0
	s_or_b64 s[28:29], s[28:29], s[42:43]
; %bb.1920:                             ;   in Loop: Header=BB4_1514 Depth=4
	s_or_b64 exec, exec, s[40:41]
	v_mov_b32_e32 v0, v11
	v_mov_b32_e32 v1, v61
	s_and_saveexec_b64 s[38:39], s[28:29]
	s_cbranch_execz .LBB4_1922
; %bb.1921:                             ;   in Loop: Header=BB4_1514 Depth=4
	v_and_b32_e32 v3, 3, v11
	v_and_b32_e32 v34, 0x7c, v11
	v_cmp_eq_u32_e64 s[28:29], s71, v34
	v_ffbh_u32_e32 v34, v3
	v_min_u32_e32 v37, 32, v34
	v_subrev_u32_e32 v34, 29, v37
	v_lshlrev_b64 v[34:35], v34, v[0:1]
	v_bfe_u32 v36, v11, 2, 5
	v_cmp_eq_u32_e64 s[40:41], 0, v36
	v_sub_u32_e32 v1, 30, v37
	v_and_b32_e32 v34, 3, v34
	v_lshlrev_b32_e32 v35, 24, v11
	v_cndmask_b32_e64 v1, v36, v1, s[40:41]
	v_cndmask_b32_e64 v34, v3, v34, s[40:41]
	v_and_b32_e32 v35, 0x80000000, v35
	v_cmp_eq_u32_e64 s[40:41], 0, v3
	v_mov_b32_e32 v3, -1
	v_lshl_add_u32 v1, v1, 23, v35
	v_cmp_gt_i16_sdwa s[42:43], sext(v11), v3 src0_sel:BYTE_0 src1_sel:DWORD
	v_mov_b32_e32 v3, 0xff800000
	v_lshl_or_b32 v1, v34, 21, v1
	v_cndmask_b32_e64 v3, v3, v47, s[42:43]
	v_mov_b32_e32 v34, 0x7f800001
	v_add_u32_e32 v1, 0x38000000, v1
	v_cndmask_b32_e64 v3, v34, v3, s[40:41]
	v_cndmask_b32_e64 v3, v1, v3, s[28:29]
.LBB4_1922:                             ;   in Loop: Header=BB4_1514 Depth=4
	s_or_b64 exec, exec, s[38:39]
	v_mul_f32_e32 v35, v2, v3
	v_and_b32_e32 v2, 0x7f800000, v35
	v_mov_b32_e32 v3, v61
	v_cmp_ne_u64_e64 s[28:29], s[62:63], v[2:3]
	v_and_b32_e32 v1, 0x7fffff, v35
	v_mov_b32_e32 v2, v61
                                        ; implicit-def: $vgpr3
	s_and_saveexec_b64 s[40:41], s[28:29]
	s_xor_b64 s[42:43], exec, s[40:41]
	s_cbranch_execz .LBB4_1936
; %bb.1923:                             ;   in Loop: Header=BB4_1514 Depth=4
	v_and_b32_e32 v36, 0x7fffffff, v35
	v_mov_b32_e32 v37, v61
	v_cmp_gt_u64_e64 s[28:29], s[78:79], v[36:37]
	v_and_b32_sdwa v34, v35, s81 dst_sel:DWORD dst_unused:UNUSED_PAD src0_sel:BYTE_3 src1_sel:DWORD
                                        ; implicit-def: $vgpr3
	s_and_saveexec_b64 s[40:41], s[28:29]
	s_xor_b64 s[38:39], exec, s[40:41]
	s_cbranch_execz .LBB4_1933
; %bb.1924:                             ;   in Loop: Header=BB4_1514 Depth=4
	v_mov_b32_e32 v3, 0
	v_cmp_ne_u32_e64 s[28:29], 0, v35
	s_and_saveexec_b64 s[48:49], s[28:29]
	s_cbranch_execz .LBB4_1932
; %bb.1925:                             ;   in Loop: Header=BB4_1514 Depth=4
	v_bfe_u32 v35, v35, 23, 8
	v_cmp_gt_u32_e64 s[40:41], s47, v35
	v_sub_u32_e32 v3, 0x71, v35
	v_cmp_eq_u32_e64 s[28:29], 0, v35
	v_cndmask_b32_e64 v3, 0, v3, s[40:41]
	v_mov_b32_e32 v36, 0x70
	v_cndmask_b32_e64 v36, v3, v36, s[28:29]
	v_add_u32_e32 v3, 21, v36
	v_or_b32_e32 v37, 0x800000, v1
	v_lshlrev_b64 v[50:51], v3, -1
	v_cndmask_b32_e64 v1, v37, v1, s[28:29]
	v_add_u32_e32 v3, 20, v36
	v_bfi_b32 v50, v50, 0, v1
	v_lshlrev_b64 v[52:53], v3, 1
	v_lshrrev_b64 v[1:2], v36, v[1:2]
	v_bfi_b32 v51, v51, 0, 0
	v_cmp_eq_u64_e64 s[40:41], v[50:51], v[52:53]
	v_mov_b32_e32 v3, v2
	v_mov_b32_e32 v2, v1
	s_and_saveexec_b64 s[50:51], s[40:41]
; %bb.1926:                             ;   in Loop: Header=BB4_1514 Depth=4
	v_bfe_u32 v2, v1, 21, 1
	v_add_co_u32_e64 v2, s[40:41], v1, v2
	v_add_co_u32_e64 v2, s[40:41], -1, v2
; %bb.1927:                             ;   in Loop: Header=BB4_1514 Depth=4
	s_or_b64 exec, exec, s[50:51]
	v_add_u32_e32 v3, 0xffffff81, v35
	v_mov_b32_e32 v35, 0xffffff82
	v_cndmask_b32_e64 v3, v3, v35, s[28:29]
	v_lshrrev_b32_e32 v35, 23, v1
	v_add3_u32 v36, v36, v3, v35
	v_add_u32_e32 v35, 14, v36
	v_and_b32_e32 v2, 0x1fffff, v2
	v_add_u32_e32 v1, v2, v1
	v_mov_b32_e32 v2, v61
	v_cmp_ne_u32_e64 s[28:29], 0, v35
                                        ; implicit-def: $vgpr3
	s_and_saveexec_b64 s[40:41], s[28:29]
	s_xor_b64 s[40:41], exec, s[40:41]
; %bb.1928:                             ;   in Loop: Header=BB4_1514 Depth=4
	v_cmp_lt_u64_e64 s[28:29], s[88:89], v[1:2]
	v_add_u32_e32 v3, 15, v36
	v_cndmask_b32_e64 v3, v35, v3, s[28:29]
	v_cndmask_b32_e64 v35, 0, 1, s[28:29]
	v_lshrrev_b64 v[1:2], v35, v[1:2]
; %bb.1929:                             ;   in Loop: Header=BB4_1514 Depth=4
	s_andn2_saveexec_b64 s[28:29], s[40:41]
; %bb.1930:                             ;   in Loop: Header=BB4_1514 Depth=4
	v_bfe_u32 v3, v1, 23, 1
; %bb.1931:                             ;   in Loop: Header=BB4_1514 Depth=4
	s_or_b64 exec, exec, s[28:29]
	v_lshrrev_b64 v[1:2], 21, v[1:2]
	v_cmp_gt_i32_e64 s[28:29], 32, v3
	v_cndmask_b32_e64 v2, 0, v2, s[28:29]
	v_cndmask_b32_e64 v1, 3, v1, s[28:29]
	v_cmp_eq_u64_e64 s[40:41], 0, v[1:2]
	v_min_i32_e32 v2, 31, v3
	v_lshlrev_b32_e32 v2, 2, v2
	v_cmp_eq_u32_e64 s[28:29], 0, v3
	v_and_b32_e32 v2, 0xfc, v2
	v_and_or_b32 v1, v1, 3, v2
	s_and_b64 s[28:29], s[28:29], s[40:41]
	v_cndmask_b32_e64 v1, v1, 0, s[28:29]
	v_or_b32_e32 v3, v1, v34
.LBB4_1932:                             ;   in Loop: Header=BB4_1514 Depth=4
	s_or_b64 exec, exec, s[48:49]
                                        ; implicit-def: $vgpr34
.LBB4_1933:                             ;   in Loop: Header=BB4_1514 Depth=4
	s_andn2_saveexec_b64 s[28:29], s[38:39]
; %bb.1934:                             ;   in Loop: Header=BB4_1514 Depth=4
	v_or_b32_e32 v3, 0x7b, v34
; %bb.1935:                             ;   in Loop: Header=BB4_1514 Depth=4
	s_or_b64 exec, exec, s[28:29]
                                        ; implicit-def: $vgpr35
                                        ; implicit-def: $vgpr1_vgpr2
.LBB4_1936:                             ;   in Loop: Header=BB4_1514 Depth=4
	s_andn2_saveexec_b64 s[40:41], s[42:43]
	s_cbranch_execz .LBB4_1942
; %bb.1937:                             ;   in Loop: Header=BB4_1514 Depth=4
	v_cmp_ne_u64_e64 s[28:29], 0, v[1:2]
                                        ; implicit-def: $vgpr3
	s_and_saveexec_b64 s[42:43], s[28:29]
	s_xor_b64 s[28:29], exec, s[42:43]
; %bb.1938:                             ;   in Loop: Header=BB4_1514 Depth=4
	v_or_b32_sdwa v3, v35, s44 dst_sel:DWORD dst_unused:UNUSED_PAD src0_sel:BYTE_3 src1_sel:DWORD
                                        ; implicit-def: $vgpr35
; %bb.1939:                             ;   in Loop: Header=BB4_1514 Depth=4
	s_andn2_saveexec_b64 s[42:43], s[28:29]
; %bb.1940:                             ;   in Loop: Header=BB4_1514 Depth=4
	v_cmp_lt_i32_e64 s[28:29], -1, v35
	v_bfrev_b32_e32 v1, 0.5
	v_mov_b32_e32 v2, 0x7c
	v_cndmask_b32_e64 v3, v1, v2, s[28:29]
; %bb.1941:                             ;   in Loop: Header=BB4_1514 Depth=4
	s_or_b64 exec, exec, s[42:43]
.LBB4_1942:                             ;   in Loop: Header=BB4_1514 Depth=4
	s_or_b64 exec, exec, s[40:41]
	v_lshrrev_b16_e32 v1, 8, v60
	v_cmp_ne_u16_e64 s[28:29], 0, v1
	v_mov_b32_e32 v2, 0
	s_and_saveexec_b64 s[40:41], s[28:29]
	s_cbranch_execz .LBB4_1950
; %bb.1943:                             ;   in Loop: Header=BB4_1514 Depth=4
	v_cmp_ne_u16_e64 s[28:29], s81, v1
	v_bfrev_b32_e32 v2, 1
	s_and_saveexec_b64 s[42:43], s[28:29]
	s_cbranch_execz .LBB4_1949
; %bb.1944:                             ;   in Loop: Header=BB4_1514 Depth=4
	v_and_b32_e32 v2, 0x7c, v1
	v_and_b32_e32 v34, 3, v1
	v_cmp_ne_u32_e64 s[28:29], s71, v2
                                        ; implicit-def: $vgpr2
	s_and_saveexec_b64 s[38:39], s[28:29]
	s_xor_b64 s[38:39], exec, s[38:39]
	s_cbranch_execz .LBB4_1946
; %bb.1945:                             ;   in Loop: Header=BB4_1514 Depth=4
	v_ffbh_u32_e32 v36, v34
	v_min_u32_e32 v36, 32, v36
	v_mov_b32_e32 v2, v61
	v_subrev_u32_e32 v37, 29, v36
	v_bfe_u32 v35, v1, 2, 5
	v_lshlrev_b64 v[1:2], v37, v[1:2]
	v_cmp_eq_u32_e64 s[28:29], 0, v35
	v_and_b32_e32 v1, 3, v1
	v_sub_u32_e32 v2, 30, v36
	v_cndmask_b32_e64 v1, v34, v1, s[28:29]
	v_lshlrev_b32_e32 v34, 16, v60
	v_cndmask_b32_e64 v2, v35, v2, s[28:29]
	v_and_b32_e32 v34, 0x80000000, v34
	v_lshl_add_u32 v2, v2, 23, v34
	v_lshl_or_b32 v1, v1, 21, v2
	v_add_u32_e32 v2, 0x38000000, v1
                                        ; implicit-def: $vgpr34
.LBB4_1946:                             ;   in Loop: Header=BB4_1514 Depth=4
	s_andn2_saveexec_b64 s[38:39], s[38:39]
; %bb.1947:                             ;   in Loop: Header=BB4_1514 Depth=4
	v_cmp_lt_i16_e64 s[28:29], -1, v60
	v_mov_b32_e32 v1, 0xff800000
	v_cndmask_b32_e64 v1, v1, v47, s[28:29]
	v_cmp_eq_u32_e64 s[28:29], 0, v34
	v_mov_b32_e32 v2, 0x7f800001
	v_cndmask_b32_e64 v2, v2, v1, s[28:29]
; %bb.1948:                             ;   in Loop: Header=BB4_1514 Depth=4
	s_or_b64 exec, exec, s[38:39]
.LBB4_1949:                             ;   in Loop: Header=BB4_1514 Depth=4
	s_or_b64 exec, exec, s[42:43]
.LBB4_1950:                             ;   in Loop: Header=BB4_1514 Depth=4
	s_or_b64 exec, exec, s[40:41]
	v_lshrrev_b16_e32 v60, 8, v0
	v_cmp_lt_i16_e64 s[28:29], s44, v60
	s_mov_b64 s[40:41], 0
	s_and_saveexec_b64 s[42:43], s[28:29]
	s_xor_b64 s[42:43], exec, s[42:43]
	s_cbranch_execz .LBB4_2053
; %bb.1951:                             ;   in Loop: Header=BB4_1514 Depth=4
	v_cmp_eq_u16_e64 s[28:29], s81, v60
	s_mov_b64 s[40:41], -1
	s_and_saveexec_b64 s[38:39], s[28:29]
; %bb.1952:                             ;   in Loop: Header=BB4_1514 Depth=4
	s_xor_b64 s[40:41], exec, -1
; %bb.1953:                             ;   in Loop: Header=BB4_1514 Depth=4
	s_or_b64 exec, exec, s[38:39]
	s_and_b64 s[40:41], s[40:41], exec
	s_or_saveexec_b64 s[42:43], s[42:43]
	v_bfrev_b32_e32 v1, 1
	s_xor_b64 exec, exec, s[42:43]
	s_cbranch_execnz .LBB4_2054
.LBB4_1954:                             ;   in Loop: Header=BB4_1514 Depth=4
	s_or_b64 exec, exec, s[42:43]
	s_and_saveexec_b64 s[38:39], s[40:41]
	s_cbranch_execz .LBB4_1956
.LBB4_1955:                             ;   in Loop: Header=BB4_1514 Depth=4
	v_and_b32_e32 v1, 3, v60
	v_and_b32_e32 v34, 0x7c, v60
	v_cmp_eq_u32_e64 s[28:29], s71, v34
	v_ffbh_u32_e32 v34, v1
	v_min_u32_e32 v37, 32, v34
	v_subrev_u32_e32 v34, 29, v37
	v_bfe_u32 v36, v60, 2, 5
	v_lshlrev_b64 v[34:35], v34, v[60:61]
	v_cmp_eq_u32_e64 s[40:41], 0, v36
	v_sub_u32_e32 v35, 30, v37
	v_cndmask_b32_e64 v35, v36, v35, s[40:41]
	v_lshlrev_b32_e32 v36, 24, v60
	v_and_b32_e32 v34, 3, v34
	v_and_b32_e32 v36, 0x80000000, v36
	v_cndmask_b32_e64 v34, v1, v34, s[40:41]
	v_lshl_add_u32 v35, v35, 23, v36
	v_cmp_lt_i16_e64 s[42:43], -1, v0
	v_mov_b32_e32 v0, 0xff800000
	v_lshl_or_b32 v34, v34, 21, v35
	v_cmp_eq_u32_e64 s[40:41], 0, v1
	v_cndmask_b32_e64 v0, v0, v47, s[42:43]
	v_mov_b32_e32 v1, 0x7f800001
	v_add_u32_e32 v34, 0x38000000, v34
	v_cndmask_b32_e64 v0, v1, v0, s[40:41]
	v_cndmask_b32_e64 v1, v34, v0, s[28:29]
.LBB4_1956:                             ;   in Loop: Header=BB4_1514 Depth=4
	s_or_b64 exec, exec, s[38:39]
	v_mul_f32_e32 v0, v2, v1
	v_and_b32_e32 v1, 0x7f800000, v0
	v_mov_b32_e32 v2, v61
	v_cmp_ne_u64_e64 s[28:29], s[62:63], v[1:2]
	v_and_b32_e32 v60, 0x7fffff, v0
                                        ; implicit-def: $vgpr34
	s_and_saveexec_b64 s[40:41], s[28:29]
	s_xor_b64 s[42:43], exec, s[40:41]
	s_cbranch_execz .LBB4_1970
; %bb.1957:                             ;   in Loop: Header=BB4_1514 Depth=4
	v_and_b32_e32 v1, 0x7fffffff, v0
	v_mov_b32_e32 v2, v61
	v_cmp_gt_u64_e64 s[28:29], s[78:79], v[1:2]
	v_and_b32_sdwa v35, v0, s81 dst_sel:DWORD dst_unused:UNUSED_PAD src0_sel:BYTE_3 src1_sel:DWORD
                                        ; implicit-def: $vgpr34
	s_and_saveexec_b64 s[40:41], s[28:29]
	s_xor_b64 s[38:39], exec, s[40:41]
	s_cbranch_execz .LBB4_1967
; %bb.1958:                             ;   in Loop: Header=BB4_1514 Depth=4
	v_mov_b32_e32 v34, 0
	v_cmp_ne_u32_e64 s[28:29], 0, v0
	s_and_saveexec_b64 s[48:49], s[28:29]
	s_cbranch_execz .LBB4_1966
; %bb.1959:                             ;   in Loop: Header=BB4_1514 Depth=4
	v_bfe_u32 v34, v0, 23, 8
	v_cmp_gt_u32_e64 s[40:41], s47, v34
	v_sub_u32_e32 v0, 0x71, v34
	v_cmp_eq_u32_e64 s[28:29], 0, v34
	v_cndmask_b32_e64 v0, 0, v0, s[40:41]
	v_mov_b32_e32 v2, 0x70
	v_cndmask_b32_e64 v36, v0, v2, s[28:29]
	v_or_b32_e32 v1, 0x800000, v60
	v_add_u32_e32 v0, 21, v36
	v_cndmask_b32_e64 v60, v1, v60, s[28:29]
	v_lshlrev_b64 v[0:1], v0, -1
	v_add_u32_e32 v2, 20, v36
	v_lshlrev_b64 v[50:51], v2, 1
	v_bfi_b32 v1, v1, 0, 0
	v_bfi_b32 v0, v0, 0, v60
	v_cmp_eq_u64_e64 s[40:41], v[0:1], v[50:51]
	v_lshrrev_b64 v[0:1], v36, v[60:61]
	v_mov_b32_e32 v2, v1
	v_mov_b32_e32 v1, v0
	s_and_saveexec_b64 s[50:51], s[40:41]
; %bb.1960:                             ;   in Loop: Header=BB4_1514 Depth=4
	v_bfe_u32 v1, v0, 21, 1
	v_add_co_u32_e64 v1, s[40:41], v0, v1
	v_add_co_u32_e64 v1, s[40:41], -1, v1
; %bb.1961:                             ;   in Loop: Header=BB4_1514 Depth=4
	s_or_b64 exec, exec, s[50:51]
	v_add_u32_e32 v2, 0xffffff81, v34
	v_mov_b32_e32 v34, 0xffffff82
	v_cndmask_b32_e64 v2, v2, v34, s[28:29]
	v_lshrrev_b32_e32 v34, 23, v0
	v_add3_u32 v36, v36, v2, v34
	v_add_u32_e32 v34, 14, v36
	v_and_b32_e32 v1, 0x1fffff, v1
	v_add_u32_e32 v60, v1, v0
	v_cmp_ne_u32_e64 s[28:29], 0, v34
                                        ; implicit-def: $vgpr0_vgpr1
                                        ; implicit-def: $vgpr2
	s_and_saveexec_b64 s[40:41], s[28:29]
	s_xor_b64 s[40:41], exec, s[40:41]
; %bb.1962:                             ;   in Loop: Header=BB4_1514 Depth=4
	v_cmp_lt_u64_e64 s[28:29], s[88:89], v[60:61]
	v_add_u32_e32 v0, 15, v36
	v_cndmask_b32_e64 v2, v34, v0, s[28:29]
	v_cndmask_b32_e64 v0, 0, 1, s[28:29]
	v_lshrrev_b64 v[0:1], v0, v[60:61]
; %bb.1963:                             ;   in Loop: Header=BB4_1514 Depth=4
	s_andn2_saveexec_b64 s[28:29], s[40:41]
; %bb.1964:                             ;   in Loop: Header=BB4_1514 Depth=4
	v_mov_b32_e32 v0, v60
	v_bfe_u32 v2, v60, 23, 1
	v_mov_b32_e32 v1, v61
; %bb.1965:                             ;   in Loop: Header=BB4_1514 Depth=4
	s_or_b64 exec, exec, s[28:29]
	v_lshrrev_b64 v[0:1], 21, v[0:1]
	v_cmp_gt_i32_e64 s[28:29], 32, v2
	v_cndmask_b32_e64 v1, 0, v1, s[28:29]
	v_cndmask_b32_e64 v0, 3, v0, s[28:29]
	v_cmp_eq_u64_e64 s[40:41], 0, v[0:1]
	v_min_i32_e32 v1, 31, v2
	v_lshlrev_b32_e32 v1, 2, v1
	v_cmp_eq_u32_e64 s[28:29], 0, v2
	v_and_b32_e32 v1, 0xfc, v1
	v_and_or_b32 v0, v0, 3, v1
	s_and_b64 s[28:29], s[28:29], s[40:41]
	v_cndmask_b32_e64 v0, v0, 0, s[28:29]
	v_or_b32_e32 v34, v0, v35
.LBB4_1966:                             ;   in Loop: Header=BB4_1514 Depth=4
	s_or_b64 exec, exec, s[48:49]
                                        ; implicit-def: $vgpr35
.LBB4_1967:                             ;   in Loop: Header=BB4_1514 Depth=4
	s_andn2_saveexec_b64 s[28:29], s[38:39]
; %bb.1968:                             ;   in Loop: Header=BB4_1514 Depth=4
	v_or_b32_e32 v34, 0x7b, v35
; %bb.1969:                             ;   in Loop: Header=BB4_1514 Depth=4
	s_or_b64 exec, exec, s[28:29]
                                        ; implicit-def: $vgpr0
.LBB4_1970:                             ;   in Loop: Header=BB4_1514 Depth=4
	s_andn2_saveexec_b64 s[40:41], s[42:43]
	s_cbranch_execz .LBB4_1976
; %bb.1971:                             ;   in Loop: Header=BB4_1514 Depth=4
	v_cmp_ne_u64_e64 s[28:29], 0, v[60:61]
                                        ; implicit-def: $vgpr34
	s_and_saveexec_b64 s[42:43], s[28:29]
	s_xor_b64 s[28:29], exec, s[42:43]
; %bb.1972:                             ;   in Loop: Header=BB4_1514 Depth=4
	v_or_b32_sdwa v34, v0, s44 dst_sel:DWORD dst_unused:UNUSED_PAD src0_sel:BYTE_3 src1_sel:DWORD
                                        ; implicit-def: $vgpr0
; %bb.1973:                             ;   in Loop: Header=BB4_1514 Depth=4
	s_andn2_saveexec_b64 s[42:43], s[28:29]
; %bb.1974:                             ;   in Loop: Header=BB4_1514 Depth=4
	v_cmp_lt_i32_e64 s[28:29], -1, v0
	v_bfrev_b32_e32 v0, 0.5
	v_mov_b32_e32 v1, 0x7c
	v_cndmask_b32_e64 v34, v0, v1, s[28:29]
; %bb.1975:                             ;   in Loop: Header=BB4_1514 Depth=4
	s_or_b64 exec, exec, s[42:43]
.LBB4_1976:                             ;   in Loop: Header=BB4_1514 Depth=4
	s_or_b64 exec, exec, s[40:41]
	v_lshrrev_b32_e32 v0, 16, v15
	v_cmp_ne_u16_sdwa s[28:29], v0, v61 src0_sel:BYTE_0 src1_sel:DWORD
	v_mov_b32_e32 v1, 0
	s_and_saveexec_b64 s[40:41], s[28:29]
	s_cbranch_execz .LBB4_1984
; %bb.1977:                             ;   in Loop: Header=BB4_1514 Depth=4
	v_cmp_ne_u16_sdwa s[28:29], v0, s81 src0_sel:BYTE_0 src1_sel:DWORD
	v_bfrev_b32_e32 v1, 1
	s_and_saveexec_b64 s[42:43], s[28:29]
	s_cbranch_execz .LBB4_1983
; %bb.1978:                             ;   in Loop: Header=BB4_1514 Depth=4
	v_and_b32_e32 v1, 0x7c0000, v15
	v_bfe_u32 v2, v15, 16, 2
	v_cmp_ne_u32_e64 s[28:29], s45, v1
                                        ; implicit-def: $vgpr1
	s_and_saveexec_b64 s[38:39], s[28:29]
	s_xor_b64 s[38:39], exec, s[38:39]
	s_cbranch_execz .LBB4_1980
; %bb.1979:                             ;   in Loop: Header=BB4_1514 Depth=4
	v_ffbh_u32_e32 v1, v2
	v_min_u32_e32 v36, 32, v1
	v_subrev_u32_e32 v1, 29, v36
	v_lshlrev_b64 v[0:1], v1, v[0:1]
	v_bfe_u32 v35, v15, 18, 5
	v_and_b32_e32 v0, 3, v0
	v_cmp_eq_u32_e64 s[28:29], 0, v35
	v_sub_u32_e32 v1, 30, v36
	v_cndmask_b32_e64 v0, v2, v0, s[28:29]
	v_lshlrev_b32_e32 v2, 8, v15
	v_cndmask_b32_e64 v1, v35, v1, s[28:29]
	v_and_b32_e32 v2, 0x80000000, v2
	v_lshl_add_u32 v1, v1, 23, v2
	v_lshl_or_b32 v0, v0, 21, v1
	v_add_u32_e32 v1, 0x38000000, v0
                                        ; implicit-def: $vgpr2
                                        ; implicit-def: $vgpr0
.LBB4_1980:                             ;   in Loop: Header=BB4_1514 Depth=4
	s_andn2_saveexec_b64 s[38:39], s[38:39]
; %bb.1981:                             ;   in Loop: Header=BB4_1514 Depth=4
	v_mov_b32_e32 v1, -1
	v_cmp_gt_i16_sdwa s[28:29], sext(v0), v1 src0_sel:BYTE_0 src1_sel:DWORD
	v_mov_b32_e32 v0, 0xff800000
	v_cndmask_b32_e64 v0, v0, v47, s[28:29]
	v_cmp_eq_u32_e64 s[28:29], 0, v2
	v_mov_b32_e32 v1, 0x7f800001
	v_cndmask_b32_e64 v1, v1, v0, s[28:29]
; %bb.1982:                             ;   in Loop: Header=BB4_1514 Depth=4
	s_or_b64 exec, exec, s[38:39]
.LBB4_1983:                             ;   in Loop: Header=BB4_1514 Depth=4
	s_or_b64 exec, exec, s[42:43]
.LBB4_1984:                             ;   in Loop: Header=BB4_1514 Depth=4
	s_or_b64 exec, exec, s[40:41]
	v_lshrrev_b32_e32 v0, 16, v11
	v_cmp_gt_i16_sdwa s[40:41], v0, s44 src0_sel:BYTE_0 src1_sel:DWORD
	s_mov_b64 s[28:29], 0
	s_and_saveexec_b64 s[42:43], s[40:41]
	s_xor_b64 s[40:41], exec, s[42:43]
	s_cbranch_execz .LBB4_2055
; %bb.1985:                             ;   in Loop: Header=BB4_1514 Depth=4
	v_cmp_eq_u16_sdwa s[38:39], v0, s81 src0_sel:BYTE_0 src1_sel:DWORD
	s_mov_b64 s[28:29], -1
	s_and_saveexec_b64 s[42:43], s[38:39]
; %bb.1986:                             ;   in Loop: Header=BB4_1514 Depth=4
	s_xor_b64 s[28:29], exec, -1
; %bb.1987:                             ;   in Loop: Header=BB4_1514 Depth=4
	s_or_b64 exec, exec, s[42:43]
	s_and_b64 s[28:29], s[28:29], exec
	s_or_saveexec_b64 s[40:41], s[40:41]
	v_bfrev_b32_e32 v2, 1
	s_xor_b64 exec, exec, s[40:41]
	s_cbranch_execnz .LBB4_2056
.LBB4_1988:                             ;   in Loop: Header=BB4_1514 Depth=4
	s_or_b64 exec, exec, s[40:41]
	s_and_saveexec_b64 s[38:39], s[28:29]
	s_cbranch_execz .LBB4_1990
.LBB4_1989:                             ;   in Loop: Header=BB4_1514 Depth=4
	v_and_b32_e32 v2, 3, v0
	v_and_b32_e32 v35, 0x7c0000, v11
	v_cmp_eq_u32_e64 s[28:29], s45, v35
	v_ffbh_u32_e32 v35, v2
	v_min_u32_e32 v39, 32, v35
	v_subrev_u32_e32 v35, 29, v39
	v_bfe_u32 v37, v11, 18, 5
	v_lshlrev_b64 v[35:36], v35, v[0:1]
	v_cmp_eq_u32_e64 s[40:41], 0, v37
	v_sub_u32_e32 v36, 30, v39
	v_and_b32_e32 v35, 3, v35
	v_cndmask_b32_e64 v36, v37, v36, s[40:41]
	v_lshlrev_b32_e32 v37, 24, v0
	v_cndmask_b32_e64 v35, v2, v35, s[40:41]
	v_and_b32_e32 v37, 0x80000000, v37
	v_cmp_eq_u32_e64 s[40:41], 0, v2
	v_mov_b32_e32 v2, -1
	v_lshl_add_u32 v36, v36, 23, v37
	v_cmp_gt_i16_sdwa s[42:43], sext(v0), v2 src0_sel:BYTE_0 src1_sel:DWORD
	v_mov_b32_e32 v0, 0xff800000
	v_lshl_or_b32 v35, v35, 21, v36
	v_cndmask_b32_e64 v0, v0, v47, s[42:43]
	v_mov_b32_e32 v2, 0x7f800001
	v_add_u32_e32 v35, 0x38000000, v35
	v_cndmask_b32_e64 v0, v2, v0, s[40:41]
	v_cndmask_b32_e64 v2, v35, v0, s[28:29]
.LBB4_1990:                             ;   in Loop: Header=BB4_1514 Depth=4
	s_or_b64 exec, exec, s[38:39]
	v_mul_f32_e32 v0, v1, v2
	v_and_b32_e32 v1, 0x7f800000, v0
	v_mov_b32_e32 v2, v61
	v_cmp_ne_u64_e64 s[28:29], s[62:63], v[1:2]
	v_and_b32_e32 v60, 0x7fffff, v0
                                        ; implicit-def: $vgpr35
	s_and_saveexec_b64 s[40:41], s[28:29]
	s_xor_b64 s[42:43], exec, s[40:41]
	s_cbranch_execz .LBB4_2004
; %bb.1991:                             ;   in Loop: Header=BB4_1514 Depth=4
	v_and_b32_e32 v1, 0x7fffffff, v0
	v_mov_b32_e32 v2, v61
	v_cmp_gt_u64_e64 s[28:29], s[78:79], v[1:2]
	v_and_b32_sdwa v36, v0, s81 dst_sel:DWORD dst_unused:UNUSED_PAD src0_sel:BYTE_3 src1_sel:DWORD
                                        ; implicit-def: $vgpr35
	s_and_saveexec_b64 s[40:41], s[28:29]
	s_xor_b64 s[38:39], exec, s[40:41]
	s_cbranch_execz .LBB4_2001
; %bb.1992:                             ;   in Loop: Header=BB4_1514 Depth=4
	v_mov_b32_e32 v35, 0
	v_cmp_ne_u32_e64 s[28:29], 0, v0
	s_and_saveexec_b64 s[48:49], s[28:29]
	s_cbranch_execz .LBB4_2000
; %bb.1993:                             ;   in Loop: Header=BB4_1514 Depth=4
	v_bfe_u32 v35, v0, 23, 8
	v_cmp_gt_u32_e64 s[40:41], s47, v35
	v_sub_u32_e32 v0, 0x71, v35
	v_cmp_eq_u32_e64 s[28:29], 0, v35
	v_cndmask_b32_e64 v0, 0, v0, s[40:41]
	v_mov_b32_e32 v2, 0x70
	v_cndmask_b32_e64 v37, v0, v2, s[28:29]
	v_or_b32_e32 v1, 0x800000, v60
	v_add_u32_e32 v0, 21, v37
	v_cndmask_b32_e64 v60, v1, v60, s[28:29]
	v_lshlrev_b64 v[0:1], v0, -1
	v_add_u32_e32 v2, 20, v37
	v_lshlrev_b64 v[50:51], v2, 1
	v_bfi_b32 v1, v1, 0, 0
	v_bfi_b32 v0, v0, 0, v60
	v_cmp_eq_u64_e64 s[40:41], v[0:1], v[50:51]
	v_lshrrev_b64 v[0:1], v37, v[60:61]
	v_mov_b32_e32 v2, v1
	v_mov_b32_e32 v1, v0
	s_and_saveexec_b64 s[50:51], s[40:41]
; %bb.1994:                             ;   in Loop: Header=BB4_1514 Depth=4
	v_bfe_u32 v1, v0, 21, 1
	v_add_co_u32_e64 v1, s[40:41], v0, v1
	v_add_co_u32_e64 v1, s[40:41], -1, v1
; %bb.1995:                             ;   in Loop: Header=BB4_1514 Depth=4
	s_or_b64 exec, exec, s[50:51]
	v_add_u32_e32 v2, 0xffffff81, v35
	v_mov_b32_e32 v35, 0xffffff82
	v_cndmask_b32_e64 v2, v2, v35, s[28:29]
	v_lshrrev_b32_e32 v35, 23, v0
	v_add3_u32 v37, v37, v2, v35
	v_add_u32_e32 v35, 14, v37
	v_and_b32_e32 v1, 0x1fffff, v1
	v_add_u32_e32 v60, v1, v0
	v_cmp_ne_u32_e64 s[28:29], 0, v35
                                        ; implicit-def: $vgpr0_vgpr1
                                        ; implicit-def: $vgpr2
	s_and_saveexec_b64 s[40:41], s[28:29]
	s_xor_b64 s[40:41], exec, s[40:41]
; %bb.1996:                             ;   in Loop: Header=BB4_1514 Depth=4
	v_cmp_lt_u64_e64 s[28:29], s[88:89], v[60:61]
	v_add_u32_e32 v0, 15, v37
	v_cndmask_b32_e64 v2, v35, v0, s[28:29]
	v_cndmask_b32_e64 v0, 0, 1, s[28:29]
	v_lshrrev_b64 v[0:1], v0, v[60:61]
; %bb.1997:                             ;   in Loop: Header=BB4_1514 Depth=4
	s_andn2_saveexec_b64 s[28:29], s[40:41]
; %bb.1998:                             ;   in Loop: Header=BB4_1514 Depth=4
	v_mov_b32_e32 v0, v60
	v_bfe_u32 v2, v60, 23, 1
	v_mov_b32_e32 v1, v61
; %bb.1999:                             ;   in Loop: Header=BB4_1514 Depth=4
	s_or_b64 exec, exec, s[28:29]
	v_lshrrev_b64 v[0:1], 21, v[0:1]
	v_cmp_gt_i32_e64 s[28:29], 32, v2
	v_cndmask_b32_e64 v1, 0, v1, s[28:29]
	v_cndmask_b32_e64 v0, 3, v0, s[28:29]
	v_cmp_eq_u64_e64 s[40:41], 0, v[0:1]
	v_min_i32_e32 v1, 31, v2
	v_lshlrev_b32_e32 v1, 2, v1
	v_cmp_eq_u32_e64 s[28:29], 0, v2
	v_and_b32_e32 v1, 0xfc, v1
	v_and_or_b32 v0, v0, 3, v1
	s_and_b64 s[28:29], s[28:29], s[40:41]
	v_cndmask_b32_e64 v0, v0, 0, s[28:29]
	v_or_b32_e32 v35, v0, v36
.LBB4_2000:                             ;   in Loop: Header=BB4_1514 Depth=4
	s_or_b64 exec, exec, s[48:49]
                                        ; implicit-def: $vgpr36
.LBB4_2001:                             ;   in Loop: Header=BB4_1514 Depth=4
	s_andn2_saveexec_b64 s[28:29], s[38:39]
; %bb.2002:                             ;   in Loop: Header=BB4_1514 Depth=4
	v_or_b32_e32 v35, 0x7b, v36
; %bb.2003:                             ;   in Loop: Header=BB4_1514 Depth=4
	s_or_b64 exec, exec, s[28:29]
                                        ; implicit-def: $vgpr0
.LBB4_2004:                             ;   in Loop: Header=BB4_1514 Depth=4
	s_andn2_saveexec_b64 s[40:41], s[42:43]
	s_cbranch_execz .LBB4_2010
; %bb.2005:                             ;   in Loop: Header=BB4_1514 Depth=4
	v_cmp_ne_u64_e64 s[28:29], 0, v[60:61]
                                        ; implicit-def: $vgpr35
	s_and_saveexec_b64 s[42:43], s[28:29]
	s_xor_b64 s[28:29], exec, s[42:43]
; %bb.2006:                             ;   in Loop: Header=BB4_1514 Depth=4
	v_or_b32_sdwa v35, v0, s44 dst_sel:DWORD dst_unused:UNUSED_PAD src0_sel:BYTE_3 src1_sel:DWORD
                                        ; implicit-def: $vgpr0
; %bb.2007:                             ;   in Loop: Header=BB4_1514 Depth=4
	s_andn2_saveexec_b64 s[42:43], s[28:29]
; %bb.2008:                             ;   in Loop: Header=BB4_1514 Depth=4
	v_cmp_lt_i32_e64 s[28:29], -1, v0
	v_bfrev_b32_e32 v0, 0.5
	v_mov_b32_e32 v1, 0x7c
	v_cndmask_b32_e64 v35, v0, v1, s[28:29]
; %bb.2009:                             ;   in Loop: Header=BB4_1514 Depth=4
	s_or_b64 exec, exec, s[42:43]
.LBB4_2010:                             ;   in Loop: Header=BB4_1514 Depth=4
	s_or_b64 exec, exec, s[40:41]
	v_cmp_lt_u64_e64 s[28:29], s[56:57], v[14:15]
	v_mov_b32_e32 v1, 0
	s_and_saveexec_b64 s[40:41], s[28:29]
	s_cbranch_execz .LBB4_2018
; %bb.2011:                             ;   in Loop: Header=BB4_1514 Depth=4
	v_lshrrev_b32_e32 v0, 24, v15
	v_cmp_ne_u32_e64 s[28:29], s81, v0
	v_bfrev_b32_e32 v1, 1
	s_and_saveexec_b64 s[42:43], s[28:29]
	s_cbranch_execz .LBB4_2017
; %bb.2012:                             ;   in Loop: Header=BB4_1514 Depth=4
	v_and_b32_e32 v1, 0x7c000000, v15
	v_bfe_u32 v2, v15, 24, 2
	v_cmp_ne_u32_e64 s[28:29], s82, v1
                                        ; implicit-def: $vgpr1
	s_and_saveexec_b64 s[38:39], s[28:29]
	s_xor_b64 s[38:39], exec, s[38:39]
	s_cbranch_execz .LBB4_2014
; %bb.2013:                             ;   in Loop: Header=BB4_1514 Depth=4
	v_ffbh_u32_e32 v1, v2
	v_min_u32_e32 v36, 32, v1
	v_subrev_u32_e32 v1, 29, v36
	v_lshlrev_b64 v[0:1], v1, v[0:1]
	v_bfe_u32 v14, v15, 26, 5
	v_sub_u32_e32 v1, 30, v36
	v_and_b32_e32 v0, 3, v0
	v_cmp_eq_u32_e64 s[28:29], 0, v14
	v_cndmask_b32_e64 v1, v14, v1, s[28:29]
	v_cndmask_b32_e64 v0, v2, v0, s[28:29]
	v_and_b32_e32 v2, 0x80000000, v15
	v_lshl_add_u32 v1, v1, 23, v2
	v_lshl_or_b32 v0, v0, 21, v1
	v_add_u32_e32 v1, 0x38000000, v0
                                        ; implicit-def: $vgpr2
                                        ; implicit-def: $vgpr14_vgpr15
.LBB4_2014:                             ;   in Loop: Header=BB4_1514 Depth=4
	s_andn2_saveexec_b64 s[38:39], s[38:39]
; %bb.2015:                             ;   in Loop: Header=BB4_1514 Depth=4
	v_cmp_lt_i64_e64 s[28:29], -1, v[14:15]
	v_mov_b32_e32 v0, 0xff800000
	v_cndmask_b32_e64 v0, v0, v47, s[28:29]
	v_cmp_eq_u32_e64 s[28:29], 0, v2
	v_mov_b32_e32 v1, 0x7f800001
	v_cndmask_b32_e64 v1, v1, v0, s[28:29]
; %bb.2016:                             ;   in Loop: Header=BB4_1514 Depth=4
	s_or_b64 exec, exec, s[38:39]
.LBB4_2017:                             ;   in Loop: Header=BB4_1514 Depth=4
	s_or_b64 exec, exec, s[42:43]
.LBB4_2018:                             ;   in Loop: Header=BB4_1514 Depth=4
	s_or_b64 exec, exec, s[40:41]
	v_bfe_u32 v2, v11, 24, 2
	v_and_b32_e32 v14, 0x7c000000, v11
	v_cmp_eq_u32_e64 s[28:29], s82, v14
	v_ffbh_u32_e32 v14, v2
	v_min_u32_e32 v37, 32, v14
	v_lshrrev_b32_e32 v0, 24, v11
	v_subrev_u32_e32 v14, 29, v37
	v_bfe_u32 v36, v11, 26, 5
	v_lshlrev_b64 v[14:15], v14, v[0:1]
	v_cmp_eq_u32_e64 s[40:41], 0, v36
	v_sub_u32_e32 v15, 30, v37
	v_and_b32_e32 v14, 3, v14
	v_cndmask_b32_e64 v15, v36, v15, s[40:41]
	v_and_b32_e32 v36, 0x80000000, v11
	v_cmp_lt_i64_e64 s[42:43], -1, v[10:11]
	v_cndmask_b32_e64 v14, v2, v14, s[40:41]
	v_lshl_add_u32 v15, v15, 23, v36
	v_cmp_eq_u32_e64 s[40:41], 0, v2
	v_mov_b32_e32 v2, 0xff800000
	v_lshl_or_b32 v14, v14, 21, v15
	v_cndmask_b32_e64 v2, v2, v47, s[42:43]
	v_mov_b32_e32 v15, 0x7f800001
	v_add_u32_e32 v14, 0x38000000, v14
	v_cndmask_b32_e64 v2, v15, v2, s[40:41]
	v_cndmask_b32_e64 v2, v14, v2, s[28:29]
	v_cmp_ne_u32_e64 s[28:29], s81, v0
	v_bfrev_b32_e32 v0, 1
	v_cndmask_b32_e64 v0, v0, v2, s[28:29]
	v_cmp_lt_u64_e64 s[28:29], s[56:57], v[10:11]
	v_mov_b32_e32 v11, v61
	v_cndmask_b32_e64 v0, 0, v0, s[28:29]
	v_mul_f32_e32 v1, v0, v1
	v_and_b32_e32 v10, 0x7f800000, v1
	v_cmp_ne_u64_e64 s[28:29], s[62:63], v[10:11]
	v_and_b32_e32 v60, 0x7fffff, v1
                                        ; implicit-def: $vgpr0
	s_and_saveexec_b64 s[40:41], s[28:29]
	s_xor_b64 s[42:43], exec, s[40:41]
	s_cbranch_execz .LBB4_2032
; %bb.2019:                             ;   in Loop: Header=BB4_1514 Depth=4
	v_and_b32_e32 v10, 0x7fffffff, v1
	v_mov_b32_e32 v11, v61
	v_cmp_gt_u64_e64 s[28:29], s[78:79], v[10:11]
	v_and_b32_sdwa v10, v1, s81 dst_sel:DWORD dst_unused:UNUSED_PAD src0_sel:BYTE_3 src1_sel:DWORD
                                        ; implicit-def: $vgpr0
	s_and_saveexec_b64 s[40:41], s[28:29]
	s_xor_b64 s[38:39], exec, s[40:41]
	s_cbranch_execz .LBB4_2029
; %bb.2020:                             ;   in Loop: Header=BB4_1514 Depth=4
	v_mov_b32_e32 v0, 0
	v_cmp_ne_u32_e64 s[28:29], 0, v1
	s_and_saveexec_b64 s[48:49], s[28:29]
	s_cbranch_execz .LBB4_2028
; %bb.2021:                             ;   in Loop: Header=BB4_1514 Depth=4
	v_bfe_u32 v11, v1, 23, 8
	v_cmp_gt_u32_e64 s[40:41], s47, v11
	v_sub_u32_e32 v0, 0x71, v11
	v_cmp_eq_u32_e64 s[28:29], 0, v11
	v_cndmask_b32_e64 v0, 0, v0, s[40:41]
	v_mov_b32_e32 v2, 0x70
	v_cndmask_b32_e64 v14, v0, v2, s[28:29]
	v_or_b32_e32 v1, 0x800000, v60
	v_add_u32_e32 v0, 21, v14
	v_cndmask_b32_e64 v60, v1, v60, s[28:29]
	v_lshlrev_b64 v[0:1], v0, -1
	v_add_u32_e32 v2, 20, v14
	v_lshlrev_b64 v[36:37], v2, 1
	v_bfi_b32 v1, v1, 0, 0
	v_bfi_b32 v0, v0, 0, v60
	v_cmp_eq_u64_e64 s[40:41], v[0:1], v[36:37]
	v_lshrrev_b64 v[0:1], v14, v[60:61]
	v_mov_b32_e32 v2, v1
	v_mov_b32_e32 v1, v0
	s_and_saveexec_b64 s[50:51], s[40:41]
; %bb.2022:                             ;   in Loop: Header=BB4_1514 Depth=4
	v_bfe_u32 v1, v0, 21, 1
	v_add_co_u32_e64 v1, s[40:41], v0, v1
	v_add_co_u32_e64 v1, s[40:41], -1, v1
; %bb.2023:                             ;   in Loop: Header=BB4_1514 Depth=4
	s_or_b64 exec, exec, s[50:51]
	v_add_u32_e32 v2, 0xffffff81, v11
	v_mov_b32_e32 v11, 0xffffff82
	v_cndmask_b32_e64 v2, v2, v11, s[28:29]
	v_lshrrev_b32_e32 v11, 23, v0
	v_add3_u32 v14, v14, v2, v11
	v_add_u32_e32 v11, 14, v14
	v_and_b32_e32 v1, 0x1fffff, v1
	v_add_u32_e32 v60, v1, v0
	v_cmp_ne_u32_e64 s[28:29], 0, v11
                                        ; implicit-def: $vgpr0_vgpr1
                                        ; implicit-def: $vgpr2
	s_and_saveexec_b64 s[40:41], s[28:29]
	s_xor_b64 s[40:41], exec, s[40:41]
; %bb.2024:                             ;   in Loop: Header=BB4_1514 Depth=4
	v_cmp_lt_u64_e64 s[28:29], s[88:89], v[60:61]
	v_add_u32_e32 v0, 15, v14
	v_cndmask_b32_e64 v2, v11, v0, s[28:29]
	v_cndmask_b32_e64 v0, 0, 1, s[28:29]
	v_lshrrev_b64 v[0:1], v0, v[60:61]
; %bb.2025:                             ;   in Loop: Header=BB4_1514 Depth=4
	s_andn2_saveexec_b64 s[28:29], s[40:41]
; %bb.2026:                             ;   in Loop: Header=BB4_1514 Depth=4
	v_mov_b32_e32 v0, v60
	v_bfe_u32 v2, v60, 23, 1
	v_mov_b32_e32 v1, v61
; %bb.2027:                             ;   in Loop: Header=BB4_1514 Depth=4
	s_or_b64 exec, exec, s[28:29]
	v_lshrrev_b64 v[0:1], 21, v[0:1]
	v_cmp_gt_i32_e64 s[28:29], 32, v2
	v_cndmask_b32_e64 v1, 0, v1, s[28:29]
	v_cndmask_b32_e64 v0, 3, v0, s[28:29]
	v_cmp_eq_u64_e64 s[40:41], 0, v[0:1]
	v_min_i32_e32 v1, 31, v2
	v_lshlrev_b32_e32 v1, 2, v1
	v_cmp_eq_u32_e64 s[28:29], 0, v2
	v_and_b32_e32 v1, 0xfc, v1
	v_and_or_b32 v0, v0, 3, v1
	s_and_b64 s[28:29], s[28:29], s[40:41]
	v_cndmask_b32_e64 v0, v0, 0, s[28:29]
	v_or_b32_e32 v0, v0, v10
.LBB4_2028:                             ;   in Loop: Header=BB4_1514 Depth=4
	s_or_b64 exec, exec, s[48:49]
                                        ; implicit-def: $vgpr10
.LBB4_2029:                             ;   in Loop: Header=BB4_1514 Depth=4
	s_andn2_saveexec_b64 s[28:29], s[38:39]
; %bb.2030:                             ;   in Loop: Header=BB4_1514 Depth=4
	v_or_b32_e32 v0, 0x7b, v10
; %bb.2031:                             ;   in Loop: Header=BB4_1514 Depth=4
	s_or_b64 exec, exec, s[28:29]
                                        ; implicit-def: $vgpr1
.LBB4_2032:                             ;   in Loop: Header=BB4_1514 Depth=4
	s_andn2_saveexec_b64 s[40:41], s[42:43]
	s_cbranch_execz .LBB4_1513
; %bb.2033:                             ;   in Loop: Header=BB4_1514 Depth=4
	v_cmp_ne_u64_e64 s[28:29], 0, v[60:61]
                                        ; implicit-def: $vgpr0
	s_and_saveexec_b64 s[42:43], s[28:29]
	s_xor_b64 s[28:29], exec, s[42:43]
; %bb.2034:                             ;   in Loop: Header=BB4_1514 Depth=4
	v_or_b32_sdwa v0, v1, s44 dst_sel:DWORD dst_unused:UNUSED_PAD src0_sel:BYTE_3 src1_sel:DWORD
                                        ; implicit-def: $vgpr1
; %bb.2035:                             ;   in Loop: Header=BB4_1514 Depth=4
	s_andn2_saveexec_b64 s[42:43], s[28:29]
	s_cbranch_execz .LBB4_1512
; %bb.2036:                             ;   in Loop: Header=BB4_1514 Depth=4
	v_cmp_lt_i32_e64 s[28:29], -1, v1
	v_bfrev_b32_e32 v0, 0.5
	v_mov_b32_e32 v1, 0x7c
	v_cndmask_b32_e64 v0, v0, v1, s[28:29]
	s_branch .LBB4_1512
.LBB4_2037:                             ;   in Loop: Header=BB4_1514 Depth=4
	s_or_saveexec_b64 s[40:41], s[40:41]
	v_bfrev_b32_e32 v1, 1
	s_xor_b64 exec, exec, s[40:41]
	s_cbranch_execz .LBB4_1526
.LBB4_2038:                             ;   in Loop: Header=BB4_1514 Depth=4
	v_cmp_ne_u16_sdwa s[42:43], v8, v61 src0_sel:BYTE_0 src1_sel:DWORD
	s_andn2_b64 s[28:29], s[28:29], exec
	s_and_b64 s[42:43], s[42:43], exec
	v_mov_b32_e32 v1, 0
	s_or_b64 s[28:29], s[28:29], s[42:43]
	s_or_b64 exec, exec, s[40:41]
	s_and_saveexec_b64 s[38:39], s[28:29]
	s_cbranch_execnz .LBB4_1527
	s_branch .LBB4_1528
.LBB4_2039:                             ;   in Loop: Header=BB4_1514 Depth=4
	s_or_saveexec_b64 s[42:43], s[42:43]
	v_bfrev_b32_e32 v1, 1
	s_xor_b64 exec, exec, s[42:43]
	s_cbranch_execz .LBB4_1560
.LBB4_2040:                             ;   in Loop: Header=BB4_1514 Depth=4
	v_cmp_ne_u16_e64 s[28:29], 0, v60
	s_andn2_b64 s[40:41], s[40:41], exec
	s_and_b64 s[28:29], s[28:29], exec
	v_mov_b32_e32 v1, 0
	s_or_b64 s[40:41], s[40:41], s[28:29]
	s_or_b64 exec, exec, s[42:43]
	s_and_saveexec_b64 s[38:39], s[40:41]
	s_cbranch_execnz .LBB4_1561
	s_branch .LBB4_1562
.LBB4_2041:                             ;   in Loop: Header=BB4_1514 Depth=4
	s_or_saveexec_b64 s[40:41], s[40:41]
	v_bfrev_b32_e32 v2, 1
	s_xor_b64 exec, exec, s[40:41]
	s_cbranch_execz .LBB4_1594
.LBB4_2042:                             ;   in Loop: Header=BB4_1514 Depth=4
	v_cmp_ne_u16_sdwa s[42:43], v0, v61 src0_sel:BYTE_0 src1_sel:DWORD
	s_andn2_b64 s[28:29], s[28:29], exec
	s_and_b64 s[42:43], s[42:43], exec
	v_mov_b32_e32 v2, 0
	s_or_b64 s[28:29], s[28:29], s[42:43]
	s_or_b64 exec, exec, s[40:41]
	s_and_saveexec_b64 s[38:39], s[28:29]
	s_cbranch_execnz .LBB4_1595
	s_branch .LBB4_1596
.LBB4_2043:                             ;   in Loop: Header=BB4_1514 Depth=4
	s_or_saveexec_b64 s[42:43], s[42:43]
	v_bfrev_b32_e32 v1, 1
	s_xor_b64 exec, exec, s[42:43]
	s_cbranch_execz .LBB4_1692
.LBB4_2044:                             ;   in Loop: Header=BB4_1514 Depth=4
	v_cmp_ne_u16_e64 s[28:29], 0, v60
	s_andn2_b64 s[40:41], s[40:41], exec
	s_and_b64 s[28:29], s[28:29], exec
	v_mov_b32_e32 v1, 0
	s_or_b64 s[40:41], s[40:41], s[28:29]
	s_or_b64 exec, exec, s[42:43]
	s_and_saveexec_b64 s[38:39], s[40:41]
	s_cbranch_execnz .LBB4_1693
	s_branch .LBB4_1694
.LBB4_2045:                             ;   in Loop: Header=BB4_1514 Depth=4
	s_or_saveexec_b64 s[40:41], s[40:41]
	v_bfrev_b32_e32 v2, 1
	s_xor_b64 exec, exec, s[40:41]
	s_cbranch_execz .LBB4_1726
.LBB4_2046:                             ;   in Loop: Header=BB4_1514 Depth=4
	v_cmp_ne_u16_sdwa s[42:43], v0, v61 src0_sel:BYTE_0 src1_sel:DWORD
	s_andn2_b64 s[28:29], s[28:29], exec
	s_and_b64 s[42:43], s[42:43], exec
	v_mov_b32_e32 v2, 0
	s_or_b64 s[28:29], s[28:29], s[42:43]
	s_or_b64 exec, exec, s[40:41]
	s_and_saveexec_b64 s[38:39], s[28:29]
	s_cbranch_execnz .LBB4_1727
	s_branch .LBB4_1728
.LBB4_2047:                             ;   in Loop: Header=BB4_1514 Depth=4
	s_or_saveexec_b64 s[40:41], s[40:41]
	v_bfrev_b32_e32 v1, 1
	s_xor_b64 exec, exec, s[40:41]
	s_cbranch_execz .LBB4_1788
.LBB4_2048:                             ;   in Loop: Header=BB4_1514 Depth=4
	v_cmp_ne_u16_sdwa s[42:43], v10, v61 src0_sel:BYTE_0 src1_sel:DWORD
	s_andn2_b64 s[28:29], s[28:29], exec
	s_and_b64 s[42:43], s[42:43], exec
	v_mov_b32_e32 v1, 0
	s_or_b64 s[28:29], s[28:29], s[42:43]
	s_or_b64 exec, exec, s[40:41]
	s_and_saveexec_b64 s[38:39], s[28:29]
	s_cbranch_execnz .LBB4_1789
	s_branch .LBB4_1790
.LBB4_2049:                             ;   in Loop: Header=BB4_1514 Depth=4
	s_or_saveexec_b64 s[42:43], s[42:43]
	v_bfrev_b32_e32 v1, 1
	s_xor_b64 exec, exec, s[42:43]
	s_cbranch_execz .LBB4_1822
.LBB4_2050:                             ;   in Loop: Header=BB4_1514 Depth=4
	v_cmp_ne_u16_e64 s[28:29], 0, v60
	s_andn2_b64 s[40:41], s[40:41], exec
	s_and_b64 s[28:29], s[28:29], exec
	v_mov_b32_e32 v1, 0
	s_or_b64 s[40:41], s[40:41], s[28:29]
	s_or_b64 exec, exec, s[42:43]
	s_and_saveexec_b64 s[38:39], s[40:41]
	s_cbranch_execnz .LBB4_1823
	s_branch .LBB4_1824
.LBB4_2051:                             ;   in Loop: Header=BB4_1514 Depth=4
	s_or_saveexec_b64 s[40:41], s[40:41]
	v_bfrev_b32_e32 v2, 1
	s_xor_b64 exec, exec, s[40:41]
	s_cbranch_execz .LBB4_1856
.LBB4_2052:                             ;   in Loop: Header=BB4_1514 Depth=4
	v_cmp_ne_u16_sdwa s[42:43], v0, v61 src0_sel:BYTE_0 src1_sel:DWORD
	s_andn2_b64 s[28:29], s[28:29], exec
	s_and_b64 s[42:43], s[42:43], exec
	v_mov_b32_e32 v2, 0
	s_or_b64 s[28:29], s[28:29], s[42:43]
	s_or_b64 exec, exec, s[40:41]
	s_and_saveexec_b64 s[38:39], s[28:29]
	s_cbranch_execnz .LBB4_1857
	s_branch .LBB4_1858
.LBB4_2053:                             ;   in Loop: Header=BB4_1514 Depth=4
	s_or_saveexec_b64 s[42:43], s[42:43]
	v_bfrev_b32_e32 v1, 1
	s_xor_b64 exec, exec, s[42:43]
	s_cbranch_execz .LBB4_1954
.LBB4_2054:                             ;   in Loop: Header=BB4_1514 Depth=4
	v_cmp_ne_u16_e64 s[28:29], 0, v60
	s_andn2_b64 s[40:41], s[40:41], exec
	s_and_b64 s[28:29], s[28:29], exec
	v_mov_b32_e32 v1, 0
	s_or_b64 s[40:41], s[40:41], s[28:29]
	s_or_b64 exec, exec, s[42:43]
	s_and_saveexec_b64 s[38:39], s[40:41]
	s_cbranch_execnz .LBB4_1955
	s_branch .LBB4_1956
.LBB4_2055:                             ;   in Loop: Header=BB4_1514 Depth=4
	s_or_saveexec_b64 s[40:41], s[40:41]
	v_bfrev_b32_e32 v2, 1
	s_xor_b64 exec, exec, s[40:41]
	s_cbranch_execz .LBB4_1988
.LBB4_2056:                             ;   in Loop: Header=BB4_1514 Depth=4
	v_cmp_ne_u16_sdwa s[42:43], v0, v61 src0_sel:BYTE_0 src1_sel:DWORD
	s_andn2_b64 s[28:29], s[28:29], exec
	s_and_b64 s[42:43], s[42:43], exec
	v_mov_b32_e32 v2, 0
	s_or_b64 s[28:29], s[28:29], s[42:43]
	s_or_b64 exec, exec, s[40:41]
	s_and_saveexec_b64 s[38:39], s[28:29]
	s_cbranch_execnz .LBB4_1989
	s_branch .LBB4_1990
.LBB4_2057:                             ;   in Loop: Header=BB4_274 Depth=3
	s_or_b64 exec, exec, s[36:37]
	buffer_load_dword v21, off, s[0:3], s33 offset:64 ; 4-byte Folded Reload
.LBB4_2058:                             ;   in Loop: Header=BB4_274 Depth=3
	s_or_b64 exec, exec, s[34:35]
	buffer_load_dword v0, off, s[0:3], s33 offset:116 ; 4-byte Folded Reload
	v_mov_b32_e32 v8, 0
	s_mov_b64 s[42:43], 0
                                        ; implicit-def: $vgpr2
	s_waitcnt vmcnt(0)
	v_and_b32_e32 v1, 15, v0
	v_cndmask_b32_e32 v9, v22, v1, vcc
	v_cmp_ne_u32_e64 s[28:29], 0, v9
                                        ; implicit-def: $vgpr0
	s_and_saveexec_b64 s[40:41], s[28:29]
	s_cbranch_execz .LBB4_2060
; %bb.2059:                             ;   in Loop: Header=BB4_274 Depth=3
	v_sub_u32_e32 v0, v22, v1
	v_cndmask_b32_e32 v0, 0, v0, vcc
	v_cmp_lt_i32_e32 vcc, 0, v7
	v_add3_u32 v8, v6, v4, v0
	v_cndmask_b32_e32 v0, 0, v21, vcc
	v_sub_u32_e32 v0, v0, v7
	v_lshl_add_u32 v2, v0, 6, v5
	v_ashrrev_i32_e32 v0, 31, v2
	v_lshrrev_b32_e32 v0, 26, v0
	v_add_u32_e32 v0, v2, v0
	v_ashrrev_i32_e32 v0, 6, v0
	s_mov_b64 s[42:43], exec
.LBB4_2060:                             ;   in Loop: Header=BB4_274 Depth=3
	s_or_b64 exec, exec, s[40:41]
	s_and_b64 s[28:29], s[42:43], exec
.LBB4_2061:                             ;   in Loop: Header=BB4_274 Depth=3
	s_or_b64 exec, exec, s[30:31]
	buffer_load_dword v3, off, s[0:3], s33 offset:200 ; 4-byte Folded Reload
	buffer_load_dword v4, off, s[0:3], s33 offset:204 ; 4-byte Folded Reload
	s_and_saveexec_b64 s[40:41], s[28:29]
	s_cbranch_execz .LBB4_2750
.LBB4_2062:                             ;   in Loop: Header=BB4_274 Depth=3
	v_ashrrev_i32_e32 v1, 31, v9
	v_lshrrev_b32_e32 v1, 22, v1
	v_add_u32_e32 v1, v9, v1
	v_ashrrev_i32_e32 v5, 10, v1
	s_waitcnt vmcnt(0)
	v_sub_u32_e32 v45, v5, v0
	v_ashrrev_i32_e32 v1, 31, v2
	v_cmp_lt_i32_e32 vcc, 0, v45
	v_lshrrev_b32_e32 v1, 26, v1
	s_and_saveexec_b64 s[42:43], vcc
	s_cbranch_execz .LBB4_2706
; %bb.2063:                             ;   in Loop: Header=BB4_274 Depth=3
	buffer_store_dword v5, off, s[0:3], s33 offset:224 ; 4-byte Folded Spill
	buffer_store_dword v9, off, s[0:3], s33 offset:208 ; 4-byte Folded Spill
	;; [unrolled: 1-line block ×3, first 2 shown]
	v_add_u32_e32 v1, v2, v1
	v_and_b32_e32 v1, 0xffffffc0, v1
	v_sub_u32_e32 v1, v2, v1
	v_lshlrev_b32_e32 v0, 10, v0
	buffer_store_dword v2, off, s[0:3], s33 offset:212 ; 4-byte Folded Spill
	buffer_store_dword v8, off, s[0:3], s33 offset:200 ; 4-byte Folded Spill
	v_add3_u32 v2, v8, v1, v0
	s_trap 2
	ds_read_b64 v[0:1], v0
	buffer_load_dword v6, off, s[0:3], s33 offset:152 ; 4-byte Folded Reload
	buffer_load_dword v7, off, s[0:3], s33 offset:156 ; 4-byte Folded Reload
	v_mov_b32_e32 v5, v4
	v_mov_b32_e32 v4, v3
	v_ashrrev_i32_e32 v3, 31, v2
	s_mov_b64 s[30:31], 0
	s_waitcnt vmcnt(1)
	v_add_co_u32_e32 v8, vcc, v2, v6
	s_waitcnt vmcnt(0)
	v_addc_co_u32_e32 v9, vcc, v3, v7, vcc
	s_waitcnt lgkmcnt(0)
	v_add_co_u32_e32 v10, vcc, v0, v2
	v_addc_co_u32_e32 v11, vcc, v1, v3, vcc
	v_add_co_u32_e32 v0, vcc, 0x3c0, v4
	v_addc_co_u32_e32 v1, vcc, 0, v5, vcc
	v_add_co_u32_e32 v12, vcc, v0, v2
	v_addc_co_u32_e32 v13, vcc, v1, v3, vcc
	s_branch .LBB4_2066
.LBB4_2064:                             ;   in Loop: Header=BB4_2066 Depth=4
	s_or_b64 exec, exec, s[34:35]
.LBB4_2065:                             ;   in Loop: Header=BB4_2066 Depth=4
	s_or_b64 exec, exec, s[28:29]
	v_add_co_u32_e32 v14, vcc, 0xfffffc40, v12
	v_addc_co_u32_e32 v15, vcc, -1, v13, vcc
	flat_store_byte v[14:15], v39 glc slc
	v_add_co_u32_e32 v14, vcc, 0xfffffc80, v12
	v_addc_co_u32_e32 v15, vcc, -1, v13, vcc
	flat_store_byte v[14:15], v7 glc slc
	v_add_co_u32_e32 v14, vcc, 0xfffffcc0, v12
	v_addc_co_u32_e32 v15, vcc, -1, v13, vcc
	v_add_co_u32_e32 v2, vcc, 0xfffffd00, v12
	flat_store_byte v[14:15], v3 glc slc
	v_addc_co_u32_e32 v3, vcc, -1, v13, vcc
	flat_store_byte v[2:3], v6 glc slc
	v_add_co_u32_e32 v2, vcc, 0xfffffd40, v12
	v_addc_co_u32_e32 v3, vcc, -1, v13, vcc
	flat_store_byte v[2:3], v34 glc slc
	v_add_co_u32_e32 v2, vcc, 0xfffffd80, v12
	;; [unrolled: 3-line block ×11, first 2 shown]
	v_addc_co_u32_e32 v3, vcc, -1, v13, vcc
	flat_store_byte v[2:3], v17 glc slc
	flat_store_byte v[12:13], v1 glc slc
	buffer_load_dword v0, off, s[0:3], s33 offset:68 ; 4-byte Folded Reload
	buffer_load_dword v21, off, s[0:3], s33 offset:64 ; 4-byte Folded Reload
	s_waitcnt vmcnt(0)
	v_add_co_u32_e32 v8, vcc, v8, v0
	v_addc_co_u32_e32 v9, vcc, 0, v9, vcc
	v_add_co_u32_e32 v10, vcc, v10, v0
	v_addc_co_u32_e32 v11, vcc, 0, v11, vcc
	v_sub_u32_e32 v45, v45, v21
	v_cmp_gt_i32_e32 vcc, 1, v45
	s_or_b64 s[30:31], vcc, s[30:31]
	v_add_co_u32_e32 v12, vcc, v12, v0
	v_addc_co_u32_e32 v13, vcc, 0, v13, vcc
	s_andn2_b64 exec, exec, s[30:31]
	s_cbranch_execz .LBB4_2705
.LBB4_2066:                             ;   Parent Loop BB4_47 Depth=1
                                        ;     Parent Loop BB4_271 Depth=2
                                        ;       Parent Loop BB4_274 Depth=3
                                        ; =>      This Inner Loop Header: Depth=4
	flat_load_sbyte v60, v[8:9] glc slc
	flat_load_sbyte v36, v[8:9] offset:64 glc slc
	flat_load_sbyte v2, v[8:9] offset:128 glc slc
	;; [unrolled: 1-line block ×15, first 2 shown]
	flat_load_sbyte v6, v[10:11] glc slc
	flat_load_sbyte v54, v[10:11] offset:64 glc slc
	flat_load_sbyte v0, v[10:11] offset:128 glc slc
	;; [unrolled: 1-line block ×15, first 2 shown]
	v_mov_b32_e32 v1, 0
	v_mov_b32_e32 v3, 0
	s_waitcnt vmcnt(0) lgkmcnt(0)
	v_cmp_ne_u16_e32 vcc, 0, v60
	s_and_saveexec_b64 s[28:29], vcc
	s_cbranch_execz .LBB4_2074
; %bb.2067:                             ;   in Loop: Header=BB4_2066 Depth=4
	v_cmp_ne_u16_e32 vcc, s70, v60
	v_bfrev_b32_e32 v3, 1
	s_and_saveexec_b64 s[34:35], vcc
	s_cbranch_execz .LBB4_2073
; %bb.2068:                             ;   in Loop: Header=BB4_2066 Depth=4
	v_and_b32_e32 v3, 0x7c, v60
	v_and_b32_e32 v7, 3, v60
	v_cmp_ne_u32_e32 vcc, s71, v3
                                        ; implicit-def: $vgpr3
	s_and_saveexec_b64 s[36:37], vcc
	s_xor_b64 s[36:37], exec, s[36:37]
	s_cbranch_execz .LBB4_2070
; %bb.2069:                             ;   in Loop: Header=BB4_2066 Depth=4
	v_ffbh_u32_e32 v25, v7
	v_min_u32_e32 v25, 32, v25
	v_and_b32_e32 v3, 0xff, v60
	v_subrev_u32_e32 v31, 29, v25
	v_bfe_u32 v3, v3, 2, 5
	v_lshlrev_b64 v[34:35], v31, v[60:61]
	v_sub_u32_e32 v25, 30, v25
	v_cmp_eq_u32_e32 vcc, 0, v3
	v_and_b32_e32 v31, 3, v34
	v_cndmask_b32_e32 v3, v3, v25, vcc
	v_and_b32_sdwa v25, sext(v60), s80 dst_sel:DWORD dst_unused:UNUSED_PAD src0_sel:WORD_0 src1_sel:DWORD
	v_cndmask_b32_e32 v7, v7, v31, vcc
	v_lshl_add_u32 v3, v3, 23, v25
	v_lshl_or_b32 v3, v7, 21, v3
	v_add_u32_e32 v3, 0x38000000, v3
                                        ; implicit-def: $vgpr7
.LBB4_2070:                             ;   in Loop: Header=BB4_2066 Depth=4
	s_andn2_saveexec_b64 s[36:37], s[36:37]
; %bb.2071:                             ;   in Loop: Header=BB4_2066 Depth=4
	v_cmp_lt_i16_e32 vcc, -1, v60
	v_mov_b32_e32 v3, 0xff800000
	v_cndmask_b32_e32 v3, v3, v47, vcc
	v_cmp_eq_u32_e32 vcc, 0, v7
	v_mov_b32_e32 v7, 0x7f800001
	v_cndmask_b32_e32 v3, v7, v3, vcc
; %bb.2072:                             ;   in Loop: Header=BB4_2066 Depth=4
	s_or_b64 exec, exec, s[36:37]
.LBB4_2073:                             ;   in Loop: Header=BB4_2066 Depth=4
	s_or_b64 exec, exec, s[34:35]
.LBB4_2074:                             ;   in Loop: Header=BB4_2066 Depth=4
	s_or_b64 exec, exec, s[28:29]
	v_cmp_ne_u16_e32 vcc, 0, v6
	s_and_saveexec_b64 s[28:29], vcc
	s_cbranch_execz .LBB4_2082
; %bb.2075:                             ;   in Loop: Header=BB4_2066 Depth=4
	v_cmp_ne_u16_e32 vcc, s70, v6
	v_bfrev_b32_e32 v1, 1
	s_and_saveexec_b64 s[34:35], vcc
	s_cbranch_execz .LBB4_2081
; %bb.2076:                             ;   in Loop: Header=BB4_2066 Depth=4
	v_and_b32_e32 v1, 0x7c, v6
	v_and_b32_e32 v25, 3, v6
	v_cmp_ne_u32_e32 vcc, s71, v1
                                        ; implicit-def: $vgpr1
	s_and_saveexec_b64 s[36:37], vcc
	s_xor_b64 s[36:37], exec, s[36:37]
	s_cbranch_execz .LBB4_2078
; %bb.2077:                             ;   in Loop: Header=BB4_2066 Depth=4
	v_ffbh_u32_e32 v31, v25
	v_min_u32_e32 v31, 32, v31
	v_and_b32_e32 v1, 0xff, v6
	v_mov_b32_e32 v7, v61
	v_subrev_u32_e32 v34, 29, v31
	v_bfe_u32 v1, v1, 2, 5
	v_lshlrev_b64 v[34:35], v34, v[6:7]
	v_sub_u32_e32 v7, 30, v31
	v_cmp_eq_u32_e32 vcc, 0, v1
	v_and_b32_e32 v31, 3, v34
	v_cndmask_b32_e32 v1, v1, v7, vcc
	v_and_b32_sdwa v6, sext(v6), s80 dst_sel:DWORD dst_unused:UNUSED_PAD src0_sel:WORD_0 src1_sel:DWORD
	v_cndmask_b32_e32 v7, v25, v31, vcc
	v_lshl_add_u32 v1, v1, 23, v6
	v_lshl_or_b32 v1, v7, 21, v1
	v_add_u32_e32 v1, 0x38000000, v1
                                        ; implicit-def: $vgpr25
                                        ; implicit-def: $vgpr6
.LBB4_2078:                             ;   in Loop: Header=BB4_2066 Depth=4
	s_andn2_saveexec_b64 s[36:37], s[36:37]
; %bb.2079:                             ;   in Loop: Header=BB4_2066 Depth=4
	v_cmp_lt_i16_e32 vcc, -1, v6
	v_mov_b32_e32 v1, 0xff800000
	v_cndmask_b32_e32 v1, v1, v47, vcc
	v_cmp_eq_u32_e32 vcc, 0, v25
	v_mov_b32_e32 v6, 0x7f800001
	v_cndmask_b32_e32 v1, v6, v1, vcc
; %bb.2080:                             ;   in Loop: Header=BB4_2066 Depth=4
	s_or_b64 exec, exec, s[36:37]
.LBB4_2081:                             ;   in Loop: Header=BB4_2066 Depth=4
	s_or_b64 exec, exec, s[34:35]
.LBB4_2082:                             ;   in Loop: Header=BB4_2066 Depth=4
	s_or_b64 exec, exec, s[28:29]
	v_mul_f32_e32 v3, v3, v1
	v_and_b32_e32 v6, 0x7f800000, v3
	v_mov_b32_e32 v7, v61
	v_cmp_ne_u64_e32 vcc, s[62:63], v[6:7]
	v_and_b32_e32 v60, 0x7fffff, v3
                                        ; implicit-def: $vgpr39
	s_and_saveexec_b64 s[28:29], vcc
	s_xor_b64 s[34:35], exec, s[28:29]
	s_cbranch_execz .LBB4_2100
; %bb.2083:                             ;   in Loop: Header=BB4_2066 Depth=4
	v_and_b32_e32 v6, 0x7fffffff, v3
	v_mov_b32_e32 v7, v61
	v_cmp_gt_u64_e32 vcc, s[78:79], v[6:7]
	v_and_b32_sdwa v1, v3, s81 dst_sel:DWORD dst_unused:UNUSED_PAD src0_sel:BYTE_3 src1_sel:DWORD
                                        ; implicit-def: $vgpr39
	s_and_saveexec_b64 s[28:29], vcc
	s_xor_b64 s[36:37], exec, s[28:29]
	s_cbranch_execz .LBB4_2097
; %bb.2084:                             ;   in Loop: Header=BB4_2066 Depth=4
	v_cmp_ne_u32_e32 vcc, 0, v3
	v_mov_b32_e32 v39, 0
	s_and_saveexec_b64 s[38:39], vcc
	s_cbranch_execz .LBB4_2096
; %bb.2085:                             ;   in Loop: Header=BB4_2066 Depth=4
	v_bfe_u32 v3, v3, 23, 8
	v_cmp_gt_u32_e64 s[28:29], s47, v3
	v_sub_u32_e32 v6, 0x71, v3
	v_cmp_eq_u32_e32 vcc, 0, v3
	v_cndmask_b32_e64 v6, 0, v6, s[28:29]
	v_mov_b32_e32 v25, 0x70
	v_cndmask_b32_e32 v25, v6, v25, vcc
	v_or_b32_e32 v7, 0x800000, v60
	v_add_u32_e32 v6, 21, v25
	v_cndmask_b32_e32 v60, v7, v60, vcc
	v_lshlrev_b64 v[6:7], v6, -1
	v_add_u32_e32 v31, 20, v25
	v_lshlrev_b64 v[34:35], v31, 1
	v_bfi_b32 v7, v7, 0, 0
	v_bfi_b32 v6, v6, 0, v60
	v_cmp_eq_u64_e64 s[28:29], v[6:7], v[34:35]
	v_lshrrev_b64 v[6:7], v25, v[60:61]
	v_mov_b32_e32 v35, v7
	v_mov_b32_e32 v34, v6
	s_and_saveexec_b64 s[48:49], s[28:29]
; %bb.2086:                             ;   in Loop: Header=BB4_2066 Depth=4
	v_bfe_u32 v7, v6, 21, 1
	v_add_co_u32_e64 v7, s[28:29], v6, v7
	v_add_co_u32_e64 v34, s[28:29], -1, v7
; %bb.2087:                             ;   in Loop: Header=BB4_2066 Depth=4
	s_or_b64 exec, exec, s[48:49]
	v_add_u32_e32 v3, 0xffffff81, v3
	v_mov_b32_e32 v7, 0xffffff82
	v_cndmask_b32_e32 v3, v3, v7, vcc
	v_lshrrev_b32_e32 v7, 23, v6
	v_add3_u32 v31, v25, v3, v7
	v_add_u32_e32 v25, 14, v31
	v_and_b32_e32 v3, 0x1fffff, v34
	v_add_u32_e32 v60, v3, v6
	v_cmp_ne_u32_e32 vcc, 0, v25
                                        ; implicit-def: $vgpr6_vgpr7
                                        ; implicit-def: $vgpr3
	s_and_saveexec_b64 s[28:29], vcc
	s_xor_b64 s[28:29], exec, s[28:29]
; %bb.2088:                             ;   in Loop: Header=BB4_2066 Depth=4
	v_cmp_lt_u64_e32 vcc, s[88:89], v[60:61]
	v_add_u32_e32 v3, 15, v31
	v_cndmask_b32_e64 v6, 0, 1, vcc
	v_cndmask_b32_e32 v3, v25, v3, vcc
	v_lshrrev_b64 v[6:7], v6, v[60:61]
; %bb.2089:                             ;   in Loop: Header=BB4_2066 Depth=4
	s_andn2_saveexec_b64 s[28:29], s[28:29]
; %bb.2090:                             ;   in Loop: Header=BB4_2066 Depth=4
	v_mov_b32_e32 v6, v60
	v_bfe_u32 v3, v60, 23, 1
	v_mov_b32_e32 v7, v61
; %bb.2091:                             ;   in Loop: Header=BB4_2066 Depth=4
	s_or_b64 exec, exec, s[28:29]
	v_lshrrev_b64 v[6:7], 21, v[6:7]
	v_cmp_gt_i32_e32 vcc, 32, v3
	v_cndmask_b32_e32 v7, 0, v7, vcc
	v_cndmask_b32_e32 v6, 3, v6, vcc
	v_cmp_ne_u64_e32 vcc, 0, v[6:7]
	v_cmp_ne_u32_e64 s[28:29], 0, v3
	s_or_b64 s[28:29], s[28:29], vcc
                                        ; implicit-def: $vgpr39
	s_and_saveexec_b64 vcc, s[28:29]
	s_xor_b64 s[28:29], exec, vcc
; %bb.2092:                             ;   in Loop: Header=BB4_2066 Depth=4
	v_min_i32_e32 v3, 31, v3
	v_lshl_or_b32 v1, v3, 2, v1
	v_and_or_b32 v39, v6, 3, v1
                                        ; implicit-def: $vgpr1
; %bb.2093:                             ;   in Loop: Header=BB4_2066 Depth=4
	s_andn2_saveexec_b64 s[28:29], s[28:29]
; %bb.2094:                             ;   in Loop: Header=BB4_2066 Depth=4
	v_mov_b32_e32 v39, v1
; %bb.2095:                             ;   in Loop: Header=BB4_2066 Depth=4
	s_or_b64 exec, exec, s[28:29]
.LBB4_2096:                             ;   in Loop: Header=BB4_2066 Depth=4
	s_or_b64 exec, exec, s[38:39]
                                        ; implicit-def: $vgpr1
.LBB4_2097:                             ;   in Loop: Header=BB4_2066 Depth=4
	s_andn2_saveexec_b64 s[28:29], s[36:37]
; %bb.2098:                             ;   in Loop: Header=BB4_2066 Depth=4
	v_or_b32_e32 v39, 0x7b, v1
; %bb.2099:                             ;   in Loop: Header=BB4_2066 Depth=4
	s_or_b64 exec, exec, s[28:29]
                                        ; implicit-def: $vgpr3
.LBB4_2100:                             ;   in Loop: Header=BB4_2066 Depth=4
	s_andn2_saveexec_b64 s[28:29], s[34:35]
	s_cbranch_execz .LBB4_2106
; %bb.2101:                             ;   in Loop: Header=BB4_2066 Depth=4
	v_cmp_ne_u64_e32 vcc, 0, v[60:61]
                                        ; implicit-def: $vgpr39
	s_and_saveexec_b64 s[34:35], vcc
	s_xor_b64 vcc, exec, s[34:35]
; %bb.2102:                             ;   in Loop: Header=BB4_2066 Depth=4
	v_or_b32_sdwa v39, v3, s44 dst_sel:DWORD dst_unused:UNUSED_PAD src0_sel:BYTE_3 src1_sel:DWORD
                                        ; implicit-def: $vgpr3
; %bb.2103:                             ;   in Loop: Header=BB4_2066 Depth=4
	s_andn2_saveexec_b64 s[34:35], vcc
; %bb.2104:                             ;   in Loop: Header=BB4_2066 Depth=4
	v_cmp_lt_i32_e32 vcc, -1, v3
	v_mov_b32_e32 v1, 0x7c
	v_cndmask_b32_e32 v39, -4, v1, vcc
; %bb.2105:                             ;   in Loop: Header=BB4_2066 Depth=4
	s_or_b64 exec, exec, s[34:35]
.LBB4_2106:                             ;   in Loop: Header=BB4_2066 Depth=4
	s_or_b64 exec, exec, s[28:29]
	v_cmp_ne_u16_e32 vcc, 0, v36
	v_mov_b32_e32 v1, 0
	v_mov_b32_e32 v3, 0
	s_and_saveexec_b64 s[28:29], vcc
	s_cbranch_execz .LBB4_2114
; %bb.2107:                             ;   in Loop: Header=BB4_2066 Depth=4
	v_cmp_ne_u16_e32 vcc, s70, v36
	v_bfrev_b32_e32 v3, 1
	s_and_saveexec_b64 s[34:35], vcc
	s_cbranch_execz .LBB4_2113
; %bb.2108:                             ;   in Loop: Header=BB4_2066 Depth=4
	v_and_b32_e32 v3, 0x7c, v36
	v_and_b32_e32 v6, 3, v36
	v_cmp_ne_u32_e32 vcc, s71, v3
                                        ; implicit-def: $vgpr3
	s_and_saveexec_b64 s[36:37], vcc
	s_xor_b64 s[36:37], exec, s[36:37]
	s_cbranch_execz .LBB4_2110
; %bb.2109:                             ;   in Loop: Header=BB4_2066 Depth=4
	v_ffbh_u32_e32 v7, v6
	v_min_u32_e32 v7, 32, v7
	v_and_b32_e32 v3, 0xff, v36
	v_mov_b32_e32 v37, v61
	v_subrev_u32_e32 v25, 29, v7
	v_bfe_u32 v3, v3, 2, 5
	v_lshlrev_b64 v[34:35], v25, v[36:37]
	v_sub_u32_e32 v7, 30, v7
	v_cmp_eq_u32_e32 vcc, 0, v3
	v_and_b32_e32 v25, 3, v34
	v_cndmask_b32_e32 v3, v3, v7, vcc
	v_and_b32_sdwa v7, sext(v36), s80 dst_sel:DWORD dst_unused:UNUSED_PAD src0_sel:WORD_0 src1_sel:DWORD
	v_cndmask_b32_e32 v6, v6, v25, vcc
	v_lshl_add_u32 v3, v3, 23, v7
	v_lshl_or_b32 v3, v6, 21, v3
	v_add_u32_e32 v3, 0x38000000, v3
                                        ; implicit-def: $vgpr6
                                        ; implicit-def: $vgpr36
.LBB4_2110:                             ;   in Loop: Header=BB4_2066 Depth=4
	s_andn2_saveexec_b64 s[36:37], s[36:37]
; %bb.2111:                             ;   in Loop: Header=BB4_2066 Depth=4
	v_cmp_lt_i16_e32 vcc, -1, v36
	v_mov_b32_e32 v3, 0xff800000
	v_cndmask_b32_e32 v3, v3, v47, vcc
	v_cmp_eq_u32_e32 vcc, 0, v6
	v_mov_b32_e32 v6, 0x7f800001
	v_cndmask_b32_e32 v3, v6, v3, vcc
; %bb.2112:                             ;   in Loop: Header=BB4_2066 Depth=4
	s_or_b64 exec, exec, s[36:37]
.LBB4_2113:                             ;   in Loop: Header=BB4_2066 Depth=4
	s_or_b64 exec, exec, s[34:35]
.LBB4_2114:                             ;   in Loop: Header=BB4_2066 Depth=4
	s_or_b64 exec, exec, s[28:29]
	v_cmp_ne_u16_e32 vcc, 0, v54
	s_and_saveexec_b64 s[28:29], vcc
	s_cbranch_execz .LBB4_2122
; %bb.2115:                             ;   in Loop: Header=BB4_2066 Depth=4
	v_cmp_ne_u16_e32 vcc, s70, v54
	v_bfrev_b32_e32 v1, 1
	s_and_saveexec_b64 s[34:35], vcc
	s_cbranch_execz .LBB4_2121
; %bb.2116:                             ;   in Loop: Header=BB4_2066 Depth=4
	v_and_b32_e32 v1, 0x7c, v54
	v_and_b32_e32 v6, 3, v54
	v_cmp_ne_u32_e32 vcc, s71, v1
                                        ; implicit-def: $vgpr1
	s_and_saveexec_b64 s[36:37], vcc
	s_xor_b64 s[36:37], exec, s[36:37]
	s_cbranch_execz .LBB4_2118
; %bb.2117:                             ;   in Loop: Header=BB4_2066 Depth=4
	v_ffbh_u32_e32 v7, v6
	v_min_u32_e32 v7, 32, v7
	v_and_b32_e32 v1, 0xff, v54
	v_mov_b32_e32 v55, v61
	v_subrev_u32_e32 v25, 29, v7
	v_bfe_u32 v1, v1, 2, 5
	v_lshlrev_b64 v[34:35], v25, v[54:55]
	v_sub_u32_e32 v7, 30, v7
	v_cmp_eq_u32_e32 vcc, 0, v1
	v_and_b32_e32 v25, 3, v34
	v_cndmask_b32_e32 v1, v1, v7, vcc
	v_and_b32_sdwa v7, sext(v54), s80 dst_sel:DWORD dst_unused:UNUSED_PAD src0_sel:WORD_0 src1_sel:DWORD
	v_cndmask_b32_e32 v6, v6, v25, vcc
	v_lshl_add_u32 v1, v1, 23, v7
	v_lshl_or_b32 v1, v6, 21, v1
	v_add_u32_e32 v1, 0x38000000, v1
                                        ; implicit-def: $vgpr6
                                        ; implicit-def: $vgpr54
.LBB4_2118:                             ;   in Loop: Header=BB4_2066 Depth=4
	s_andn2_saveexec_b64 s[36:37], s[36:37]
; %bb.2119:                             ;   in Loop: Header=BB4_2066 Depth=4
	v_cmp_lt_i16_e32 vcc, -1, v54
	v_mov_b32_e32 v1, 0xff800000
	v_cndmask_b32_e32 v1, v1, v47, vcc
	v_cmp_eq_u32_e32 vcc, 0, v6
	v_mov_b32_e32 v6, 0x7f800001
	v_cndmask_b32_e32 v1, v6, v1, vcc
; %bb.2120:                             ;   in Loop: Header=BB4_2066 Depth=4
	s_or_b64 exec, exec, s[36:37]
.LBB4_2121:                             ;   in Loop: Header=BB4_2066 Depth=4
	s_or_b64 exec, exec, s[34:35]
.LBB4_2122:                             ;   in Loop: Header=BB4_2066 Depth=4
	s_or_b64 exec, exec, s[28:29]
	v_mul_f32_e32 v3, v3, v1
	v_and_b32_e32 v6, 0x7f800000, v3
	v_mov_b32_e32 v7, v61
	v_cmp_ne_u64_e32 vcc, s[62:63], v[6:7]
	v_and_b32_e32 v60, 0x7fffff, v3
                                        ; implicit-def: $vgpr7
	s_and_saveexec_b64 s[28:29], vcc
	s_xor_b64 s[34:35], exec, s[28:29]
	s_cbranch_execz .LBB4_2140
; %bb.2123:                             ;   in Loop: Header=BB4_2066 Depth=4
	v_and_b32_e32 v6, 0x7fffffff, v3
	v_mov_b32_e32 v7, v61
	v_cmp_gt_u64_e32 vcc, s[78:79], v[6:7]
	v_and_b32_sdwa v1, v3, s81 dst_sel:DWORD dst_unused:UNUSED_PAD src0_sel:BYTE_3 src1_sel:DWORD
                                        ; implicit-def: $vgpr7
	s_and_saveexec_b64 s[28:29], vcc
	s_xor_b64 s[36:37], exec, s[28:29]
	s_cbranch_execz .LBB4_2137
; %bb.2124:                             ;   in Loop: Header=BB4_2066 Depth=4
	v_cmp_ne_u32_e32 vcc, 0, v3
	v_mov_b32_e32 v7, 0
	s_and_saveexec_b64 s[38:39], vcc
	s_cbranch_execz .LBB4_2136
; %bb.2125:                             ;   in Loop: Header=BB4_2066 Depth=4
	v_bfe_u32 v3, v3, 23, 8
	v_cmp_gt_u32_e64 s[28:29], s47, v3
	v_sub_u32_e32 v6, 0x71, v3
	v_cmp_eq_u32_e32 vcc, 0, v3
	v_cndmask_b32_e64 v6, 0, v6, s[28:29]
	v_mov_b32_e32 v25, 0x70
	v_cndmask_b32_e32 v25, v6, v25, vcc
	v_or_b32_e32 v7, 0x800000, v60
	v_add_u32_e32 v6, 21, v25
	v_cndmask_b32_e32 v60, v7, v60, vcc
	v_lshlrev_b64 v[6:7], v6, -1
	v_add_u32_e32 v31, 20, v25
	v_lshlrev_b64 v[34:35], v31, 1
	v_bfi_b32 v7, v7, 0, 0
	v_bfi_b32 v6, v6, 0, v60
	v_cmp_eq_u64_e64 s[28:29], v[6:7], v[34:35]
	v_lshrrev_b64 v[6:7], v25, v[60:61]
	v_mov_b32_e32 v35, v7
	v_mov_b32_e32 v34, v6
	s_and_saveexec_b64 s[48:49], s[28:29]
; %bb.2126:                             ;   in Loop: Header=BB4_2066 Depth=4
	v_bfe_u32 v7, v6, 21, 1
	v_add_co_u32_e64 v7, s[28:29], v6, v7
	v_add_co_u32_e64 v34, s[28:29], -1, v7
; %bb.2127:                             ;   in Loop: Header=BB4_2066 Depth=4
	s_or_b64 exec, exec, s[48:49]
	v_add_u32_e32 v3, 0xffffff81, v3
	v_mov_b32_e32 v7, 0xffffff82
	v_cndmask_b32_e32 v3, v3, v7, vcc
	v_lshrrev_b32_e32 v7, 23, v6
	v_add3_u32 v31, v25, v3, v7
	v_add_u32_e32 v25, 14, v31
	v_and_b32_e32 v3, 0x1fffff, v34
	v_add_u32_e32 v60, v3, v6
	v_cmp_ne_u32_e32 vcc, 0, v25
                                        ; implicit-def: $vgpr6_vgpr7
                                        ; implicit-def: $vgpr3
	s_and_saveexec_b64 s[28:29], vcc
	s_xor_b64 s[28:29], exec, s[28:29]
; %bb.2128:                             ;   in Loop: Header=BB4_2066 Depth=4
	v_cmp_lt_u64_e32 vcc, s[88:89], v[60:61]
	v_add_u32_e32 v3, 15, v31
	v_cndmask_b32_e64 v6, 0, 1, vcc
	v_lshrrev_b64 v[6:7], v6, v[60:61]
	v_cndmask_b32_e32 v3, v25, v3, vcc
; %bb.2129:                             ;   in Loop: Header=BB4_2066 Depth=4
	s_andn2_saveexec_b64 s[28:29], s[28:29]
; %bb.2130:                             ;   in Loop: Header=BB4_2066 Depth=4
	v_mov_b32_e32 v6, v60
	v_bfe_u32 v3, v60, 23, 1
	v_mov_b32_e32 v7, v61
; %bb.2131:                             ;   in Loop: Header=BB4_2066 Depth=4
	s_or_b64 exec, exec, s[28:29]
	v_lshrrev_b64 v[6:7], 21, v[6:7]
	v_cmp_gt_i32_e32 vcc, 32, v3
	v_cndmask_b32_e32 v7, 0, v7, vcc
	v_cndmask_b32_e32 v6, 3, v6, vcc
	v_cmp_ne_u64_e32 vcc, 0, v[6:7]
	v_cmp_ne_u32_e64 s[28:29], 0, v3
	s_or_b64 s[28:29], s[28:29], vcc
                                        ; implicit-def: $vgpr7
	s_and_saveexec_b64 vcc, s[28:29]
	s_xor_b64 s[28:29], exec, vcc
; %bb.2132:                             ;   in Loop: Header=BB4_2066 Depth=4
	v_min_i32_e32 v3, 31, v3
	v_lshl_or_b32 v1, v3, 2, v1
	v_and_or_b32 v7, v6, 3, v1
                                        ; implicit-def: $vgpr1
; %bb.2133:                             ;   in Loop: Header=BB4_2066 Depth=4
	s_andn2_saveexec_b64 s[28:29], s[28:29]
; %bb.2134:                             ;   in Loop: Header=BB4_2066 Depth=4
	v_mov_b32_e32 v7, v1
; %bb.2135:                             ;   in Loop: Header=BB4_2066 Depth=4
	s_or_b64 exec, exec, s[28:29]
.LBB4_2136:                             ;   in Loop: Header=BB4_2066 Depth=4
	s_or_b64 exec, exec, s[38:39]
                                        ; implicit-def: $vgpr1
.LBB4_2137:                             ;   in Loop: Header=BB4_2066 Depth=4
	s_andn2_saveexec_b64 s[28:29], s[36:37]
; %bb.2138:                             ;   in Loop: Header=BB4_2066 Depth=4
	v_or_b32_e32 v7, 0x7b, v1
; %bb.2139:                             ;   in Loop: Header=BB4_2066 Depth=4
	s_or_b64 exec, exec, s[28:29]
                                        ; implicit-def: $vgpr3
.LBB4_2140:                             ;   in Loop: Header=BB4_2066 Depth=4
	s_andn2_saveexec_b64 s[28:29], s[34:35]
	s_cbranch_execz .LBB4_2146
; %bb.2141:                             ;   in Loop: Header=BB4_2066 Depth=4
	v_cmp_ne_u64_e32 vcc, 0, v[60:61]
                                        ; implicit-def: $vgpr7
	s_and_saveexec_b64 s[34:35], vcc
	s_xor_b64 vcc, exec, s[34:35]
; %bb.2142:                             ;   in Loop: Header=BB4_2066 Depth=4
	v_or_b32_sdwa v7, v3, s44 dst_sel:DWORD dst_unused:UNUSED_PAD src0_sel:BYTE_3 src1_sel:DWORD
                                        ; implicit-def: $vgpr3
; %bb.2143:                             ;   in Loop: Header=BB4_2066 Depth=4
	s_andn2_saveexec_b64 s[34:35], vcc
; %bb.2144:                             ;   in Loop: Header=BB4_2066 Depth=4
	v_cmp_lt_i32_e32 vcc, -1, v3
	v_mov_b32_e32 v1, 0x7c
	v_cndmask_b32_e32 v7, -4, v1, vcc
; %bb.2145:                             ;   in Loop: Header=BB4_2066 Depth=4
	s_or_b64 exec, exec, s[34:35]
.LBB4_2146:                             ;   in Loop: Header=BB4_2066 Depth=4
	s_or_b64 exec, exec, s[28:29]
	v_cmp_ne_u16_e32 vcc, 0, v2
	v_mov_b32_e32 v1, 0
	v_mov_b32_e32 v3, 0
	s_and_saveexec_b64 s[28:29], vcc
	s_cbranch_execz .LBB4_2154
; %bb.2147:                             ;   in Loop: Header=BB4_2066 Depth=4
	v_cmp_ne_u16_e32 vcc, s70, v2
	v_bfrev_b32_e32 v3, 1
	s_and_saveexec_b64 s[34:35], vcc
	s_cbranch_execz .LBB4_2153
; %bb.2148:                             ;   in Loop: Header=BB4_2066 Depth=4
	v_and_b32_e32 v3, 0x7c, v2
	v_and_b32_e32 v6, 3, v2
	v_cmp_ne_u32_e32 vcc, s71, v3
                                        ; implicit-def: $vgpr3
	s_and_saveexec_b64 s[36:37], vcc
	s_xor_b64 s[36:37], exec, s[36:37]
	s_cbranch_execz .LBB4_2150
; %bb.2149:                             ;   in Loop: Header=BB4_2066 Depth=4
	v_ffbh_u32_e32 v31, v6
	v_min_u32_e32 v31, 32, v31
	v_and_b32_e32 v25, 0xff, v2
	v_mov_b32_e32 v3, v61
	v_subrev_u32_e32 v34, 29, v31
	v_bfe_u32 v25, v25, 2, 5
	v_lshlrev_b64 v[34:35], v34, v[2:3]
	v_sub_u32_e32 v3, 30, v31
	v_cmp_eq_u32_e32 vcc, 0, v25
	v_and_b32_e32 v31, 3, v34
	v_cndmask_b32_e32 v3, v25, v3, vcc
	v_and_b32_sdwa v2, sext(v2), s80 dst_sel:DWORD dst_unused:UNUSED_PAD src0_sel:WORD_0 src1_sel:DWORD
	v_cndmask_b32_e32 v6, v6, v31, vcc
	v_lshl_add_u32 v2, v3, 23, v2
	v_lshl_or_b32 v2, v6, 21, v2
	v_add_u32_e32 v3, 0x38000000, v2
                                        ; implicit-def: $vgpr6
                                        ; implicit-def: $vgpr2
.LBB4_2150:                             ;   in Loop: Header=BB4_2066 Depth=4
	s_andn2_saveexec_b64 s[36:37], s[36:37]
; %bb.2151:                             ;   in Loop: Header=BB4_2066 Depth=4
	v_cmp_lt_i16_e32 vcc, -1, v2
	v_mov_b32_e32 v2, 0xff800000
	v_cndmask_b32_e32 v2, v2, v47, vcc
	v_cmp_eq_u32_e32 vcc, 0, v6
	v_mov_b32_e32 v3, 0x7f800001
	v_cndmask_b32_e32 v3, v3, v2, vcc
; %bb.2152:                             ;   in Loop: Header=BB4_2066 Depth=4
	s_or_b64 exec, exec, s[36:37]
.LBB4_2153:                             ;   in Loop: Header=BB4_2066 Depth=4
	s_or_b64 exec, exec, s[34:35]
.LBB4_2154:                             ;   in Loop: Header=BB4_2066 Depth=4
	s_or_b64 exec, exec, s[28:29]
	v_cmp_ne_u16_e32 vcc, 0, v0
	s_and_saveexec_b64 s[28:29], vcc
	s_cbranch_execz .LBB4_2162
; %bb.2155:                             ;   in Loop: Header=BB4_2066 Depth=4
	v_cmp_ne_u16_e32 vcc, s70, v0
	v_bfrev_b32_e32 v1, 1
	s_and_saveexec_b64 s[34:35], vcc
	s_cbranch_execz .LBB4_2161
; %bb.2156:                             ;   in Loop: Header=BB4_2066 Depth=4
	v_and_b32_e32 v1, 0x7c, v0
	v_and_b32_e32 v2, 3, v0
	v_cmp_ne_u32_e32 vcc, s71, v1
                                        ; implicit-def: $vgpr1
	s_and_saveexec_b64 s[36:37], vcc
	s_xor_b64 s[36:37], exec, s[36:37]
	s_cbranch_execz .LBB4_2158
; %bb.2157:                             ;   in Loop: Header=BB4_2066 Depth=4
	v_ffbh_u32_e32 v25, v2
	v_min_u32_e32 v25, 32, v25
	v_and_b32_e32 v6, 0xff, v0
	v_mov_b32_e32 v1, v61
	v_subrev_u32_e32 v31, 29, v25
	v_bfe_u32 v6, v6, 2, 5
	v_lshlrev_b64 v[34:35], v31, v[0:1]
	v_sub_u32_e32 v1, 30, v25
	v_cmp_eq_u32_e32 vcc, 0, v6
	v_and_b32_e32 v25, 3, v34
	v_cndmask_b32_e32 v1, v6, v1, vcc
	v_and_b32_sdwa v0, sext(v0), s80 dst_sel:DWORD dst_unused:UNUSED_PAD src0_sel:WORD_0 src1_sel:DWORD
	v_cndmask_b32_e32 v2, v2, v25, vcc
	v_lshl_add_u32 v0, v1, 23, v0
	v_lshl_or_b32 v0, v2, 21, v0
	v_add_u32_e32 v1, 0x38000000, v0
                                        ; implicit-def: $vgpr2
                                        ; implicit-def: $vgpr0
.LBB4_2158:                             ;   in Loop: Header=BB4_2066 Depth=4
	s_andn2_saveexec_b64 s[36:37], s[36:37]
; %bb.2159:                             ;   in Loop: Header=BB4_2066 Depth=4
	v_cmp_lt_i16_e32 vcc, -1, v0
	v_mov_b32_e32 v0, 0xff800000
	v_cndmask_b32_e32 v0, v0, v47, vcc
	v_cmp_eq_u32_e32 vcc, 0, v2
	v_mov_b32_e32 v1, 0x7f800001
	v_cndmask_b32_e32 v1, v1, v0, vcc
; %bb.2160:                             ;   in Loop: Header=BB4_2066 Depth=4
	s_or_b64 exec, exec, s[36:37]
.LBB4_2161:                             ;   in Loop: Header=BB4_2066 Depth=4
	s_or_b64 exec, exec, s[34:35]
.LBB4_2162:                             ;   in Loop: Header=BB4_2066 Depth=4
	s_or_b64 exec, exec, s[28:29]
	v_mul_f32_e32 v0, v3, v1
	v_and_b32_e32 v1, 0x7f800000, v0
	v_mov_b32_e32 v2, v61
	v_cmp_ne_u64_e32 vcc, s[62:63], v[1:2]
	v_and_b32_e32 v60, 0x7fffff, v0
                                        ; implicit-def: $vgpr3
	s_and_saveexec_b64 s[28:29], vcc
	s_xor_b64 s[34:35], exec, s[28:29]
	s_cbranch_execz .LBB4_2180
; %bb.2163:                             ;   in Loop: Header=BB4_2066 Depth=4
	v_and_b32_e32 v1, 0x7fffffff, v0
	v_mov_b32_e32 v2, v61
	v_cmp_gt_u64_e32 vcc, s[78:79], v[1:2]
	v_and_b32_sdwa v6, v0, s81 dst_sel:DWORD dst_unused:UNUSED_PAD src0_sel:BYTE_3 src1_sel:DWORD
                                        ; implicit-def: $vgpr3
	s_and_saveexec_b64 s[28:29], vcc
	s_xor_b64 s[36:37], exec, s[28:29]
	s_cbranch_execz .LBB4_2177
; %bb.2164:                             ;   in Loop: Header=BB4_2066 Depth=4
	v_cmp_ne_u32_e32 vcc, 0, v0
	v_mov_b32_e32 v3, 0
	s_and_saveexec_b64 s[38:39], vcc
	s_cbranch_execz .LBB4_2176
; %bb.2165:                             ;   in Loop: Header=BB4_2066 Depth=4
	v_bfe_u32 v3, v0, 23, 8
	v_cmp_gt_u32_e64 s[28:29], s47, v3
	v_sub_u32_e32 v0, 0x71, v3
	v_cmp_eq_u32_e32 vcc, 0, v3
	v_cndmask_b32_e64 v0, 0, v0, s[28:29]
	v_mov_b32_e32 v2, 0x70
	v_cndmask_b32_e32 v25, v0, v2, vcc
	v_or_b32_e32 v1, 0x800000, v60
	v_add_u32_e32 v0, 21, v25
	v_cndmask_b32_e32 v60, v1, v60, vcc
	v_lshlrev_b64 v[0:1], v0, -1
	v_add_u32_e32 v2, 20, v25
	v_lshlrev_b64 v[34:35], v2, 1
	v_bfi_b32 v1, v1, 0, 0
	v_bfi_b32 v0, v0, 0, v60
	v_cmp_eq_u64_e64 s[28:29], v[0:1], v[34:35]
	v_lshrrev_b64 v[0:1], v25, v[60:61]
	v_mov_b32_e32 v2, v1
	v_mov_b32_e32 v1, v0
	s_and_saveexec_b64 s[48:49], s[28:29]
; %bb.2166:                             ;   in Loop: Header=BB4_2066 Depth=4
	v_bfe_u32 v1, v0, 21, 1
	v_add_co_u32_e64 v1, s[28:29], v0, v1
	v_add_co_u32_e64 v1, s[28:29], -1, v1
; %bb.2167:                             ;   in Loop: Header=BB4_2066 Depth=4
	s_or_b64 exec, exec, s[48:49]
	v_add_u32_e32 v2, 0xffffff81, v3
	v_mov_b32_e32 v3, 0xffffff82
	v_cndmask_b32_e32 v2, v2, v3, vcc
	v_lshrrev_b32_e32 v3, 23, v0
	v_add3_u32 v25, v25, v2, v3
	v_add_u32_e32 v3, 14, v25
	v_and_b32_e32 v1, 0x1fffff, v1
	v_add_u32_e32 v60, v1, v0
	v_cmp_ne_u32_e32 vcc, 0, v3
                                        ; implicit-def: $vgpr0_vgpr1
                                        ; implicit-def: $vgpr2
	s_and_saveexec_b64 s[28:29], vcc
	s_xor_b64 s[28:29], exec, s[28:29]
; %bb.2168:                             ;   in Loop: Header=BB4_2066 Depth=4
	v_cmp_lt_u64_e32 vcc, s[88:89], v[60:61]
	v_add_u32_e32 v0, 15, v25
	v_cndmask_b32_e32 v2, v3, v0, vcc
	v_cndmask_b32_e64 v0, 0, 1, vcc
	v_lshrrev_b64 v[0:1], v0, v[60:61]
; %bb.2169:                             ;   in Loop: Header=BB4_2066 Depth=4
	s_andn2_saveexec_b64 s[28:29], s[28:29]
; %bb.2170:                             ;   in Loop: Header=BB4_2066 Depth=4
	v_mov_b32_e32 v0, v60
	v_bfe_u32 v2, v60, 23, 1
	v_mov_b32_e32 v1, v61
; %bb.2171:                             ;   in Loop: Header=BB4_2066 Depth=4
	s_or_b64 exec, exec, s[28:29]
	v_lshrrev_b64 v[0:1], 21, v[0:1]
	v_cmp_gt_i32_e32 vcc, 32, v2
	v_cndmask_b32_e32 v1, 0, v1, vcc
	v_cndmask_b32_e32 v0, 3, v0, vcc
	v_cmp_ne_u64_e32 vcc, 0, v[0:1]
	v_cmp_ne_u32_e64 s[28:29], 0, v2
	s_or_b64 s[28:29], s[28:29], vcc
                                        ; implicit-def: $vgpr3
	s_and_saveexec_b64 vcc, s[28:29]
	s_xor_b64 s[28:29], exec, vcc
; %bb.2172:                             ;   in Loop: Header=BB4_2066 Depth=4
	v_min_i32_e32 v1, 31, v2
	v_lshl_or_b32 v1, v1, 2, v6
	v_and_or_b32 v3, v0, 3, v1
                                        ; implicit-def: $vgpr6
; %bb.2173:                             ;   in Loop: Header=BB4_2066 Depth=4
	s_andn2_saveexec_b64 s[28:29], s[28:29]
; %bb.2174:                             ;   in Loop: Header=BB4_2066 Depth=4
	v_mov_b32_e32 v3, v6
; %bb.2175:                             ;   in Loop: Header=BB4_2066 Depth=4
	s_or_b64 exec, exec, s[28:29]
.LBB4_2176:                             ;   in Loop: Header=BB4_2066 Depth=4
	s_or_b64 exec, exec, s[38:39]
                                        ; implicit-def: $vgpr6
.LBB4_2177:                             ;   in Loop: Header=BB4_2066 Depth=4
	s_andn2_saveexec_b64 s[28:29], s[36:37]
; %bb.2178:                             ;   in Loop: Header=BB4_2066 Depth=4
	v_or_b32_e32 v3, 0x7b, v6
; %bb.2179:                             ;   in Loop: Header=BB4_2066 Depth=4
	s_or_b64 exec, exec, s[28:29]
                                        ; implicit-def: $vgpr0
.LBB4_2180:                             ;   in Loop: Header=BB4_2066 Depth=4
	s_andn2_saveexec_b64 s[28:29], s[34:35]
	s_cbranch_execz .LBB4_2186
; %bb.2181:                             ;   in Loop: Header=BB4_2066 Depth=4
	v_cmp_ne_u64_e32 vcc, 0, v[60:61]
                                        ; implicit-def: $vgpr3
	s_and_saveexec_b64 s[34:35], vcc
	s_xor_b64 vcc, exec, s[34:35]
; %bb.2182:                             ;   in Loop: Header=BB4_2066 Depth=4
	v_or_b32_sdwa v3, v0, s44 dst_sel:DWORD dst_unused:UNUSED_PAD src0_sel:BYTE_3 src1_sel:DWORD
                                        ; implicit-def: $vgpr0
; %bb.2183:                             ;   in Loop: Header=BB4_2066 Depth=4
	s_andn2_saveexec_b64 s[34:35], vcc
; %bb.2184:                             ;   in Loop: Header=BB4_2066 Depth=4
	v_cmp_lt_i32_e32 vcc, -1, v0
	v_mov_b32_e32 v0, 0x7c
	v_cndmask_b32_e32 v3, -4, v0, vcc
; %bb.2185:                             ;   in Loop: Header=BB4_2066 Depth=4
	s_or_b64 exec, exec, s[34:35]
.LBB4_2186:                             ;   in Loop: Header=BB4_2066 Depth=4
	s_or_b64 exec, exec, s[28:29]
	v_cmp_ne_u16_e32 vcc, 0, v53
	v_mov_b32_e32 v0, 0
	v_mov_b32_e32 v1, 0
	s_and_saveexec_b64 s[28:29], vcc
	s_cbranch_execz .LBB4_2194
; %bb.2187:                             ;   in Loop: Header=BB4_2066 Depth=4
	v_cmp_ne_u16_e32 vcc, s70, v53
	v_bfrev_b32_e32 v1, 1
	s_and_saveexec_b64 s[34:35], vcc
	s_cbranch_execz .LBB4_2193
; %bb.2188:                             ;   in Loop: Header=BB4_2066 Depth=4
	v_and_b32_e32 v1, 0x7c, v53
	v_and_b32_e32 v2, 3, v53
	v_cmp_ne_u32_e32 vcc, s71, v1
                                        ; implicit-def: $vgpr1
	s_and_saveexec_b64 s[36:37], vcc
	s_xor_b64 s[36:37], exec, s[36:37]
	s_cbranch_execz .LBB4_2190
; %bb.2189:                             ;   in Loop: Header=BB4_2066 Depth=4
	v_ffbh_u32_e32 v6, v2
	v_min_u32_e32 v6, 32, v6
	v_and_b32_e32 v1, 0xff, v53
	v_mov_b32_e32 v54, v61
	v_subrev_u32_e32 v25, 29, v6
	v_bfe_u32 v1, v1, 2, 5
	v_lshlrev_b64 v[34:35], v25, v[53:54]
	v_sub_u32_e32 v6, 30, v6
	v_cmp_eq_u32_e32 vcc, 0, v1
	v_and_b32_e32 v25, 3, v34
	v_cndmask_b32_e32 v1, v1, v6, vcc
	v_and_b32_sdwa v6, sext(v53), s80 dst_sel:DWORD dst_unused:UNUSED_PAD src0_sel:WORD_0 src1_sel:DWORD
	v_cndmask_b32_e32 v2, v2, v25, vcc
	v_lshl_add_u32 v1, v1, 23, v6
	v_lshl_or_b32 v1, v2, 21, v1
	v_add_u32_e32 v1, 0x38000000, v1
                                        ; implicit-def: $vgpr2
                                        ; implicit-def: $vgpr53
.LBB4_2190:                             ;   in Loop: Header=BB4_2066 Depth=4
	s_andn2_saveexec_b64 s[36:37], s[36:37]
; %bb.2191:                             ;   in Loop: Header=BB4_2066 Depth=4
	v_cmp_lt_i16_e32 vcc, -1, v53
	v_mov_b32_e32 v1, 0xff800000
	v_cndmask_b32_e32 v1, v1, v47, vcc
	v_cmp_eq_u32_e32 vcc, 0, v2
	v_mov_b32_e32 v2, 0x7f800001
	v_cndmask_b32_e32 v1, v2, v1, vcc
; %bb.2192:                             ;   in Loop: Header=BB4_2066 Depth=4
	s_or_b64 exec, exec, s[36:37]
.LBB4_2193:                             ;   in Loop: Header=BB4_2066 Depth=4
	s_or_b64 exec, exec, s[34:35]
.LBB4_2194:                             ;   in Loop: Header=BB4_2066 Depth=4
	s_or_b64 exec, exec, s[28:29]
	v_cmp_ne_u16_e32 vcc, 0, v5
	s_and_saveexec_b64 s[28:29], vcc
	s_cbranch_execz .LBB4_2202
; %bb.2195:                             ;   in Loop: Header=BB4_2066 Depth=4
	v_cmp_ne_u16_e32 vcc, s70, v5
	v_bfrev_b32_e32 v0, 1
	s_and_saveexec_b64 s[34:35], vcc
	s_cbranch_execz .LBB4_2201
; %bb.2196:                             ;   in Loop: Header=BB4_2066 Depth=4
	v_and_b32_e32 v0, 0x7c, v5
	v_and_b32_e32 v2, 3, v5
	v_cmp_ne_u32_e32 vcc, s71, v0
                                        ; implicit-def: $vgpr0
	s_and_saveexec_b64 s[36:37], vcc
	s_xor_b64 s[36:37], exec, s[36:37]
	s_cbranch_execz .LBB4_2198
; %bb.2197:                             ;   in Loop: Header=BB4_2066 Depth=4
	v_ffbh_u32_e32 v25, v2
	v_min_u32_e32 v25, 32, v25
	v_and_b32_e32 v0, 0xff, v5
	v_mov_b32_e32 v6, v61
	v_subrev_u32_e32 v31, 29, v25
	v_bfe_u32 v0, v0, 2, 5
	v_lshlrev_b64 v[34:35], v31, v[5:6]
	v_sub_u32_e32 v6, 30, v25
	v_cmp_eq_u32_e32 vcc, 0, v0
	v_and_b32_e32 v25, 3, v34
	v_cndmask_b32_e32 v0, v0, v6, vcc
	v_and_b32_sdwa v5, sext(v5), s80 dst_sel:DWORD dst_unused:UNUSED_PAD src0_sel:WORD_0 src1_sel:DWORD
	v_cndmask_b32_e32 v2, v2, v25, vcc
	v_lshl_add_u32 v0, v0, 23, v5
	v_lshl_or_b32 v0, v2, 21, v0
	v_add_u32_e32 v0, 0x38000000, v0
                                        ; implicit-def: $vgpr2
                                        ; implicit-def: $vgpr5
.LBB4_2198:                             ;   in Loop: Header=BB4_2066 Depth=4
	s_andn2_saveexec_b64 s[36:37], s[36:37]
; %bb.2199:                             ;   in Loop: Header=BB4_2066 Depth=4
	v_cmp_lt_i16_e32 vcc, -1, v5
	v_mov_b32_e32 v0, 0xff800000
	v_cndmask_b32_e32 v0, v0, v47, vcc
	v_cmp_eq_u32_e32 vcc, 0, v2
	v_mov_b32_e32 v2, 0x7f800001
	v_cndmask_b32_e32 v0, v2, v0, vcc
; %bb.2200:                             ;   in Loop: Header=BB4_2066 Depth=4
	s_or_b64 exec, exec, s[36:37]
.LBB4_2201:                             ;   in Loop: Header=BB4_2066 Depth=4
	s_or_b64 exec, exec, s[34:35]
.LBB4_2202:                             ;   in Loop: Header=BB4_2066 Depth=4
	s_or_b64 exec, exec, s[28:29]
	v_mul_f32_e32 v0, v1, v0
	v_and_b32_e32 v1, 0x7f800000, v0
	v_mov_b32_e32 v2, v61
	v_cmp_ne_u64_e32 vcc, s[62:63], v[1:2]
	v_and_b32_e32 v60, 0x7fffff, v0
                                        ; implicit-def: $vgpr6
	s_and_saveexec_b64 s[28:29], vcc
	s_xor_b64 s[34:35], exec, s[28:29]
	s_cbranch_execz .LBB4_2220
; %bb.2203:                             ;   in Loop: Header=BB4_2066 Depth=4
	v_and_b32_e32 v1, 0x7fffffff, v0
	v_mov_b32_e32 v2, v61
	v_cmp_gt_u64_e32 vcc, s[78:79], v[1:2]
	v_and_b32_sdwa v5, v0, s81 dst_sel:DWORD dst_unused:UNUSED_PAD src0_sel:BYTE_3 src1_sel:DWORD
                                        ; implicit-def: $vgpr6
	s_and_saveexec_b64 s[28:29], vcc
	s_xor_b64 s[36:37], exec, s[28:29]
	s_cbranch_execz .LBB4_2217
; %bb.2204:                             ;   in Loop: Header=BB4_2066 Depth=4
	v_cmp_ne_u32_e32 vcc, 0, v0
	v_mov_b32_e32 v6, 0
	s_and_saveexec_b64 s[38:39], vcc
	s_cbranch_execz .LBB4_2216
; %bb.2205:                             ;   in Loop: Header=BB4_2066 Depth=4
	v_bfe_u32 v6, v0, 23, 8
	v_cmp_gt_u32_e64 s[28:29], s47, v6
	v_sub_u32_e32 v0, 0x71, v6
	v_cmp_eq_u32_e32 vcc, 0, v6
	v_cndmask_b32_e64 v0, 0, v0, s[28:29]
	v_mov_b32_e32 v2, 0x70
	v_cndmask_b32_e32 v25, v0, v2, vcc
	v_or_b32_e32 v1, 0x800000, v60
	v_add_u32_e32 v0, 21, v25
	v_cndmask_b32_e32 v60, v1, v60, vcc
	v_lshlrev_b64 v[0:1], v0, -1
	v_add_u32_e32 v2, 20, v25
	v_lshlrev_b64 v[34:35], v2, 1
	v_bfi_b32 v1, v1, 0, 0
	v_bfi_b32 v0, v0, 0, v60
	v_cmp_eq_u64_e64 s[28:29], v[0:1], v[34:35]
	v_lshrrev_b64 v[0:1], v25, v[60:61]
	v_mov_b32_e32 v2, v1
	v_mov_b32_e32 v1, v0
	s_and_saveexec_b64 s[48:49], s[28:29]
; %bb.2206:                             ;   in Loop: Header=BB4_2066 Depth=4
	v_bfe_u32 v1, v0, 21, 1
	v_add_co_u32_e64 v1, s[28:29], v0, v1
	v_add_co_u32_e64 v1, s[28:29], -1, v1
; %bb.2207:                             ;   in Loop: Header=BB4_2066 Depth=4
	s_or_b64 exec, exec, s[48:49]
	v_add_u32_e32 v2, 0xffffff81, v6
	v_mov_b32_e32 v6, 0xffffff82
	v_cndmask_b32_e32 v2, v2, v6, vcc
	v_lshrrev_b32_e32 v6, 23, v0
	v_add3_u32 v25, v25, v2, v6
	v_add_u32_e32 v6, 14, v25
	v_and_b32_e32 v1, 0x1fffff, v1
	v_add_u32_e32 v60, v1, v0
	v_cmp_ne_u32_e32 vcc, 0, v6
                                        ; implicit-def: $vgpr0_vgpr1
                                        ; implicit-def: $vgpr2
	s_and_saveexec_b64 s[28:29], vcc
	s_xor_b64 s[28:29], exec, s[28:29]
; %bb.2208:                             ;   in Loop: Header=BB4_2066 Depth=4
	v_cmp_lt_u64_e32 vcc, s[88:89], v[60:61]
	v_add_u32_e32 v0, 15, v25
	v_cndmask_b32_e32 v2, v6, v0, vcc
	v_cndmask_b32_e64 v0, 0, 1, vcc
	v_lshrrev_b64 v[0:1], v0, v[60:61]
; %bb.2209:                             ;   in Loop: Header=BB4_2066 Depth=4
	s_andn2_saveexec_b64 s[28:29], s[28:29]
; %bb.2210:                             ;   in Loop: Header=BB4_2066 Depth=4
	v_mov_b32_e32 v0, v60
	v_bfe_u32 v2, v60, 23, 1
	v_mov_b32_e32 v1, v61
; %bb.2211:                             ;   in Loop: Header=BB4_2066 Depth=4
	s_or_b64 exec, exec, s[28:29]
	v_lshrrev_b64 v[0:1], 21, v[0:1]
	v_cmp_gt_i32_e32 vcc, 32, v2
	v_cndmask_b32_e32 v1, 0, v1, vcc
	v_cndmask_b32_e32 v0, 3, v0, vcc
	v_cmp_ne_u64_e32 vcc, 0, v[0:1]
	v_cmp_ne_u32_e64 s[28:29], 0, v2
	s_or_b64 s[28:29], s[28:29], vcc
                                        ; implicit-def: $vgpr6
	s_and_saveexec_b64 vcc, s[28:29]
	s_xor_b64 s[28:29], exec, vcc
; %bb.2212:                             ;   in Loop: Header=BB4_2066 Depth=4
	v_min_i32_e32 v1, 31, v2
	v_lshl_or_b32 v1, v1, 2, v5
	v_and_or_b32 v6, v0, 3, v1
                                        ; implicit-def: $vgpr5
; %bb.2213:                             ;   in Loop: Header=BB4_2066 Depth=4
	s_andn2_saveexec_b64 s[28:29], s[28:29]
; %bb.2214:                             ;   in Loop: Header=BB4_2066 Depth=4
	v_mov_b32_e32 v6, v5
; %bb.2215:                             ;   in Loop: Header=BB4_2066 Depth=4
	s_or_b64 exec, exec, s[28:29]
.LBB4_2216:                             ;   in Loop: Header=BB4_2066 Depth=4
	s_or_b64 exec, exec, s[38:39]
                                        ; implicit-def: $vgpr5
.LBB4_2217:                             ;   in Loop: Header=BB4_2066 Depth=4
	s_andn2_saveexec_b64 s[28:29], s[36:37]
; %bb.2218:                             ;   in Loop: Header=BB4_2066 Depth=4
	v_or_b32_e32 v6, 0x7b, v5
; %bb.2219:                             ;   in Loop: Header=BB4_2066 Depth=4
	s_or_b64 exec, exec, s[28:29]
                                        ; implicit-def: $vgpr0
.LBB4_2220:                             ;   in Loop: Header=BB4_2066 Depth=4
	s_andn2_saveexec_b64 s[28:29], s[34:35]
	s_cbranch_execz .LBB4_2226
; %bb.2221:                             ;   in Loop: Header=BB4_2066 Depth=4
	v_cmp_ne_u64_e32 vcc, 0, v[60:61]
                                        ; implicit-def: $vgpr6
	s_and_saveexec_b64 s[34:35], vcc
	s_xor_b64 vcc, exec, s[34:35]
; %bb.2222:                             ;   in Loop: Header=BB4_2066 Depth=4
	v_or_b32_sdwa v6, v0, s44 dst_sel:DWORD dst_unused:UNUSED_PAD src0_sel:BYTE_3 src1_sel:DWORD
                                        ; implicit-def: $vgpr0
; %bb.2223:                             ;   in Loop: Header=BB4_2066 Depth=4
	s_andn2_saveexec_b64 s[34:35], vcc
; %bb.2224:                             ;   in Loop: Header=BB4_2066 Depth=4
	v_cmp_lt_i32_e32 vcc, -1, v0
	v_mov_b32_e32 v0, 0x7c
	v_cndmask_b32_e32 v6, -4, v0, vcc
; %bb.2225:                             ;   in Loop: Header=BB4_2066 Depth=4
	s_or_b64 exec, exec, s[34:35]
.LBB4_2226:                             ;   in Loop: Header=BB4_2066 Depth=4
	s_or_b64 exec, exec, s[28:29]
	v_cmp_ne_u16_e32 vcc, 0, v42
	v_mov_b32_e32 v0, 0
	v_mov_b32_e32 v1, 0
	s_and_saveexec_b64 s[28:29], vcc
	s_cbranch_execz .LBB4_2234
; %bb.2227:                             ;   in Loop: Header=BB4_2066 Depth=4
	v_cmp_ne_u16_e32 vcc, s70, v42
	v_bfrev_b32_e32 v1, 1
	s_and_saveexec_b64 s[34:35], vcc
	s_cbranch_execz .LBB4_2233
; %bb.2228:                             ;   in Loop: Header=BB4_2066 Depth=4
	v_and_b32_e32 v1, 0x7c, v42
	v_and_b32_e32 v2, 3, v42
	v_cmp_ne_u32_e32 vcc, s71, v1
                                        ; implicit-def: $vgpr1
	s_and_saveexec_b64 s[36:37], vcc
	s_xor_b64 s[36:37], exec, s[36:37]
	s_cbranch_execz .LBB4_2230
; %bb.2229:                             ;   in Loop: Header=BB4_2066 Depth=4
	v_ffbh_u32_e32 v5, v2
	v_min_u32_e32 v5, 32, v5
	v_and_b32_e32 v1, 0xff, v42
	v_mov_b32_e32 v43, v61
	v_subrev_u32_e32 v25, 29, v5
	v_bfe_u32 v1, v1, 2, 5
	v_lshlrev_b64 v[34:35], v25, v[42:43]
	v_sub_u32_e32 v5, 30, v5
	v_cmp_eq_u32_e32 vcc, 0, v1
	v_and_b32_e32 v25, 3, v34
	v_cndmask_b32_e32 v1, v1, v5, vcc
	v_and_b32_sdwa v5, sext(v42), s80 dst_sel:DWORD dst_unused:UNUSED_PAD src0_sel:WORD_0 src1_sel:DWORD
	v_cndmask_b32_e32 v2, v2, v25, vcc
	v_lshl_add_u32 v1, v1, 23, v5
	v_lshl_or_b32 v1, v2, 21, v1
	v_add_u32_e32 v1, 0x38000000, v1
                                        ; implicit-def: $vgpr2
                                        ; implicit-def: $vgpr42
.LBB4_2230:                             ;   in Loop: Header=BB4_2066 Depth=4
	s_andn2_saveexec_b64 s[36:37], s[36:37]
; %bb.2231:                             ;   in Loop: Header=BB4_2066 Depth=4
	v_cmp_lt_i16_e32 vcc, -1, v42
	v_mov_b32_e32 v1, 0xff800000
	v_cndmask_b32_e32 v1, v1, v47, vcc
	v_cmp_eq_u32_e32 vcc, 0, v2
	v_mov_b32_e32 v2, 0x7f800001
	v_cndmask_b32_e32 v1, v2, v1, vcc
; %bb.2232:                             ;   in Loop: Header=BB4_2066 Depth=4
	s_or_b64 exec, exec, s[36:37]
.LBB4_2233:                             ;   in Loop: Header=BB4_2066 Depth=4
	s_or_b64 exec, exec, s[34:35]
.LBB4_2234:                             ;   in Loop: Header=BB4_2066 Depth=4
	s_or_b64 exec, exec, s[28:29]
	v_cmp_ne_u16_e32 vcc, 0, v59
	s_and_saveexec_b64 s[28:29], vcc
	s_cbranch_execz .LBB4_2242
; %bb.2235:                             ;   in Loop: Header=BB4_2066 Depth=4
	v_cmp_ne_u16_e32 vcc, s70, v59
	v_bfrev_b32_e32 v0, 1
	s_and_saveexec_b64 s[34:35], vcc
	s_cbranch_execz .LBB4_2241
; %bb.2236:                             ;   in Loop: Header=BB4_2066 Depth=4
	v_and_b32_e32 v0, 0x7c, v59
	v_and_b32_e32 v2, 3, v59
	v_cmp_ne_u32_e32 vcc, s71, v0
                                        ; implicit-def: $vgpr0
	s_and_saveexec_b64 s[36:37], vcc
	s_xor_b64 s[36:37], exec, s[36:37]
	s_cbranch_execz .LBB4_2238
; %bb.2237:                             ;   in Loop: Header=BB4_2066 Depth=4
	v_ffbh_u32_e32 v5, v2
	v_min_u32_e32 v5, 32, v5
	v_and_b32_e32 v0, 0xff, v59
	v_mov_b32_e32 v60, v61
	v_subrev_u32_e32 v25, 29, v5
	v_bfe_u32 v0, v0, 2, 5
	v_lshlrev_b64 v[34:35], v25, v[59:60]
	v_sub_u32_e32 v5, 30, v5
	v_cmp_eq_u32_e32 vcc, 0, v0
	v_and_b32_e32 v25, 3, v34
	v_cndmask_b32_e32 v0, v0, v5, vcc
	v_and_b32_sdwa v5, sext(v59), s80 dst_sel:DWORD dst_unused:UNUSED_PAD src0_sel:WORD_0 src1_sel:DWORD
	v_cndmask_b32_e32 v2, v2, v25, vcc
	v_lshl_add_u32 v0, v0, 23, v5
	v_lshl_or_b32 v0, v2, 21, v0
	v_add_u32_e32 v0, 0x38000000, v0
                                        ; implicit-def: $vgpr2
                                        ; implicit-def: $vgpr59
.LBB4_2238:                             ;   in Loop: Header=BB4_2066 Depth=4
	s_andn2_saveexec_b64 s[36:37], s[36:37]
; %bb.2239:                             ;   in Loop: Header=BB4_2066 Depth=4
	v_cmp_lt_i16_e32 vcc, -1, v59
	v_mov_b32_e32 v0, 0xff800000
	v_cndmask_b32_e32 v0, v0, v47, vcc
	v_cmp_eq_u32_e32 vcc, 0, v2
	v_mov_b32_e32 v2, 0x7f800001
	v_cndmask_b32_e32 v0, v2, v0, vcc
; %bb.2240:                             ;   in Loop: Header=BB4_2066 Depth=4
	s_or_b64 exec, exec, s[36:37]
.LBB4_2241:                             ;   in Loop: Header=BB4_2066 Depth=4
	s_or_b64 exec, exec, s[34:35]
.LBB4_2242:                             ;   in Loop: Header=BB4_2066 Depth=4
	s_or_b64 exec, exec, s[28:29]
	v_mul_f32_e32 v0, v1, v0
	v_and_b32_e32 v1, 0x7f800000, v0
	v_mov_b32_e32 v2, v61
	v_cmp_ne_u64_e32 vcc, s[62:63], v[1:2]
	v_and_b32_e32 v60, 0x7fffff, v0
                                        ; implicit-def: $vgpr34
	s_and_saveexec_b64 s[28:29], vcc
	s_xor_b64 s[34:35], exec, s[28:29]
	s_cbranch_execz .LBB4_2260
; %bb.2243:                             ;   in Loop: Header=BB4_2066 Depth=4
	v_and_b32_e32 v1, 0x7fffffff, v0
	v_mov_b32_e32 v2, v61
	v_cmp_gt_u64_e32 vcc, s[78:79], v[1:2]
	v_and_b32_sdwa v5, v0, s81 dst_sel:DWORD dst_unused:UNUSED_PAD src0_sel:BYTE_3 src1_sel:DWORD
                                        ; implicit-def: $vgpr34
	s_and_saveexec_b64 s[28:29], vcc
	s_xor_b64 s[36:37], exec, s[28:29]
	s_cbranch_execz .LBB4_2257
; %bb.2244:                             ;   in Loop: Header=BB4_2066 Depth=4
	v_cmp_ne_u32_e32 vcc, 0, v0
	v_mov_b32_e32 v34, 0
	s_and_saveexec_b64 s[38:39], vcc
	s_cbranch_execz .LBB4_2256
; %bb.2245:                             ;   in Loop: Header=BB4_2066 Depth=4
	v_bfe_u32 v25, v0, 23, 8
	v_cmp_gt_u32_e64 s[28:29], s47, v25
	v_sub_u32_e32 v0, 0x71, v25
	v_cmp_eq_u32_e32 vcc, 0, v25
	v_cndmask_b32_e64 v0, 0, v0, s[28:29]
	v_mov_b32_e32 v2, 0x70
	v_cndmask_b32_e32 v31, v0, v2, vcc
	v_or_b32_e32 v1, 0x800000, v60
	v_add_u32_e32 v0, 21, v31
	v_cndmask_b32_e32 v60, v1, v60, vcc
	v_lshlrev_b64 v[0:1], v0, -1
	v_add_u32_e32 v2, 20, v31
	v_lshlrev_b64 v[34:35], v2, 1
	v_bfi_b32 v1, v1, 0, 0
	v_bfi_b32 v0, v0, 0, v60
	v_cmp_eq_u64_e64 s[28:29], v[0:1], v[34:35]
	v_lshrrev_b64 v[0:1], v31, v[60:61]
	v_mov_b32_e32 v2, v1
	v_mov_b32_e32 v1, v0
	s_and_saveexec_b64 s[48:49], s[28:29]
; %bb.2246:                             ;   in Loop: Header=BB4_2066 Depth=4
	v_bfe_u32 v1, v0, 21, 1
	v_add_co_u32_e64 v1, s[28:29], v0, v1
	v_add_co_u32_e64 v1, s[28:29], -1, v1
; %bb.2247:                             ;   in Loop: Header=BB4_2066 Depth=4
	s_or_b64 exec, exec, s[48:49]
	v_add_u32_e32 v2, 0xffffff81, v25
	v_mov_b32_e32 v25, 0xffffff82
	v_cndmask_b32_e32 v2, v2, v25, vcc
	v_lshrrev_b32_e32 v25, 23, v0
	v_add3_u32 v31, v31, v2, v25
	v_add_u32_e32 v25, 14, v31
	v_and_b32_e32 v1, 0x1fffff, v1
	v_add_u32_e32 v60, v1, v0
	v_cmp_ne_u32_e32 vcc, 0, v25
                                        ; implicit-def: $vgpr0_vgpr1
                                        ; implicit-def: $vgpr2
	s_and_saveexec_b64 s[28:29], vcc
	s_xor_b64 s[28:29], exec, s[28:29]
; %bb.2248:                             ;   in Loop: Header=BB4_2066 Depth=4
	v_cmp_lt_u64_e32 vcc, s[88:89], v[60:61]
	v_add_u32_e32 v0, 15, v31
	v_cndmask_b32_e32 v2, v25, v0, vcc
	v_cndmask_b32_e64 v0, 0, 1, vcc
	v_lshrrev_b64 v[0:1], v0, v[60:61]
; %bb.2249:                             ;   in Loop: Header=BB4_2066 Depth=4
	s_andn2_saveexec_b64 s[28:29], s[28:29]
; %bb.2250:                             ;   in Loop: Header=BB4_2066 Depth=4
	v_mov_b32_e32 v0, v60
	v_bfe_u32 v2, v60, 23, 1
	v_mov_b32_e32 v1, v61
; %bb.2251:                             ;   in Loop: Header=BB4_2066 Depth=4
	s_or_b64 exec, exec, s[28:29]
	v_lshrrev_b64 v[0:1], 21, v[0:1]
	v_cmp_gt_i32_e32 vcc, 32, v2
	v_cndmask_b32_e32 v1, 0, v1, vcc
	v_cndmask_b32_e32 v0, 3, v0, vcc
	v_cmp_ne_u64_e32 vcc, 0, v[0:1]
	v_cmp_ne_u32_e64 s[28:29], 0, v2
	s_or_b64 s[28:29], s[28:29], vcc
                                        ; implicit-def: $vgpr34
	s_and_saveexec_b64 vcc, s[28:29]
	s_xor_b64 s[28:29], exec, vcc
; %bb.2252:                             ;   in Loop: Header=BB4_2066 Depth=4
	v_min_i32_e32 v1, 31, v2
	v_lshl_or_b32 v1, v1, 2, v5
	v_and_or_b32 v34, v0, 3, v1
                                        ; implicit-def: $vgpr5
; %bb.2253:                             ;   in Loop: Header=BB4_2066 Depth=4
	s_andn2_saveexec_b64 s[28:29], s[28:29]
; %bb.2254:                             ;   in Loop: Header=BB4_2066 Depth=4
	v_mov_b32_e32 v34, v5
; %bb.2255:                             ;   in Loop: Header=BB4_2066 Depth=4
	s_or_b64 exec, exec, s[28:29]
.LBB4_2256:                             ;   in Loop: Header=BB4_2066 Depth=4
	s_or_b64 exec, exec, s[38:39]
                                        ; implicit-def: $vgpr5
.LBB4_2257:                             ;   in Loop: Header=BB4_2066 Depth=4
	s_andn2_saveexec_b64 s[28:29], s[36:37]
; %bb.2258:                             ;   in Loop: Header=BB4_2066 Depth=4
	v_or_b32_e32 v34, 0x7b, v5
; %bb.2259:                             ;   in Loop: Header=BB4_2066 Depth=4
	s_or_b64 exec, exec, s[28:29]
                                        ; implicit-def: $vgpr0
.LBB4_2260:                             ;   in Loop: Header=BB4_2066 Depth=4
	s_andn2_saveexec_b64 s[28:29], s[34:35]
	s_cbranch_execz .LBB4_2266
; %bb.2261:                             ;   in Loop: Header=BB4_2066 Depth=4
	v_cmp_ne_u64_e32 vcc, 0, v[60:61]
                                        ; implicit-def: $vgpr34
	s_and_saveexec_b64 s[34:35], vcc
	s_xor_b64 vcc, exec, s[34:35]
; %bb.2262:                             ;   in Loop: Header=BB4_2066 Depth=4
	v_or_b32_sdwa v34, v0, s44 dst_sel:DWORD dst_unused:UNUSED_PAD src0_sel:BYTE_3 src1_sel:DWORD
                                        ; implicit-def: $vgpr0
; %bb.2263:                             ;   in Loop: Header=BB4_2066 Depth=4
	s_andn2_saveexec_b64 s[34:35], vcc
; %bb.2264:                             ;   in Loop: Header=BB4_2066 Depth=4
	v_cmp_lt_i32_e32 vcc, -1, v0
	v_mov_b32_e32 v0, 0x7c
	v_cndmask_b32_e32 v34, -4, v0, vcc
; %bb.2265:                             ;   in Loop: Header=BB4_2066 Depth=4
	s_or_b64 exec, exec, s[34:35]
.LBB4_2266:                             ;   in Loop: Header=BB4_2066 Depth=4
	s_or_b64 exec, exec, s[28:29]
	v_cmp_ne_u16_e32 vcc, 0, v58
	v_mov_b32_e32 v0, 0
	v_mov_b32_e32 v1, 0
	s_and_saveexec_b64 s[28:29], vcc
	s_cbranch_execz .LBB4_2274
; %bb.2267:                             ;   in Loop: Header=BB4_2066 Depth=4
	v_cmp_ne_u16_e32 vcc, s70, v58
	v_bfrev_b32_e32 v1, 1
	s_and_saveexec_b64 s[34:35], vcc
	s_cbranch_execz .LBB4_2273
; %bb.2268:                             ;   in Loop: Header=BB4_2066 Depth=4
	v_and_b32_e32 v1, 0x7c, v58
	v_and_b32_e32 v2, 3, v58
	v_cmp_ne_u32_e32 vcc, s71, v1
                                        ; implicit-def: $vgpr1
	s_and_saveexec_b64 s[36:37], vcc
	s_xor_b64 s[36:37], exec, s[36:37]
	s_cbranch_execz .LBB4_2270
; %bb.2269:                             ;   in Loop: Header=BB4_2066 Depth=4
	v_ffbh_u32_e32 v5, v2
	v_min_u32_e32 v5, 32, v5
	v_and_b32_e32 v1, 0xff, v58
	v_mov_b32_e32 v59, v61
	v_subrev_u32_e32 v25, 29, v5
	v_bfe_u32 v1, v1, 2, 5
	v_lshlrev_b64 v[35:36], v25, v[58:59]
	v_sub_u32_e32 v5, 30, v5
	v_cmp_eq_u32_e32 vcc, 0, v1
	v_and_b32_e32 v25, 3, v35
	v_cndmask_b32_e32 v1, v1, v5, vcc
	v_and_b32_sdwa v5, sext(v58), s80 dst_sel:DWORD dst_unused:UNUSED_PAD src0_sel:WORD_0 src1_sel:DWORD
	v_cndmask_b32_e32 v2, v2, v25, vcc
	v_lshl_add_u32 v1, v1, 23, v5
	v_lshl_or_b32 v1, v2, 21, v1
	v_add_u32_e32 v1, 0x38000000, v1
                                        ; implicit-def: $vgpr2
                                        ; implicit-def: $vgpr58
.LBB4_2270:                             ;   in Loop: Header=BB4_2066 Depth=4
	s_andn2_saveexec_b64 s[36:37], s[36:37]
; %bb.2271:                             ;   in Loop: Header=BB4_2066 Depth=4
	v_cmp_lt_i16_e32 vcc, -1, v58
	v_mov_b32_e32 v1, 0xff800000
	v_cndmask_b32_e32 v1, v1, v47, vcc
	v_cmp_eq_u32_e32 vcc, 0, v2
	v_mov_b32_e32 v2, 0x7f800001
	v_cndmask_b32_e32 v1, v2, v1, vcc
; %bb.2272:                             ;   in Loop: Header=BB4_2066 Depth=4
	s_or_b64 exec, exec, s[36:37]
.LBB4_2273:                             ;   in Loop: Header=BB4_2066 Depth=4
	s_or_b64 exec, exec, s[34:35]
.LBB4_2274:                             ;   in Loop: Header=BB4_2066 Depth=4
	s_or_b64 exec, exec, s[28:29]
	v_cmp_ne_u16_e32 vcc, 0, v50
	s_and_saveexec_b64 s[28:29], vcc
	s_cbranch_execz .LBB4_2282
; %bb.2275:                             ;   in Loop: Header=BB4_2066 Depth=4
	v_cmp_ne_u16_e32 vcc, s70, v50
	v_bfrev_b32_e32 v0, 1
	s_and_saveexec_b64 s[34:35], vcc
	s_cbranch_execz .LBB4_2281
; %bb.2276:                             ;   in Loop: Header=BB4_2066 Depth=4
	v_and_b32_e32 v0, 0x7c, v50
	v_and_b32_e32 v2, 3, v50
	v_cmp_ne_u32_e32 vcc, s71, v0
                                        ; implicit-def: $vgpr0
	s_and_saveexec_b64 s[36:37], vcc
	s_xor_b64 s[36:37], exec, s[36:37]
	s_cbranch_execz .LBB4_2278
; %bb.2277:                             ;   in Loop: Header=BB4_2066 Depth=4
	v_ffbh_u32_e32 v5, v2
	v_min_u32_e32 v5, 32, v5
	v_and_b32_e32 v0, 0xff, v50
	v_mov_b32_e32 v51, v61
	v_subrev_u32_e32 v25, 29, v5
	v_bfe_u32 v0, v0, 2, 5
	v_lshlrev_b64 v[35:36], v25, v[50:51]
	v_sub_u32_e32 v5, 30, v5
	v_cmp_eq_u32_e32 vcc, 0, v0
	v_and_b32_e32 v25, 3, v35
	v_cndmask_b32_e32 v0, v0, v5, vcc
	v_and_b32_sdwa v5, sext(v50), s80 dst_sel:DWORD dst_unused:UNUSED_PAD src0_sel:WORD_0 src1_sel:DWORD
	v_cndmask_b32_e32 v2, v2, v25, vcc
	v_lshl_add_u32 v0, v0, 23, v5
	v_lshl_or_b32 v0, v2, 21, v0
	v_add_u32_e32 v0, 0x38000000, v0
                                        ; implicit-def: $vgpr2
                                        ; implicit-def: $vgpr50
.LBB4_2278:                             ;   in Loop: Header=BB4_2066 Depth=4
	s_andn2_saveexec_b64 s[36:37], s[36:37]
; %bb.2279:                             ;   in Loop: Header=BB4_2066 Depth=4
	v_cmp_lt_i16_e32 vcc, -1, v50
	v_mov_b32_e32 v0, 0xff800000
	v_cndmask_b32_e32 v0, v0, v47, vcc
	v_cmp_eq_u32_e32 vcc, 0, v2
	v_mov_b32_e32 v2, 0x7f800001
	v_cndmask_b32_e32 v0, v2, v0, vcc
; %bb.2280:                             ;   in Loop: Header=BB4_2066 Depth=4
	s_or_b64 exec, exec, s[36:37]
.LBB4_2281:                             ;   in Loop: Header=BB4_2066 Depth=4
	s_or_b64 exec, exec, s[34:35]
.LBB4_2282:                             ;   in Loop: Header=BB4_2066 Depth=4
	s_or_b64 exec, exec, s[28:29]
	v_mul_f32_e32 v0, v1, v0
	v_and_b32_e32 v1, 0x7f800000, v0
	v_mov_b32_e32 v2, v61
	v_cmp_ne_u64_e32 vcc, s[62:63], v[1:2]
	v_and_b32_e32 v60, 0x7fffff, v0
                                        ; implicit-def: $vgpr35
	s_and_saveexec_b64 s[28:29], vcc
	s_xor_b64 s[34:35], exec, s[28:29]
	s_cbranch_execz .LBB4_2300
; %bb.2283:                             ;   in Loop: Header=BB4_2066 Depth=4
	v_and_b32_e32 v1, 0x7fffffff, v0
	v_mov_b32_e32 v2, v61
	v_cmp_gt_u64_e32 vcc, s[78:79], v[1:2]
	v_and_b32_sdwa v5, v0, s81 dst_sel:DWORD dst_unused:UNUSED_PAD src0_sel:BYTE_3 src1_sel:DWORD
                                        ; implicit-def: $vgpr35
	s_and_saveexec_b64 s[28:29], vcc
	s_xor_b64 s[36:37], exec, s[28:29]
	s_cbranch_execz .LBB4_2297
; %bb.2284:                             ;   in Loop: Header=BB4_2066 Depth=4
	v_cmp_ne_u32_e32 vcc, 0, v0
	v_mov_b32_e32 v35, 0
	s_and_saveexec_b64 s[38:39], vcc
	s_cbranch_execz .LBB4_2296
; %bb.2285:                             ;   in Loop: Header=BB4_2066 Depth=4
	v_bfe_u32 v25, v0, 23, 8
	v_cmp_gt_u32_e64 s[28:29], s47, v25
	v_sub_u32_e32 v0, 0x71, v25
	v_cmp_eq_u32_e32 vcc, 0, v25
	v_cndmask_b32_e64 v0, 0, v0, s[28:29]
	v_mov_b32_e32 v2, 0x70
	v_cndmask_b32_e32 v31, v0, v2, vcc
	v_or_b32_e32 v1, 0x800000, v60
	v_add_u32_e32 v0, 21, v31
	v_cndmask_b32_e32 v60, v1, v60, vcc
	v_lshlrev_b64 v[0:1], v0, -1
	v_add_u32_e32 v2, 20, v31
	v_lshlrev_b64 v[35:36], v2, 1
	v_bfi_b32 v1, v1, 0, 0
	v_bfi_b32 v0, v0, 0, v60
	v_cmp_eq_u64_e64 s[28:29], v[0:1], v[35:36]
	v_lshrrev_b64 v[0:1], v31, v[60:61]
	v_mov_b32_e32 v2, v1
	v_mov_b32_e32 v1, v0
	s_and_saveexec_b64 s[48:49], s[28:29]
; %bb.2286:                             ;   in Loop: Header=BB4_2066 Depth=4
	v_bfe_u32 v1, v0, 21, 1
	v_add_co_u32_e64 v1, s[28:29], v0, v1
	v_add_co_u32_e64 v1, s[28:29], -1, v1
; %bb.2287:                             ;   in Loop: Header=BB4_2066 Depth=4
	s_or_b64 exec, exec, s[48:49]
	v_add_u32_e32 v2, 0xffffff81, v25
	v_mov_b32_e32 v25, 0xffffff82
	v_cndmask_b32_e32 v2, v2, v25, vcc
	v_lshrrev_b32_e32 v25, 23, v0
	v_add3_u32 v31, v31, v2, v25
	v_add_u32_e32 v25, 14, v31
	v_and_b32_e32 v1, 0x1fffff, v1
	v_add_u32_e32 v60, v1, v0
	v_cmp_ne_u32_e32 vcc, 0, v25
                                        ; implicit-def: $vgpr0_vgpr1
                                        ; implicit-def: $vgpr2
	s_and_saveexec_b64 s[28:29], vcc
	s_xor_b64 s[28:29], exec, s[28:29]
; %bb.2288:                             ;   in Loop: Header=BB4_2066 Depth=4
	v_cmp_lt_u64_e32 vcc, s[88:89], v[60:61]
	v_add_u32_e32 v0, 15, v31
	v_cndmask_b32_e32 v2, v25, v0, vcc
	v_cndmask_b32_e64 v0, 0, 1, vcc
	v_lshrrev_b64 v[0:1], v0, v[60:61]
; %bb.2289:                             ;   in Loop: Header=BB4_2066 Depth=4
	s_andn2_saveexec_b64 s[28:29], s[28:29]
; %bb.2290:                             ;   in Loop: Header=BB4_2066 Depth=4
	v_mov_b32_e32 v0, v60
	v_bfe_u32 v2, v60, 23, 1
	v_mov_b32_e32 v1, v61
; %bb.2291:                             ;   in Loop: Header=BB4_2066 Depth=4
	s_or_b64 exec, exec, s[28:29]
	v_lshrrev_b64 v[0:1], 21, v[0:1]
	v_cmp_gt_i32_e32 vcc, 32, v2
	v_cndmask_b32_e32 v1, 0, v1, vcc
	v_cndmask_b32_e32 v0, 3, v0, vcc
	v_cmp_ne_u64_e32 vcc, 0, v[0:1]
	v_cmp_ne_u32_e64 s[28:29], 0, v2
	s_or_b64 s[28:29], s[28:29], vcc
                                        ; implicit-def: $vgpr35
	s_and_saveexec_b64 vcc, s[28:29]
	s_xor_b64 s[28:29], exec, vcc
; %bb.2292:                             ;   in Loop: Header=BB4_2066 Depth=4
	v_min_i32_e32 v1, 31, v2
	v_lshl_or_b32 v1, v1, 2, v5
	v_and_or_b32 v35, v0, 3, v1
                                        ; implicit-def: $vgpr5
; %bb.2293:                             ;   in Loop: Header=BB4_2066 Depth=4
	s_andn2_saveexec_b64 s[28:29], s[28:29]
; %bb.2294:                             ;   in Loop: Header=BB4_2066 Depth=4
	v_mov_b32_e32 v35, v5
; %bb.2295:                             ;   in Loop: Header=BB4_2066 Depth=4
	s_or_b64 exec, exec, s[28:29]
.LBB4_2296:                             ;   in Loop: Header=BB4_2066 Depth=4
	s_or_b64 exec, exec, s[38:39]
                                        ; implicit-def: $vgpr5
.LBB4_2297:                             ;   in Loop: Header=BB4_2066 Depth=4
	s_andn2_saveexec_b64 s[28:29], s[36:37]
; %bb.2298:                             ;   in Loop: Header=BB4_2066 Depth=4
	v_or_b32_e32 v35, 0x7b, v5
; %bb.2299:                             ;   in Loop: Header=BB4_2066 Depth=4
	s_or_b64 exec, exec, s[28:29]
                                        ; implicit-def: $vgpr0
.LBB4_2300:                             ;   in Loop: Header=BB4_2066 Depth=4
	s_andn2_saveexec_b64 s[28:29], s[34:35]
	s_cbranch_execz .LBB4_2306
; %bb.2301:                             ;   in Loop: Header=BB4_2066 Depth=4
	v_cmp_ne_u64_e32 vcc, 0, v[60:61]
                                        ; implicit-def: $vgpr35
	s_and_saveexec_b64 s[34:35], vcc
	s_xor_b64 vcc, exec, s[34:35]
; %bb.2302:                             ;   in Loop: Header=BB4_2066 Depth=4
	v_or_b32_sdwa v35, v0, s44 dst_sel:DWORD dst_unused:UNUSED_PAD src0_sel:BYTE_3 src1_sel:DWORD
                                        ; implicit-def: $vgpr0
; %bb.2303:                             ;   in Loop: Header=BB4_2066 Depth=4
	s_andn2_saveexec_b64 s[34:35], vcc
; %bb.2304:                             ;   in Loop: Header=BB4_2066 Depth=4
	v_cmp_lt_i32_e32 vcc, -1, v0
	v_mov_b32_e32 v0, 0x7c
	v_cndmask_b32_e32 v35, -4, v0, vcc
; %bb.2305:                             ;   in Loop: Header=BB4_2066 Depth=4
	s_or_b64 exec, exec, s[34:35]
.LBB4_2306:                             ;   in Loop: Header=BB4_2066 Depth=4
	s_or_b64 exec, exec, s[28:29]
	v_cmp_ne_u16_e32 vcc, 0, v4
	v_mov_b32_e32 v0, 0
	v_mov_b32_e32 v1, 0
	s_and_saveexec_b64 s[28:29], vcc
	s_cbranch_execz .LBB4_2314
; %bb.2307:                             ;   in Loop: Header=BB4_2066 Depth=4
	v_cmp_ne_u16_e32 vcc, s70, v4
	v_bfrev_b32_e32 v1, 1
	s_and_saveexec_b64 s[34:35], vcc
	s_cbranch_execz .LBB4_2313
; %bb.2308:                             ;   in Loop: Header=BB4_2066 Depth=4
	v_and_b32_e32 v1, 0x7c, v4
	v_and_b32_e32 v2, 3, v4
	v_cmp_ne_u32_e32 vcc, s71, v1
                                        ; implicit-def: $vgpr1
	s_and_saveexec_b64 s[36:37], vcc
	s_xor_b64 s[36:37], exec, s[36:37]
	s_cbranch_execz .LBB4_2310
; %bb.2309:                             ;   in Loop: Header=BB4_2066 Depth=4
	v_ffbh_u32_e32 v25, v2
	v_min_u32_e32 v25, 32, v25
	v_and_b32_e32 v1, 0xff, v4
	v_mov_b32_e32 v5, v61
	v_subrev_u32_e32 v31, 29, v25
	v_bfe_u32 v1, v1, 2, 5
	v_lshlrev_b64 v[36:37], v31, v[4:5]
	v_sub_u32_e32 v5, 30, v25
	v_cmp_eq_u32_e32 vcc, 0, v1
	v_and_b32_e32 v25, 3, v36
	v_cndmask_b32_e32 v1, v1, v5, vcc
	v_and_b32_sdwa v4, sext(v4), s80 dst_sel:DWORD dst_unused:UNUSED_PAD src0_sel:WORD_0 src1_sel:DWORD
	v_cndmask_b32_e32 v2, v2, v25, vcc
	v_lshl_add_u32 v1, v1, 23, v4
	v_lshl_or_b32 v1, v2, 21, v1
	v_add_u32_e32 v1, 0x38000000, v1
                                        ; implicit-def: $vgpr2
                                        ; implicit-def: $vgpr4
.LBB4_2310:                             ;   in Loop: Header=BB4_2066 Depth=4
	s_andn2_saveexec_b64 s[36:37], s[36:37]
; %bb.2311:                             ;   in Loop: Header=BB4_2066 Depth=4
	v_cmp_lt_i16_e32 vcc, -1, v4
	v_mov_b32_e32 v1, 0xff800000
	v_cndmask_b32_e32 v1, v1, v47, vcc
	v_cmp_eq_u32_e32 vcc, 0, v2
	v_mov_b32_e32 v2, 0x7f800001
	v_cndmask_b32_e32 v1, v2, v1, vcc
; %bb.2312:                             ;   in Loop: Header=BB4_2066 Depth=4
	s_or_b64 exec, exec, s[36:37]
.LBB4_2313:                             ;   in Loop: Header=BB4_2066 Depth=4
	s_or_b64 exec, exec, s[34:35]
.LBB4_2314:                             ;   in Loop: Header=BB4_2066 Depth=4
	s_or_b64 exec, exec, s[28:29]
	v_cmp_ne_u16_e32 vcc, 0, v52
	s_and_saveexec_b64 s[28:29], vcc
	s_cbranch_execz .LBB4_2322
; %bb.2315:                             ;   in Loop: Header=BB4_2066 Depth=4
	v_cmp_ne_u16_e32 vcc, s70, v52
	v_bfrev_b32_e32 v0, 1
	s_and_saveexec_b64 s[34:35], vcc
	s_cbranch_execz .LBB4_2321
; %bb.2316:                             ;   in Loop: Header=BB4_2066 Depth=4
	v_and_b32_e32 v0, 0x7c, v52
	v_and_b32_e32 v2, 3, v52
	v_cmp_ne_u32_e32 vcc, s71, v0
                                        ; implicit-def: $vgpr0
	s_and_saveexec_b64 s[36:37], vcc
	s_xor_b64 s[36:37], exec, s[36:37]
	s_cbranch_execz .LBB4_2318
; %bb.2317:                             ;   in Loop: Header=BB4_2066 Depth=4
	v_ffbh_u32_e32 v4, v2
	v_min_u32_e32 v25, 32, v4
	v_mov_b32_e32 v53, v61
	v_subrev_u32_e32 v4, 29, v25
	v_and_b32_e32 v0, 0xff, v52
	v_lshlrev_b64 v[4:5], v4, v[52:53]
	v_bfe_u32 v0, v0, 2, 5
	v_sub_u32_e32 v5, 30, v25
	v_and_b32_e32 v4, 3, v4
	v_cmp_eq_u32_e32 vcc, 0, v0
	v_cndmask_b32_e32 v0, v0, v5, vcc
	v_cndmask_b32_e32 v2, v2, v4, vcc
	v_and_b32_sdwa v4, sext(v52), s80 dst_sel:DWORD dst_unused:UNUSED_PAD src0_sel:WORD_0 src1_sel:DWORD
	v_lshl_add_u32 v0, v0, 23, v4
	v_lshl_or_b32 v0, v2, 21, v0
	v_add_u32_e32 v0, 0x38000000, v0
                                        ; implicit-def: $vgpr2
                                        ; implicit-def: $vgpr52
.LBB4_2318:                             ;   in Loop: Header=BB4_2066 Depth=4
	s_andn2_saveexec_b64 s[36:37], s[36:37]
; %bb.2319:                             ;   in Loop: Header=BB4_2066 Depth=4
	v_cmp_lt_i16_e32 vcc, -1, v52
	v_mov_b32_e32 v0, 0xff800000
	v_cndmask_b32_e32 v0, v0, v47, vcc
	v_cmp_eq_u32_e32 vcc, 0, v2
	v_mov_b32_e32 v2, 0x7f800001
	v_cndmask_b32_e32 v0, v2, v0, vcc
; %bb.2320:                             ;   in Loop: Header=BB4_2066 Depth=4
	s_or_b64 exec, exec, s[36:37]
.LBB4_2321:                             ;   in Loop: Header=BB4_2066 Depth=4
	s_or_b64 exec, exec, s[34:35]
.LBB4_2322:                             ;   in Loop: Header=BB4_2066 Depth=4
	s_or_b64 exec, exec, s[28:29]
	v_mul_f32_e32 v0, v1, v0
	v_and_b32_e32 v1, 0x7f800000, v0
	v_mov_b32_e32 v2, v61
	v_cmp_ne_u64_e32 vcc, s[62:63], v[1:2]
	v_and_b32_e32 v60, 0x7fffff, v0
                                        ; implicit-def: $vgpr4
	s_and_saveexec_b64 s[28:29], vcc
	s_xor_b64 s[34:35], exec, s[28:29]
	s_cbranch_execz .LBB4_2340
; %bb.2323:                             ;   in Loop: Header=BB4_2066 Depth=4
	v_and_b32_e32 v1, 0x7fffffff, v0
	v_mov_b32_e32 v2, v61
	v_cmp_gt_u64_e32 vcc, s[78:79], v[1:2]
	v_and_b32_sdwa v5, v0, s81 dst_sel:DWORD dst_unused:UNUSED_PAD src0_sel:BYTE_3 src1_sel:DWORD
                                        ; implicit-def: $vgpr4
	s_and_saveexec_b64 s[28:29], vcc
	s_xor_b64 s[36:37], exec, s[28:29]
	s_cbranch_execz .LBB4_2337
; %bb.2324:                             ;   in Loop: Header=BB4_2066 Depth=4
	v_cmp_ne_u32_e32 vcc, 0, v0
	v_mov_b32_e32 v4, 0
	s_and_saveexec_b64 s[38:39], vcc
	s_cbranch_execz .LBB4_2336
; %bb.2325:                             ;   in Loop: Header=BB4_2066 Depth=4
	v_bfe_u32 v4, v0, 23, 8
	v_cmp_gt_u32_e64 s[28:29], s47, v4
	v_sub_u32_e32 v0, 0x71, v4
	v_cmp_eq_u32_e32 vcc, 0, v4
	v_cndmask_b32_e64 v0, 0, v0, s[28:29]
	v_mov_b32_e32 v2, 0x70
	v_cndmask_b32_e32 v25, v0, v2, vcc
	v_or_b32_e32 v1, 0x800000, v60
	v_add_u32_e32 v0, 21, v25
	v_cndmask_b32_e32 v60, v1, v60, vcc
	v_lshlrev_b64 v[0:1], v0, -1
	v_add_u32_e32 v2, 20, v25
	v_lshlrev_b64 v[36:37], v2, 1
	v_bfi_b32 v1, v1, 0, 0
	v_bfi_b32 v0, v0, 0, v60
	v_cmp_eq_u64_e64 s[28:29], v[0:1], v[36:37]
	v_lshrrev_b64 v[0:1], v25, v[60:61]
	v_mov_b32_e32 v2, v1
	v_mov_b32_e32 v1, v0
	s_and_saveexec_b64 s[48:49], s[28:29]
; %bb.2326:                             ;   in Loop: Header=BB4_2066 Depth=4
	v_bfe_u32 v1, v0, 21, 1
	v_add_co_u32_e64 v1, s[28:29], v0, v1
	v_add_co_u32_e64 v1, s[28:29], -1, v1
; %bb.2327:                             ;   in Loop: Header=BB4_2066 Depth=4
	s_or_b64 exec, exec, s[48:49]
	v_add_u32_e32 v2, 0xffffff81, v4
	v_mov_b32_e32 v4, 0xffffff82
	v_cndmask_b32_e32 v2, v2, v4, vcc
	v_lshrrev_b32_e32 v4, 23, v0
	v_add3_u32 v25, v25, v2, v4
	v_add_u32_e32 v4, 14, v25
	v_and_b32_e32 v1, 0x1fffff, v1
	v_add_u32_e32 v60, v1, v0
	v_cmp_ne_u32_e32 vcc, 0, v4
                                        ; implicit-def: $vgpr0_vgpr1
                                        ; implicit-def: $vgpr2
	s_and_saveexec_b64 s[28:29], vcc
	s_xor_b64 s[28:29], exec, s[28:29]
; %bb.2328:                             ;   in Loop: Header=BB4_2066 Depth=4
	v_cmp_lt_u64_e32 vcc, s[88:89], v[60:61]
	v_add_u32_e32 v0, 15, v25
	v_cndmask_b32_e32 v2, v4, v0, vcc
	v_cndmask_b32_e64 v0, 0, 1, vcc
	v_lshrrev_b64 v[0:1], v0, v[60:61]
; %bb.2329:                             ;   in Loop: Header=BB4_2066 Depth=4
	s_andn2_saveexec_b64 s[28:29], s[28:29]
; %bb.2330:                             ;   in Loop: Header=BB4_2066 Depth=4
	v_mov_b32_e32 v0, v60
	v_bfe_u32 v2, v60, 23, 1
	v_mov_b32_e32 v1, v61
; %bb.2331:                             ;   in Loop: Header=BB4_2066 Depth=4
	s_or_b64 exec, exec, s[28:29]
	v_lshrrev_b64 v[0:1], 21, v[0:1]
	v_cmp_gt_i32_e32 vcc, 32, v2
	v_cndmask_b32_e32 v1, 0, v1, vcc
	v_cndmask_b32_e32 v0, 3, v0, vcc
	v_cmp_ne_u64_e32 vcc, 0, v[0:1]
	v_cmp_ne_u32_e64 s[28:29], 0, v2
	s_or_b64 s[28:29], s[28:29], vcc
                                        ; implicit-def: $vgpr4
	s_and_saveexec_b64 vcc, s[28:29]
	s_xor_b64 s[28:29], exec, vcc
; %bb.2332:                             ;   in Loop: Header=BB4_2066 Depth=4
	v_min_i32_e32 v1, 31, v2
	v_lshl_or_b32 v1, v1, 2, v5
	v_and_or_b32 v4, v0, 3, v1
                                        ; implicit-def: $vgpr5
; %bb.2333:                             ;   in Loop: Header=BB4_2066 Depth=4
	s_andn2_saveexec_b64 s[28:29], s[28:29]
; %bb.2334:                             ;   in Loop: Header=BB4_2066 Depth=4
	v_mov_b32_e32 v4, v5
; %bb.2335:                             ;   in Loop: Header=BB4_2066 Depth=4
	s_or_b64 exec, exec, s[28:29]
.LBB4_2336:                             ;   in Loop: Header=BB4_2066 Depth=4
	s_or_b64 exec, exec, s[38:39]
                                        ; implicit-def: $vgpr5
.LBB4_2337:                             ;   in Loop: Header=BB4_2066 Depth=4
	s_andn2_saveexec_b64 s[28:29], s[36:37]
; %bb.2338:                             ;   in Loop: Header=BB4_2066 Depth=4
	v_or_b32_e32 v4, 0x7b, v5
; %bb.2339:                             ;   in Loop: Header=BB4_2066 Depth=4
	s_or_b64 exec, exec, s[28:29]
                                        ; implicit-def: $vgpr0
.LBB4_2340:                             ;   in Loop: Header=BB4_2066 Depth=4
	s_andn2_saveexec_b64 s[28:29], s[34:35]
	s_cbranch_execz .LBB4_2346
; %bb.2341:                             ;   in Loop: Header=BB4_2066 Depth=4
	v_cmp_ne_u64_e32 vcc, 0, v[60:61]
                                        ; implicit-def: $vgpr4
	s_and_saveexec_b64 s[34:35], vcc
	s_xor_b64 vcc, exec, s[34:35]
; %bb.2342:                             ;   in Loop: Header=BB4_2066 Depth=4
	v_or_b32_sdwa v4, v0, s44 dst_sel:DWORD dst_unused:UNUSED_PAD src0_sel:BYTE_3 src1_sel:DWORD
                                        ; implicit-def: $vgpr0
; %bb.2343:                             ;   in Loop: Header=BB4_2066 Depth=4
	s_andn2_saveexec_b64 s[34:35], vcc
; %bb.2344:                             ;   in Loop: Header=BB4_2066 Depth=4
	v_cmp_lt_i32_e32 vcc, -1, v0
	v_mov_b32_e32 v0, 0x7c
	v_cndmask_b32_e32 v4, -4, v0, vcc
; %bb.2345:                             ;   in Loop: Header=BB4_2066 Depth=4
	s_or_b64 exec, exec, s[34:35]
.LBB4_2346:                             ;   in Loop: Header=BB4_2066 Depth=4
	s_or_b64 exec, exec, s[28:29]
	v_cmp_ne_u16_e32 vcc, 0, v24
	v_mov_b32_e32 v0, 0
	v_mov_b32_e32 v1, 0
	s_and_saveexec_b64 s[28:29], vcc
	s_cbranch_execz .LBB4_2354
; %bb.2347:                             ;   in Loop: Header=BB4_2066 Depth=4
	v_cmp_ne_u16_e32 vcc, s70, v24
	v_bfrev_b32_e32 v1, 1
	s_and_saveexec_b64 s[34:35], vcc
	s_cbranch_execz .LBB4_2353
; %bb.2348:                             ;   in Loop: Header=BB4_2066 Depth=4
	v_and_b32_e32 v1, 0x7c, v24
	v_and_b32_e32 v2, 3, v24
	v_cmp_ne_u32_e32 vcc, s71, v1
                                        ; implicit-def: $vgpr1
	s_and_saveexec_b64 s[36:37], vcc
	s_xor_b64 s[36:37], exec, s[36:37]
	s_cbranch_execz .LBB4_2350
; %bb.2349:                             ;   in Loop: Header=BB4_2066 Depth=4
	v_ffbh_u32_e32 v5, v2
	v_min_u32_e32 v5, 32, v5
	v_and_b32_e32 v1, 0xff, v24
	v_mov_b32_e32 v25, v61
	v_subrev_u32_e32 v31, 29, v5
	v_bfe_u32 v1, v1, 2, 5
	v_lshlrev_b64 v[36:37], v31, v[24:25]
	v_sub_u32_e32 v5, 30, v5
	v_cmp_eq_u32_e32 vcc, 0, v1
	v_and_b32_e32 v25, 3, v36
	v_cndmask_b32_e32 v1, v1, v5, vcc
	v_and_b32_sdwa v5, sext(v24), s80 dst_sel:DWORD dst_unused:UNUSED_PAD src0_sel:WORD_0 src1_sel:DWORD
	v_cndmask_b32_e32 v2, v2, v25, vcc
	v_lshl_add_u32 v1, v1, 23, v5
	v_lshl_or_b32 v1, v2, 21, v1
	v_add_u32_e32 v1, 0x38000000, v1
                                        ; implicit-def: $vgpr2
                                        ; implicit-def: $vgpr24
.LBB4_2350:                             ;   in Loop: Header=BB4_2066 Depth=4
	s_andn2_saveexec_b64 s[36:37], s[36:37]
; %bb.2351:                             ;   in Loop: Header=BB4_2066 Depth=4
	v_cmp_lt_i16_e32 vcc, -1, v24
	v_mov_b32_e32 v1, 0xff800000
	v_cndmask_b32_e32 v1, v1, v47, vcc
	v_cmp_eq_u32_e32 vcc, 0, v2
	v_mov_b32_e32 v2, 0x7f800001
	v_cndmask_b32_e32 v1, v2, v1, vcc
; %bb.2352:                             ;   in Loop: Header=BB4_2066 Depth=4
	s_or_b64 exec, exec, s[36:37]
.LBB4_2353:                             ;   in Loop: Header=BB4_2066 Depth=4
	s_or_b64 exec, exec, s[34:35]
.LBB4_2354:                             ;   in Loop: Header=BB4_2066 Depth=4
	s_or_b64 exec, exec, s[28:29]
	v_cmp_ne_u16_e32 vcc, 0, v23
	s_and_saveexec_b64 s[28:29], vcc
	s_cbranch_execz .LBB4_2362
; %bb.2355:                             ;   in Loop: Header=BB4_2066 Depth=4
	v_cmp_ne_u16_e32 vcc, s70, v23
	v_bfrev_b32_e32 v0, 1
	s_and_saveexec_b64 s[34:35], vcc
	s_cbranch_execz .LBB4_2361
; %bb.2356:                             ;   in Loop: Header=BB4_2066 Depth=4
	v_and_b32_e32 v0, 0x7c, v23
	v_and_b32_e32 v2, 3, v23
	v_cmp_ne_u32_e32 vcc, s71, v0
                                        ; implicit-def: $vgpr0
	s_and_saveexec_b64 s[36:37], vcc
	s_xor_b64 s[36:37], exec, s[36:37]
	s_cbranch_execz .LBB4_2358
; %bb.2357:                             ;   in Loop: Header=BB4_2066 Depth=4
	v_ffbh_u32_e32 v5, v2
	v_min_u32_e32 v5, 32, v5
	v_and_b32_e32 v0, 0xff, v23
	v_mov_b32_e32 v24, v61
	v_subrev_u32_e32 v25, 29, v5
	v_bfe_u32 v0, v0, 2, 5
	v_lshlrev_b64 v[24:25], v25, v[23:24]
	v_sub_u32_e32 v5, 30, v5
	v_cmp_eq_u32_e32 vcc, 0, v0
	v_and_b32_e32 v24, 3, v24
	v_cndmask_b32_e32 v0, v0, v5, vcc
	v_and_b32_sdwa v5, sext(v23), s80 dst_sel:DWORD dst_unused:UNUSED_PAD src0_sel:WORD_0 src1_sel:DWORD
	v_cndmask_b32_e32 v2, v2, v24, vcc
	v_lshl_add_u32 v0, v0, 23, v5
	v_lshl_or_b32 v0, v2, 21, v0
	v_add_u32_e32 v0, 0x38000000, v0
                                        ; implicit-def: $vgpr2
                                        ; implicit-def: $vgpr23
.LBB4_2358:                             ;   in Loop: Header=BB4_2066 Depth=4
	s_andn2_saveexec_b64 s[36:37], s[36:37]
; %bb.2359:                             ;   in Loop: Header=BB4_2066 Depth=4
	v_cmp_lt_i16_e32 vcc, -1, v23
	v_mov_b32_e32 v0, 0xff800000
	v_cndmask_b32_e32 v0, v0, v47, vcc
	v_cmp_eq_u32_e32 vcc, 0, v2
	v_mov_b32_e32 v2, 0x7f800001
	v_cndmask_b32_e32 v0, v2, v0, vcc
; %bb.2360:                             ;   in Loop: Header=BB4_2066 Depth=4
	s_or_b64 exec, exec, s[36:37]
.LBB4_2361:                             ;   in Loop: Header=BB4_2066 Depth=4
	s_or_b64 exec, exec, s[34:35]
.LBB4_2362:                             ;   in Loop: Header=BB4_2066 Depth=4
	s_or_b64 exec, exec, s[28:29]
	v_mul_f32_e32 v0, v1, v0
	v_and_b32_e32 v1, 0x7f800000, v0
	v_mov_b32_e32 v2, v61
	v_cmp_ne_u64_e32 vcc, s[62:63], v[1:2]
	v_and_b32_e32 v60, 0x7fffff, v0
                                        ; implicit-def: $vgpr5
	s_and_saveexec_b64 s[28:29], vcc
	s_xor_b64 s[34:35], exec, s[28:29]
	s_cbranch_execz .LBB4_2380
; %bb.2363:                             ;   in Loop: Header=BB4_2066 Depth=4
	v_and_b32_e32 v1, 0x7fffffff, v0
	v_mov_b32_e32 v2, v61
	v_cmp_gt_u64_e32 vcc, s[78:79], v[1:2]
	v_and_b32_sdwa v23, v0, s81 dst_sel:DWORD dst_unused:UNUSED_PAD src0_sel:BYTE_3 src1_sel:DWORD
                                        ; implicit-def: $vgpr5
	s_and_saveexec_b64 s[28:29], vcc
	s_xor_b64 s[36:37], exec, s[28:29]
	s_cbranch_execz .LBB4_2377
; %bb.2364:                             ;   in Loop: Header=BB4_2066 Depth=4
	v_cmp_ne_u32_e32 vcc, 0, v0
	v_mov_b32_e32 v5, 0
	s_and_saveexec_b64 s[38:39], vcc
	s_cbranch_execz .LBB4_2376
; %bb.2365:                             ;   in Loop: Header=BB4_2066 Depth=4
	v_bfe_u32 v5, v0, 23, 8
	v_cmp_gt_u32_e64 s[28:29], s47, v5
	v_sub_u32_e32 v0, 0x71, v5
	v_cmp_eq_u32_e32 vcc, 0, v5
	v_cndmask_b32_e64 v0, 0, v0, s[28:29]
	v_mov_b32_e32 v2, 0x70
	v_cndmask_b32_e32 v24, v0, v2, vcc
	v_or_b32_e32 v1, 0x800000, v60
	v_add_u32_e32 v0, 21, v24
	v_cndmask_b32_e32 v60, v1, v60, vcc
	v_lshlrev_b64 v[0:1], v0, -1
	v_add_u32_e32 v2, 20, v24
	v_lshlrev_b64 v[36:37], v2, 1
	v_bfi_b32 v1, v1, 0, 0
	v_bfi_b32 v0, v0, 0, v60
	v_cmp_eq_u64_e64 s[28:29], v[0:1], v[36:37]
	v_lshrrev_b64 v[0:1], v24, v[60:61]
	v_mov_b32_e32 v2, v1
	v_mov_b32_e32 v1, v0
	s_and_saveexec_b64 s[48:49], s[28:29]
; %bb.2366:                             ;   in Loop: Header=BB4_2066 Depth=4
	v_bfe_u32 v1, v0, 21, 1
	v_add_co_u32_e64 v1, s[28:29], v0, v1
	v_add_co_u32_e64 v1, s[28:29], -1, v1
; %bb.2367:                             ;   in Loop: Header=BB4_2066 Depth=4
	s_or_b64 exec, exec, s[48:49]
	v_add_u32_e32 v2, 0xffffff81, v5
	v_mov_b32_e32 v5, 0xffffff82
	v_cndmask_b32_e32 v2, v2, v5, vcc
	v_lshrrev_b32_e32 v5, 23, v0
	v_add3_u32 v24, v24, v2, v5
	v_add_u32_e32 v5, 14, v24
	v_and_b32_e32 v1, 0x1fffff, v1
	v_add_u32_e32 v60, v1, v0
	v_cmp_ne_u32_e32 vcc, 0, v5
                                        ; implicit-def: $vgpr0_vgpr1
                                        ; implicit-def: $vgpr2
	s_and_saveexec_b64 s[28:29], vcc
	s_xor_b64 s[28:29], exec, s[28:29]
; %bb.2368:                             ;   in Loop: Header=BB4_2066 Depth=4
	v_cmp_lt_u64_e32 vcc, s[88:89], v[60:61]
	v_add_u32_e32 v0, 15, v24
	v_cndmask_b32_e32 v2, v5, v0, vcc
	v_cndmask_b32_e64 v0, 0, 1, vcc
	v_lshrrev_b64 v[0:1], v0, v[60:61]
; %bb.2369:                             ;   in Loop: Header=BB4_2066 Depth=4
	s_andn2_saveexec_b64 s[28:29], s[28:29]
; %bb.2370:                             ;   in Loop: Header=BB4_2066 Depth=4
	v_mov_b32_e32 v0, v60
	v_bfe_u32 v2, v60, 23, 1
	v_mov_b32_e32 v1, v61
; %bb.2371:                             ;   in Loop: Header=BB4_2066 Depth=4
	s_or_b64 exec, exec, s[28:29]
	v_lshrrev_b64 v[0:1], 21, v[0:1]
	v_cmp_gt_i32_e32 vcc, 32, v2
	v_cndmask_b32_e32 v1, 0, v1, vcc
	v_cndmask_b32_e32 v0, 3, v0, vcc
	v_cmp_ne_u64_e32 vcc, 0, v[0:1]
	v_cmp_ne_u32_e64 s[28:29], 0, v2
	s_or_b64 s[28:29], s[28:29], vcc
                                        ; implicit-def: $vgpr5
	s_and_saveexec_b64 vcc, s[28:29]
	s_xor_b64 s[28:29], exec, vcc
; %bb.2372:                             ;   in Loop: Header=BB4_2066 Depth=4
	v_min_i32_e32 v1, 31, v2
	v_lshl_or_b32 v1, v1, 2, v23
	v_and_or_b32 v5, v0, 3, v1
                                        ; implicit-def: $vgpr23
; %bb.2373:                             ;   in Loop: Header=BB4_2066 Depth=4
	s_andn2_saveexec_b64 s[28:29], s[28:29]
; %bb.2374:                             ;   in Loop: Header=BB4_2066 Depth=4
	v_mov_b32_e32 v5, v23
; %bb.2375:                             ;   in Loop: Header=BB4_2066 Depth=4
	s_or_b64 exec, exec, s[28:29]
.LBB4_2376:                             ;   in Loop: Header=BB4_2066 Depth=4
	s_or_b64 exec, exec, s[38:39]
                                        ; implicit-def: $vgpr23
.LBB4_2377:                             ;   in Loop: Header=BB4_2066 Depth=4
	s_andn2_saveexec_b64 s[28:29], s[36:37]
; %bb.2378:                             ;   in Loop: Header=BB4_2066 Depth=4
	v_or_b32_e32 v5, 0x7b, v23
; %bb.2379:                             ;   in Loop: Header=BB4_2066 Depth=4
	s_or_b64 exec, exec, s[28:29]
                                        ; implicit-def: $vgpr0
.LBB4_2380:                             ;   in Loop: Header=BB4_2066 Depth=4
	s_andn2_saveexec_b64 s[28:29], s[34:35]
	s_cbranch_execz .LBB4_2386
; %bb.2381:                             ;   in Loop: Header=BB4_2066 Depth=4
	v_cmp_ne_u64_e32 vcc, 0, v[60:61]
                                        ; implicit-def: $vgpr5
	s_and_saveexec_b64 s[34:35], vcc
	s_xor_b64 vcc, exec, s[34:35]
; %bb.2382:                             ;   in Loop: Header=BB4_2066 Depth=4
	v_or_b32_sdwa v5, v0, s44 dst_sel:DWORD dst_unused:UNUSED_PAD src0_sel:BYTE_3 src1_sel:DWORD
                                        ; implicit-def: $vgpr0
; %bb.2383:                             ;   in Loop: Header=BB4_2066 Depth=4
	s_andn2_saveexec_b64 s[34:35], vcc
; %bb.2384:                             ;   in Loop: Header=BB4_2066 Depth=4
	v_cmp_lt_i32_e32 vcc, -1, v0
	v_mov_b32_e32 v0, 0x7c
	v_cndmask_b32_e32 v5, -4, v0, vcc
; %bb.2385:                             ;   in Loop: Header=BB4_2066 Depth=4
	s_or_b64 exec, exec, s[34:35]
.LBB4_2386:                             ;   in Loop: Header=BB4_2066 Depth=4
	s_or_b64 exec, exec, s[28:29]
	v_cmp_ne_u16_e32 vcc, 0, v57
	v_mov_b32_e32 v0, 0
	v_mov_b32_e32 v1, 0
	s_and_saveexec_b64 s[28:29], vcc
	s_cbranch_execz .LBB4_2394
; %bb.2387:                             ;   in Loop: Header=BB4_2066 Depth=4
	v_cmp_ne_u16_e32 vcc, s70, v57
	v_bfrev_b32_e32 v1, 1
	s_and_saveexec_b64 s[34:35], vcc
	s_cbranch_execz .LBB4_2393
; %bb.2388:                             ;   in Loop: Header=BB4_2066 Depth=4
	v_and_b32_e32 v1, 0x7c, v57
	v_and_b32_e32 v2, 3, v57
	v_cmp_ne_u32_e32 vcc, s71, v1
                                        ; implicit-def: $vgpr1
	s_and_saveexec_b64 s[36:37], vcc
	s_xor_b64 s[36:37], exec, s[36:37]
	s_cbranch_execz .LBB4_2390
; %bb.2389:                             ;   in Loop: Header=BB4_2066 Depth=4
	v_ffbh_u32_e32 v23, v2
	v_min_u32_e32 v25, 32, v23
	v_mov_b32_e32 v58, v61
	v_subrev_u32_e32 v23, 29, v25
	v_and_b32_e32 v1, 0xff, v57
	v_lshlrev_b64 v[23:24], v23, v[57:58]
	v_bfe_u32 v1, v1, 2, 5
	v_sub_u32_e32 v24, 30, v25
	v_and_b32_e32 v23, 3, v23
	v_cmp_eq_u32_e32 vcc, 0, v1
	v_cndmask_b32_e32 v1, v1, v24, vcc
	v_cndmask_b32_e32 v2, v2, v23, vcc
	v_and_b32_sdwa v23, sext(v57), s80 dst_sel:DWORD dst_unused:UNUSED_PAD src0_sel:WORD_0 src1_sel:DWORD
	v_lshl_add_u32 v1, v1, 23, v23
	v_lshl_or_b32 v1, v2, 21, v1
	v_add_u32_e32 v1, 0x38000000, v1
                                        ; implicit-def: $vgpr2
                                        ; implicit-def: $vgpr57
.LBB4_2390:                             ;   in Loop: Header=BB4_2066 Depth=4
	s_andn2_saveexec_b64 s[36:37], s[36:37]
; %bb.2391:                             ;   in Loop: Header=BB4_2066 Depth=4
	v_cmp_lt_i16_e32 vcc, -1, v57
	v_mov_b32_e32 v1, 0xff800000
	v_cndmask_b32_e32 v1, v1, v47, vcc
	v_cmp_eq_u32_e32 vcc, 0, v2
	v_mov_b32_e32 v2, 0x7f800001
	v_cndmask_b32_e32 v1, v2, v1, vcc
; %bb.2392:                             ;   in Loop: Header=BB4_2066 Depth=4
	s_or_b64 exec, exec, s[36:37]
.LBB4_2393:                             ;   in Loop: Header=BB4_2066 Depth=4
	s_or_b64 exec, exec, s[34:35]
.LBB4_2394:                             ;   in Loop: Header=BB4_2066 Depth=4
	s_or_b64 exec, exec, s[28:29]
	v_cmp_ne_u16_e32 vcc, 0, v56
	s_and_saveexec_b64 s[28:29], vcc
	s_cbranch_execz .LBB4_2402
; %bb.2395:                             ;   in Loop: Header=BB4_2066 Depth=4
	v_cmp_ne_u16_e32 vcc, s70, v56
	v_bfrev_b32_e32 v0, 1
	s_and_saveexec_b64 s[34:35], vcc
	s_cbranch_execz .LBB4_2401
; %bb.2396:                             ;   in Loop: Header=BB4_2066 Depth=4
	v_and_b32_e32 v0, 0x7c, v56
	v_and_b32_e32 v2, 3, v56
	v_cmp_ne_u32_e32 vcc, s71, v0
                                        ; implicit-def: $vgpr0
	s_and_saveexec_b64 s[36:37], vcc
	s_xor_b64 s[36:37], exec, s[36:37]
	s_cbranch_execz .LBB4_2398
; %bb.2397:                             ;   in Loop: Header=BB4_2066 Depth=4
	v_ffbh_u32_e32 v23, v2
	v_min_u32_e32 v25, 32, v23
	v_mov_b32_e32 v57, v61
	v_subrev_u32_e32 v23, 29, v25
	v_and_b32_e32 v0, 0xff, v56
	v_lshlrev_b64 v[23:24], v23, v[56:57]
	v_bfe_u32 v0, v0, 2, 5
	v_sub_u32_e32 v24, 30, v25
	v_and_b32_e32 v23, 3, v23
	v_cmp_eq_u32_e32 vcc, 0, v0
	v_cndmask_b32_e32 v0, v0, v24, vcc
	v_cndmask_b32_e32 v2, v2, v23, vcc
	v_and_b32_sdwa v23, sext(v56), s80 dst_sel:DWORD dst_unused:UNUSED_PAD src0_sel:WORD_0 src1_sel:DWORD
	v_lshl_add_u32 v0, v0, 23, v23
	v_lshl_or_b32 v0, v2, 21, v0
	v_add_u32_e32 v0, 0x38000000, v0
                                        ; implicit-def: $vgpr2
                                        ; implicit-def: $vgpr56
.LBB4_2398:                             ;   in Loop: Header=BB4_2066 Depth=4
	s_andn2_saveexec_b64 s[36:37], s[36:37]
; %bb.2399:                             ;   in Loop: Header=BB4_2066 Depth=4
	v_cmp_lt_i16_e32 vcc, -1, v56
	v_mov_b32_e32 v0, 0xff800000
	v_cndmask_b32_e32 v0, v0, v47, vcc
	v_cmp_eq_u32_e32 vcc, 0, v2
	v_mov_b32_e32 v2, 0x7f800001
	v_cndmask_b32_e32 v0, v2, v0, vcc
; %bb.2400:                             ;   in Loop: Header=BB4_2066 Depth=4
	s_or_b64 exec, exec, s[36:37]
.LBB4_2401:                             ;   in Loop: Header=BB4_2066 Depth=4
	s_or_b64 exec, exec, s[34:35]
.LBB4_2402:                             ;   in Loop: Header=BB4_2066 Depth=4
	s_or_b64 exec, exec, s[28:29]
	v_mul_f32_e32 v0, v1, v0
	v_and_b32_e32 v1, 0x7f800000, v0
	v_mov_b32_e32 v2, v61
	v_cmp_ne_u64_e32 vcc, s[62:63], v[1:2]
	v_and_b32_e32 v60, 0x7fffff, v0
                                        ; implicit-def: $vgpr24
	s_and_saveexec_b64 s[28:29], vcc
	s_xor_b64 s[34:35], exec, s[28:29]
	s_cbranch_execz .LBB4_2420
; %bb.2403:                             ;   in Loop: Header=BB4_2066 Depth=4
	v_and_b32_e32 v1, 0x7fffffff, v0
	v_mov_b32_e32 v2, v61
	v_cmp_gt_u64_e32 vcc, s[78:79], v[1:2]
	v_and_b32_sdwa v23, v0, s81 dst_sel:DWORD dst_unused:UNUSED_PAD src0_sel:BYTE_3 src1_sel:DWORD
                                        ; implicit-def: $vgpr24
	s_and_saveexec_b64 s[28:29], vcc
	s_xor_b64 s[36:37], exec, s[28:29]
	s_cbranch_execz .LBB4_2417
; %bb.2404:                             ;   in Loop: Header=BB4_2066 Depth=4
	v_cmp_ne_u32_e32 vcc, 0, v0
	v_mov_b32_e32 v24, 0
	s_and_saveexec_b64 s[38:39], vcc
	s_cbranch_execz .LBB4_2416
; %bb.2405:                             ;   in Loop: Header=BB4_2066 Depth=4
	v_bfe_u32 v24, v0, 23, 8
	v_cmp_gt_u32_e64 s[28:29], s47, v24
	v_sub_u32_e32 v0, 0x71, v24
	v_cmp_eq_u32_e32 vcc, 0, v24
	v_cndmask_b32_e64 v0, 0, v0, s[28:29]
	v_mov_b32_e32 v2, 0x70
	v_cndmask_b32_e32 v25, v0, v2, vcc
	v_or_b32_e32 v1, 0x800000, v60
	v_add_u32_e32 v0, 21, v25
	v_cndmask_b32_e32 v60, v1, v60, vcc
	v_lshlrev_b64 v[0:1], v0, -1
	v_add_u32_e32 v2, 20, v25
	v_lshlrev_b64 v[36:37], v2, 1
	v_bfi_b32 v1, v1, 0, 0
	v_bfi_b32 v0, v0, 0, v60
	v_cmp_eq_u64_e64 s[28:29], v[0:1], v[36:37]
	v_lshrrev_b64 v[0:1], v25, v[60:61]
	v_mov_b32_e32 v2, v1
	v_mov_b32_e32 v1, v0
	s_and_saveexec_b64 s[48:49], s[28:29]
; %bb.2406:                             ;   in Loop: Header=BB4_2066 Depth=4
	v_bfe_u32 v1, v0, 21, 1
	v_add_co_u32_e64 v1, s[28:29], v0, v1
	v_add_co_u32_e64 v1, s[28:29], -1, v1
; %bb.2407:                             ;   in Loop: Header=BB4_2066 Depth=4
	s_or_b64 exec, exec, s[48:49]
	v_add_u32_e32 v2, 0xffffff81, v24
	v_mov_b32_e32 v24, 0xffffff82
	v_cndmask_b32_e32 v2, v2, v24, vcc
	v_lshrrev_b32_e32 v24, 23, v0
	v_add3_u32 v25, v25, v2, v24
	v_add_u32_e32 v24, 14, v25
	v_and_b32_e32 v1, 0x1fffff, v1
	v_add_u32_e32 v60, v1, v0
	v_cmp_ne_u32_e32 vcc, 0, v24
                                        ; implicit-def: $vgpr0_vgpr1
                                        ; implicit-def: $vgpr2
	s_and_saveexec_b64 s[28:29], vcc
	s_xor_b64 s[28:29], exec, s[28:29]
; %bb.2408:                             ;   in Loop: Header=BB4_2066 Depth=4
	v_cmp_lt_u64_e32 vcc, s[88:89], v[60:61]
	v_add_u32_e32 v0, 15, v25
	v_cndmask_b32_e32 v2, v24, v0, vcc
	v_cndmask_b32_e64 v0, 0, 1, vcc
	v_lshrrev_b64 v[0:1], v0, v[60:61]
; %bb.2409:                             ;   in Loop: Header=BB4_2066 Depth=4
	s_andn2_saveexec_b64 s[28:29], s[28:29]
; %bb.2410:                             ;   in Loop: Header=BB4_2066 Depth=4
	v_mov_b32_e32 v0, v60
	v_bfe_u32 v2, v60, 23, 1
	v_mov_b32_e32 v1, v61
; %bb.2411:                             ;   in Loop: Header=BB4_2066 Depth=4
	s_or_b64 exec, exec, s[28:29]
	v_lshrrev_b64 v[0:1], 21, v[0:1]
	v_cmp_gt_i32_e32 vcc, 32, v2
	v_cndmask_b32_e32 v1, 0, v1, vcc
	v_cndmask_b32_e32 v0, 3, v0, vcc
	v_cmp_ne_u64_e32 vcc, 0, v[0:1]
	v_cmp_ne_u32_e64 s[28:29], 0, v2
	s_or_b64 s[28:29], s[28:29], vcc
                                        ; implicit-def: $vgpr24
	s_and_saveexec_b64 vcc, s[28:29]
	s_xor_b64 s[28:29], exec, vcc
; %bb.2412:                             ;   in Loop: Header=BB4_2066 Depth=4
	v_min_i32_e32 v1, 31, v2
	v_lshl_or_b32 v1, v1, 2, v23
	v_and_or_b32 v24, v0, 3, v1
                                        ; implicit-def: $vgpr23
; %bb.2413:                             ;   in Loop: Header=BB4_2066 Depth=4
	s_andn2_saveexec_b64 s[28:29], s[28:29]
; %bb.2414:                             ;   in Loop: Header=BB4_2066 Depth=4
	v_mov_b32_e32 v24, v23
; %bb.2415:                             ;   in Loop: Header=BB4_2066 Depth=4
	s_or_b64 exec, exec, s[28:29]
.LBB4_2416:                             ;   in Loop: Header=BB4_2066 Depth=4
	s_or_b64 exec, exec, s[38:39]
                                        ; implicit-def: $vgpr23
.LBB4_2417:                             ;   in Loop: Header=BB4_2066 Depth=4
	s_andn2_saveexec_b64 s[28:29], s[36:37]
; %bb.2418:                             ;   in Loop: Header=BB4_2066 Depth=4
	v_or_b32_e32 v24, 0x7b, v23
; %bb.2419:                             ;   in Loop: Header=BB4_2066 Depth=4
	s_or_b64 exec, exec, s[28:29]
                                        ; implicit-def: $vgpr0
.LBB4_2420:                             ;   in Loop: Header=BB4_2066 Depth=4
	s_andn2_saveexec_b64 s[28:29], s[34:35]
	s_cbranch_execz .LBB4_2426
; %bb.2421:                             ;   in Loop: Header=BB4_2066 Depth=4
	v_cmp_ne_u64_e32 vcc, 0, v[60:61]
                                        ; implicit-def: $vgpr24
	s_and_saveexec_b64 s[34:35], vcc
	s_xor_b64 vcc, exec, s[34:35]
; %bb.2422:                             ;   in Loop: Header=BB4_2066 Depth=4
	v_or_b32_sdwa v24, v0, s44 dst_sel:DWORD dst_unused:UNUSED_PAD src0_sel:BYTE_3 src1_sel:DWORD
                                        ; implicit-def: $vgpr0
; %bb.2423:                             ;   in Loop: Header=BB4_2066 Depth=4
	s_andn2_saveexec_b64 s[34:35], vcc
; %bb.2424:                             ;   in Loop: Header=BB4_2066 Depth=4
	v_cmp_lt_i32_e32 vcc, -1, v0
	v_mov_b32_e32 v0, 0x7c
	v_cndmask_b32_e32 v24, -4, v0, vcc
; %bb.2425:                             ;   in Loop: Header=BB4_2066 Depth=4
	s_or_b64 exec, exec, s[34:35]
.LBB4_2426:                             ;   in Loop: Header=BB4_2066 Depth=4
	s_or_b64 exec, exec, s[28:29]
	v_cmp_ne_u16_e32 vcc, 0, v30
	v_mov_b32_e32 v0, 0
	v_mov_b32_e32 v1, 0
	s_and_saveexec_b64 s[28:29], vcc
	s_cbranch_execz .LBB4_2434
; %bb.2427:                             ;   in Loop: Header=BB4_2066 Depth=4
	v_cmp_ne_u16_e32 vcc, s70, v30
	v_bfrev_b32_e32 v1, 1
	s_and_saveexec_b64 s[34:35], vcc
	s_cbranch_execz .LBB4_2433
; %bb.2428:                             ;   in Loop: Header=BB4_2066 Depth=4
	v_and_b32_e32 v1, 0x7c, v30
	v_and_b32_e32 v2, 3, v30
	v_cmp_ne_u32_e32 vcc, s71, v1
                                        ; implicit-def: $vgpr1
	s_and_saveexec_b64 s[36:37], vcc
	s_xor_b64 s[36:37], exec, s[36:37]
	s_cbranch_execz .LBB4_2430
; %bb.2429:                             ;   in Loop: Header=BB4_2066 Depth=4
	v_ffbh_u32_e32 v23, v2
	v_min_u32_e32 v23, 32, v23
	v_and_b32_e32 v1, 0xff, v30
	v_mov_b32_e32 v31, v61
	v_subrev_u32_e32 v25, 29, v23
	v_bfe_u32 v1, v1, 2, 5
	v_lshlrev_b64 v[36:37], v25, v[30:31]
	v_sub_u32_e32 v23, 30, v23
	v_cmp_eq_u32_e32 vcc, 0, v1
	v_and_b32_e32 v25, 3, v36
	v_cndmask_b32_e32 v1, v1, v23, vcc
	v_and_b32_sdwa v23, sext(v30), s80 dst_sel:DWORD dst_unused:UNUSED_PAD src0_sel:WORD_0 src1_sel:DWORD
	v_cndmask_b32_e32 v2, v2, v25, vcc
	v_lshl_add_u32 v1, v1, 23, v23
	v_lshl_or_b32 v1, v2, 21, v1
	v_add_u32_e32 v1, 0x38000000, v1
                                        ; implicit-def: $vgpr2
                                        ; implicit-def: $vgpr30
.LBB4_2430:                             ;   in Loop: Header=BB4_2066 Depth=4
	s_andn2_saveexec_b64 s[36:37], s[36:37]
; %bb.2431:                             ;   in Loop: Header=BB4_2066 Depth=4
	v_cmp_lt_i16_e32 vcc, -1, v30
	v_mov_b32_e32 v1, 0xff800000
	v_cndmask_b32_e32 v1, v1, v47, vcc
	v_cmp_eq_u32_e32 vcc, 0, v2
	v_mov_b32_e32 v2, 0x7f800001
	v_cndmask_b32_e32 v1, v2, v1, vcc
; %bb.2432:                             ;   in Loop: Header=BB4_2066 Depth=4
	s_or_b64 exec, exec, s[36:37]
.LBB4_2433:                             ;   in Loop: Header=BB4_2066 Depth=4
	s_or_b64 exec, exec, s[34:35]
.LBB4_2434:                             ;   in Loop: Header=BB4_2066 Depth=4
	s_or_b64 exec, exec, s[28:29]
	v_cmp_ne_u16_e32 vcc, 0, v29
	s_and_saveexec_b64 s[28:29], vcc
	s_cbranch_execz .LBB4_2442
; %bb.2435:                             ;   in Loop: Header=BB4_2066 Depth=4
	v_cmp_ne_u16_e32 vcc, s70, v29
	v_bfrev_b32_e32 v0, 1
	s_and_saveexec_b64 s[34:35], vcc
	s_cbranch_execz .LBB4_2441
; %bb.2436:                             ;   in Loop: Header=BB4_2066 Depth=4
	v_and_b32_e32 v0, 0x7c, v29
	v_and_b32_e32 v2, 3, v29
	v_cmp_ne_u32_e32 vcc, s71, v0
                                        ; implicit-def: $vgpr0
	s_and_saveexec_b64 s[36:37], vcc
	s_xor_b64 s[36:37], exec, s[36:37]
	s_cbranch_execz .LBB4_2438
; %bb.2437:                             ;   in Loop: Header=BB4_2066 Depth=4
	v_ffbh_u32_e32 v23, v2
	v_min_u32_e32 v23, 32, v23
	v_and_b32_e32 v0, 0xff, v29
	v_mov_b32_e32 v30, v61
	v_subrev_u32_e32 v25, 29, v23
	v_bfe_u32 v0, v0, 2, 5
	v_lshlrev_b64 v[30:31], v25, v[29:30]
	v_sub_u32_e32 v23, 30, v23
	v_cmp_eq_u32_e32 vcc, 0, v0
	v_and_b32_e32 v25, 3, v30
	v_cndmask_b32_e32 v0, v0, v23, vcc
	v_and_b32_sdwa v23, sext(v29), s80 dst_sel:DWORD dst_unused:UNUSED_PAD src0_sel:WORD_0 src1_sel:DWORD
	v_cndmask_b32_e32 v2, v2, v25, vcc
	v_lshl_add_u32 v0, v0, 23, v23
	v_lshl_or_b32 v0, v2, 21, v0
	v_add_u32_e32 v0, 0x38000000, v0
                                        ; implicit-def: $vgpr2
                                        ; implicit-def: $vgpr29
.LBB4_2438:                             ;   in Loop: Header=BB4_2066 Depth=4
	s_andn2_saveexec_b64 s[36:37], s[36:37]
; %bb.2439:                             ;   in Loop: Header=BB4_2066 Depth=4
	v_cmp_lt_i16_e32 vcc, -1, v29
	v_mov_b32_e32 v0, 0xff800000
	v_cndmask_b32_e32 v0, v0, v47, vcc
	v_cmp_eq_u32_e32 vcc, 0, v2
	v_mov_b32_e32 v2, 0x7f800001
	v_cndmask_b32_e32 v0, v2, v0, vcc
; %bb.2440:                             ;   in Loop: Header=BB4_2066 Depth=4
	s_or_b64 exec, exec, s[36:37]
.LBB4_2441:                             ;   in Loop: Header=BB4_2066 Depth=4
	s_or_b64 exec, exec, s[34:35]
.LBB4_2442:                             ;   in Loop: Header=BB4_2066 Depth=4
	s_or_b64 exec, exec, s[28:29]
	v_mul_f32_e32 v0, v1, v0
	v_and_b32_e32 v1, 0x7f800000, v0
	v_mov_b32_e32 v2, v61
	v_cmp_ne_u64_e32 vcc, s[62:63], v[1:2]
	v_and_b32_e32 v60, 0x7fffff, v0
                                        ; implicit-def: $vgpr25
	s_and_saveexec_b64 s[28:29], vcc
	s_xor_b64 s[34:35], exec, s[28:29]
	s_cbranch_execz .LBB4_2460
; %bb.2443:                             ;   in Loop: Header=BB4_2066 Depth=4
	v_and_b32_e32 v1, 0x7fffffff, v0
	v_mov_b32_e32 v2, v61
	v_cmp_gt_u64_e32 vcc, s[78:79], v[1:2]
	v_and_b32_sdwa v23, v0, s81 dst_sel:DWORD dst_unused:UNUSED_PAD src0_sel:BYTE_3 src1_sel:DWORD
                                        ; implicit-def: $vgpr25
	s_and_saveexec_b64 s[28:29], vcc
	s_xor_b64 s[36:37], exec, s[28:29]
	s_cbranch_execz .LBB4_2457
; %bb.2444:                             ;   in Loop: Header=BB4_2066 Depth=4
	v_cmp_ne_u32_e32 vcc, 0, v0
	v_mov_b32_e32 v25, 0
	s_and_saveexec_b64 s[38:39], vcc
	s_cbranch_execz .LBB4_2456
; %bb.2445:                             ;   in Loop: Header=BB4_2066 Depth=4
	v_bfe_u32 v25, v0, 23, 8
	v_cmp_gt_u32_e64 s[28:29], s47, v25
	v_sub_u32_e32 v0, 0x71, v25
	v_cmp_eq_u32_e32 vcc, 0, v25
	v_cndmask_b32_e64 v0, 0, v0, s[28:29]
	v_mov_b32_e32 v2, 0x70
	v_cndmask_b32_e32 v29, v0, v2, vcc
	v_or_b32_e32 v1, 0x800000, v60
	v_add_u32_e32 v0, 21, v29
	v_cndmask_b32_e32 v60, v1, v60, vcc
	v_lshlrev_b64 v[0:1], v0, -1
	v_add_u32_e32 v2, 20, v29
	v_lshlrev_b64 v[30:31], v2, 1
	v_bfi_b32 v1, v1, 0, 0
	v_bfi_b32 v0, v0, 0, v60
	v_cmp_eq_u64_e64 s[28:29], v[0:1], v[30:31]
	v_lshrrev_b64 v[0:1], v29, v[60:61]
	v_mov_b32_e32 v2, v1
	v_mov_b32_e32 v1, v0
	s_and_saveexec_b64 s[48:49], s[28:29]
; %bb.2446:                             ;   in Loop: Header=BB4_2066 Depth=4
	v_bfe_u32 v1, v0, 21, 1
	v_add_co_u32_e64 v1, s[28:29], v0, v1
	v_add_co_u32_e64 v1, s[28:29], -1, v1
; %bb.2447:                             ;   in Loop: Header=BB4_2066 Depth=4
	s_or_b64 exec, exec, s[48:49]
	v_add_u32_e32 v2, 0xffffff81, v25
	v_mov_b32_e32 v25, 0xffffff82
	v_cndmask_b32_e32 v2, v2, v25, vcc
	v_lshrrev_b32_e32 v25, 23, v0
	v_add3_u32 v29, v29, v2, v25
	v_add_u32_e32 v25, 14, v29
	v_and_b32_e32 v1, 0x1fffff, v1
	v_add_u32_e32 v60, v1, v0
	v_cmp_ne_u32_e32 vcc, 0, v25
                                        ; implicit-def: $vgpr0_vgpr1
                                        ; implicit-def: $vgpr2
	s_and_saveexec_b64 s[28:29], vcc
	s_xor_b64 s[28:29], exec, s[28:29]
; %bb.2448:                             ;   in Loop: Header=BB4_2066 Depth=4
	v_cmp_lt_u64_e32 vcc, s[88:89], v[60:61]
	v_add_u32_e32 v0, 15, v29
	v_cndmask_b32_e32 v2, v25, v0, vcc
	v_cndmask_b32_e64 v0, 0, 1, vcc
	v_lshrrev_b64 v[0:1], v0, v[60:61]
; %bb.2449:                             ;   in Loop: Header=BB4_2066 Depth=4
	s_andn2_saveexec_b64 s[28:29], s[28:29]
; %bb.2450:                             ;   in Loop: Header=BB4_2066 Depth=4
	v_mov_b32_e32 v0, v60
	v_bfe_u32 v2, v60, 23, 1
	v_mov_b32_e32 v1, v61
; %bb.2451:                             ;   in Loop: Header=BB4_2066 Depth=4
	s_or_b64 exec, exec, s[28:29]
	v_lshrrev_b64 v[0:1], 21, v[0:1]
	v_cmp_gt_i32_e32 vcc, 32, v2
	v_cndmask_b32_e32 v1, 0, v1, vcc
	v_cndmask_b32_e32 v0, 3, v0, vcc
	v_cmp_ne_u64_e32 vcc, 0, v[0:1]
	v_cmp_ne_u32_e64 s[28:29], 0, v2
	s_or_b64 s[28:29], s[28:29], vcc
                                        ; implicit-def: $vgpr25
	s_and_saveexec_b64 vcc, s[28:29]
	s_xor_b64 s[28:29], exec, vcc
; %bb.2452:                             ;   in Loop: Header=BB4_2066 Depth=4
	v_min_i32_e32 v1, 31, v2
	v_lshl_or_b32 v1, v1, 2, v23
	v_and_or_b32 v25, v0, 3, v1
                                        ; implicit-def: $vgpr23
; %bb.2453:                             ;   in Loop: Header=BB4_2066 Depth=4
	s_andn2_saveexec_b64 s[28:29], s[28:29]
; %bb.2454:                             ;   in Loop: Header=BB4_2066 Depth=4
	v_mov_b32_e32 v25, v23
; %bb.2455:                             ;   in Loop: Header=BB4_2066 Depth=4
	s_or_b64 exec, exec, s[28:29]
.LBB4_2456:                             ;   in Loop: Header=BB4_2066 Depth=4
	s_or_b64 exec, exec, s[38:39]
                                        ; implicit-def: $vgpr23
.LBB4_2457:                             ;   in Loop: Header=BB4_2066 Depth=4
	s_andn2_saveexec_b64 s[28:29], s[36:37]
; %bb.2458:                             ;   in Loop: Header=BB4_2066 Depth=4
	v_or_b32_e32 v25, 0x7b, v23
; %bb.2459:                             ;   in Loop: Header=BB4_2066 Depth=4
	s_or_b64 exec, exec, s[28:29]
                                        ; implicit-def: $vgpr0
.LBB4_2460:                             ;   in Loop: Header=BB4_2066 Depth=4
	s_andn2_saveexec_b64 s[28:29], s[34:35]
	s_cbranch_execz .LBB4_2466
; %bb.2461:                             ;   in Loop: Header=BB4_2066 Depth=4
	v_cmp_ne_u64_e32 vcc, 0, v[60:61]
                                        ; implicit-def: $vgpr25
	s_and_saveexec_b64 s[34:35], vcc
	s_xor_b64 vcc, exec, s[34:35]
; %bb.2462:                             ;   in Loop: Header=BB4_2066 Depth=4
	v_or_b32_sdwa v25, v0, s44 dst_sel:DWORD dst_unused:UNUSED_PAD src0_sel:BYTE_3 src1_sel:DWORD
                                        ; implicit-def: $vgpr0
; %bb.2463:                             ;   in Loop: Header=BB4_2066 Depth=4
	s_andn2_saveexec_b64 s[34:35], vcc
; %bb.2464:                             ;   in Loop: Header=BB4_2066 Depth=4
	v_cmp_lt_i32_e32 vcc, -1, v0
	v_mov_b32_e32 v0, 0x7c
	v_cndmask_b32_e32 v25, -4, v0, vcc
; %bb.2465:                             ;   in Loop: Header=BB4_2066 Depth=4
	s_or_b64 exec, exec, s[34:35]
.LBB4_2466:                             ;   in Loop: Header=BB4_2066 Depth=4
	s_or_b64 exec, exec, s[28:29]
	v_cmp_ne_u16_e32 vcc, 0, v28
	v_mov_b32_e32 v0, 0
	v_mov_b32_e32 v1, 0
	s_and_saveexec_b64 s[28:29], vcc
	s_cbranch_execz .LBB4_2474
; %bb.2467:                             ;   in Loop: Header=BB4_2066 Depth=4
	v_cmp_ne_u16_e32 vcc, s70, v28
	v_bfrev_b32_e32 v1, 1
	s_and_saveexec_b64 s[34:35], vcc
	s_cbranch_execz .LBB4_2473
; %bb.2468:                             ;   in Loop: Header=BB4_2066 Depth=4
	v_and_b32_e32 v1, 0x7c, v28
	v_and_b32_e32 v2, 3, v28
	v_cmp_ne_u32_e32 vcc, s71, v1
                                        ; implicit-def: $vgpr1
	s_and_saveexec_b64 s[36:37], vcc
	s_xor_b64 s[36:37], exec, s[36:37]
	s_cbranch_execz .LBB4_2470
; %bb.2469:                             ;   in Loop: Header=BB4_2066 Depth=4
	v_ffbh_u32_e32 v23, v2
	v_min_u32_e32 v23, 32, v23
	v_and_b32_e32 v1, 0xff, v28
	v_mov_b32_e32 v29, v61
	v_subrev_u32_e32 v30, 29, v23
	v_bfe_u32 v1, v1, 2, 5
	v_lshlrev_b64 v[29:30], v30, v[28:29]
	v_sub_u32_e32 v23, 30, v23
	v_cmp_eq_u32_e32 vcc, 0, v1
	v_and_b32_e32 v29, 3, v29
	v_cndmask_b32_e32 v1, v1, v23, vcc
	v_and_b32_sdwa v23, sext(v28), s80 dst_sel:DWORD dst_unused:UNUSED_PAD src0_sel:WORD_0 src1_sel:DWORD
	v_cndmask_b32_e32 v2, v2, v29, vcc
	v_lshl_add_u32 v1, v1, 23, v23
	v_lshl_or_b32 v1, v2, 21, v1
	v_add_u32_e32 v1, 0x38000000, v1
                                        ; implicit-def: $vgpr2
                                        ; implicit-def: $vgpr28
.LBB4_2470:                             ;   in Loop: Header=BB4_2066 Depth=4
	s_andn2_saveexec_b64 s[36:37], s[36:37]
; %bb.2471:                             ;   in Loop: Header=BB4_2066 Depth=4
	v_cmp_lt_i16_e32 vcc, -1, v28
	v_mov_b32_e32 v1, 0xff800000
	v_cndmask_b32_e32 v1, v1, v47, vcc
	v_cmp_eq_u32_e32 vcc, 0, v2
	v_mov_b32_e32 v2, 0x7f800001
	v_cndmask_b32_e32 v1, v2, v1, vcc
; %bb.2472:                             ;   in Loop: Header=BB4_2066 Depth=4
	s_or_b64 exec, exec, s[36:37]
.LBB4_2473:                             ;   in Loop: Header=BB4_2066 Depth=4
	s_or_b64 exec, exec, s[34:35]
.LBB4_2474:                             ;   in Loop: Header=BB4_2066 Depth=4
	s_or_b64 exec, exec, s[28:29]
	v_cmp_ne_u16_e32 vcc, 0, v27
	s_and_saveexec_b64 s[28:29], vcc
	s_cbranch_execz .LBB4_2482
; %bb.2475:                             ;   in Loop: Header=BB4_2066 Depth=4
	v_cmp_ne_u16_e32 vcc, s70, v27
	v_bfrev_b32_e32 v0, 1
	s_and_saveexec_b64 s[34:35], vcc
	s_cbranch_execz .LBB4_2481
; %bb.2476:                             ;   in Loop: Header=BB4_2066 Depth=4
	v_and_b32_e32 v0, 0x7c, v27
	v_and_b32_e32 v2, 3, v27
	v_cmp_ne_u32_e32 vcc, s71, v0
                                        ; implicit-def: $vgpr0
	s_and_saveexec_b64 s[36:37], vcc
	s_xor_b64 s[36:37], exec, s[36:37]
	s_cbranch_execz .LBB4_2478
; %bb.2477:                             ;   in Loop: Header=BB4_2066 Depth=4
	v_ffbh_u32_e32 v23, v2
	v_min_u32_e32 v23, 32, v23
	v_and_b32_e32 v0, 0xff, v27
	v_mov_b32_e32 v28, v61
	v_subrev_u32_e32 v29, 29, v23
	v_bfe_u32 v0, v0, 2, 5
	v_lshlrev_b64 v[28:29], v29, v[27:28]
	v_sub_u32_e32 v23, 30, v23
	v_cmp_eq_u32_e32 vcc, 0, v0
	v_and_b32_e32 v28, 3, v28
	v_cndmask_b32_e32 v0, v0, v23, vcc
	v_and_b32_sdwa v23, sext(v27), s80 dst_sel:DWORD dst_unused:UNUSED_PAD src0_sel:WORD_0 src1_sel:DWORD
	v_cndmask_b32_e32 v2, v2, v28, vcc
	v_lshl_add_u32 v0, v0, 23, v23
	v_lshl_or_b32 v0, v2, 21, v0
	v_add_u32_e32 v0, 0x38000000, v0
                                        ; implicit-def: $vgpr2
                                        ; implicit-def: $vgpr27
.LBB4_2478:                             ;   in Loop: Header=BB4_2066 Depth=4
	s_andn2_saveexec_b64 s[36:37], s[36:37]
; %bb.2479:                             ;   in Loop: Header=BB4_2066 Depth=4
	v_cmp_lt_i16_e32 vcc, -1, v27
	v_mov_b32_e32 v0, 0xff800000
	v_cndmask_b32_e32 v0, v0, v47, vcc
	v_cmp_eq_u32_e32 vcc, 0, v2
	v_mov_b32_e32 v2, 0x7f800001
	v_cndmask_b32_e32 v0, v2, v0, vcc
; %bb.2480:                             ;   in Loop: Header=BB4_2066 Depth=4
	s_or_b64 exec, exec, s[36:37]
.LBB4_2481:                             ;   in Loop: Header=BB4_2066 Depth=4
	s_or_b64 exec, exec, s[34:35]
.LBB4_2482:                             ;   in Loop: Header=BB4_2066 Depth=4
	s_or_b64 exec, exec, s[28:29]
	v_mul_f32_e32 v0, v1, v0
	v_and_b32_e32 v1, 0x7f800000, v0
	v_mov_b32_e32 v2, v61
	v_cmp_ne_u64_e32 vcc, s[62:63], v[1:2]
	v_and_b32_e32 v60, 0x7fffff, v0
                                        ; implicit-def: $vgpr28
	s_and_saveexec_b64 s[28:29], vcc
	s_xor_b64 s[34:35], exec, s[28:29]
	s_cbranch_execz .LBB4_2500
; %bb.2483:                             ;   in Loop: Header=BB4_2066 Depth=4
	v_and_b32_e32 v1, 0x7fffffff, v0
	v_mov_b32_e32 v2, v61
	v_cmp_gt_u64_e32 vcc, s[78:79], v[1:2]
	v_and_b32_sdwa v23, v0, s81 dst_sel:DWORD dst_unused:UNUSED_PAD src0_sel:BYTE_3 src1_sel:DWORD
                                        ; implicit-def: $vgpr28
	s_and_saveexec_b64 s[28:29], vcc
	s_xor_b64 s[36:37], exec, s[28:29]
	s_cbranch_execz .LBB4_2497
; %bb.2484:                             ;   in Loop: Header=BB4_2066 Depth=4
	v_cmp_ne_u32_e32 vcc, 0, v0
	v_mov_b32_e32 v28, 0
	s_and_saveexec_b64 s[38:39], vcc
	s_cbranch_execz .LBB4_2496
; %bb.2485:                             ;   in Loop: Header=BB4_2066 Depth=4
	v_bfe_u32 v27, v0, 23, 8
	v_cmp_gt_u32_e64 s[28:29], s47, v27
	v_sub_u32_e32 v0, 0x71, v27
	v_cmp_eq_u32_e32 vcc, 0, v27
	v_cndmask_b32_e64 v0, 0, v0, s[28:29]
	v_mov_b32_e32 v2, 0x70
	v_cndmask_b32_e32 v28, v0, v2, vcc
	v_or_b32_e32 v1, 0x800000, v60
	v_add_u32_e32 v0, 21, v28
	v_cndmask_b32_e32 v60, v1, v60, vcc
	v_lshlrev_b64 v[0:1], v0, -1
	v_add_u32_e32 v2, 20, v28
	v_lshlrev_b64 v[29:30], v2, 1
	v_bfi_b32 v1, v1, 0, 0
	v_bfi_b32 v0, v0, 0, v60
	v_cmp_eq_u64_e64 s[28:29], v[0:1], v[29:30]
	v_lshrrev_b64 v[0:1], v28, v[60:61]
	v_mov_b32_e32 v2, v1
	v_mov_b32_e32 v1, v0
	s_and_saveexec_b64 s[48:49], s[28:29]
; %bb.2486:                             ;   in Loop: Header=BB4_2066 Depth=4
	v_bfe_u32 v1, v0, 21, 1
	v_add_co_u32_e64 v1, s[28:29], v0, v1
	v_add_co_u32_e64 v1, s[28:29], -1, v1
; %bb.2487:                             ;   in Loop: Header=BB4_2066 Depth=4
	s_or_b64 exec, exec, s[48:49]
	v_add_u32_e32 v2, 0xffffff81, v27
	v_mov_b32_e32 v27, 0xffffff82
	v_cndmask_b32_e32 v2, v2, v27, vcc
	v_lshrrev_b32_e32 v27, 23, v0
	v_add3_u32 v28, v28, v2, v27
	v_add_u32_e32 v27, 14, v28
	v_and_b32_e32 v1, 0x1fffff, v1
	v_add_u32_e32 v60, v1, v0
	v_cmp_ne_u32_e32 vcc, 0, v27
                                        ; implicit-def: $vgpr0_vgpr1
                                        ; implicit-def: $vgpr2
	s_and_saveexec_b64 s[28:29], vcc
	s_xor_b64 s[28:29], exec, s[28:29]
; %bb.2488:                             ;   in Loop: Header=BB4_2066 Depth=4
	v_cmp_lt_u64_e32 vcc, s[88:89], v[60:61]
	v_add_u32_e32 v0, 15, v28
	v_cndmask_b32_e32 v2, v27, v0, vcc
	v_cndmask_b32_e64 v0, 0, 1, vcc
	v_lshrrev_b64 v[0:1], v0, v[60:61]
; %bb.2489:                             ;   in Loop: Header=BB4_2066 Depth=4
	s_andn2_saveexec_b64 s[28:29], s[28:29]
; %bb.2490:                             ;   in Loop: Header=BB4_2066 Depth=4
	v_mov_b32_e32 v0, v60
	v_bfe_u32 v2, v60, 23, 1
	v_mov_b32_e32 v1, v61
; %bb.2491:                             ;   in Loop: Header=BB4_2066 Depth=4
	s_or_b64 exec, exec, s[28:29]
	v_lshrrev_b64 v[0:1], 21, v[0:1]
	v_cmp_gt_i32_e32 vcc, 32, v2
	v_cndmask_b32_e32 v1, 0, v1, vcc
	v_cndmask_b32_e32 v0, 3, v0, vcc
	v_cmp_ne_u64_e32 vcc, 0, v[0:1]
	v_cmp_ne_u32_e64 s[28:29], 0, v2
	s_or_b64 s[28:29], s[28:29], vcc
                                        ; implicit-def: $vgpr28
	s_and_saveexec_b64 vcc, s[28:29]
	s_xor_b64 s[28:29], exec, vcc
; %bb.2492:                             ;   in Loop: Header=BB4_2066 Depth=4
	v_min_i32_e32 v1, 31, v2
	v_lshl_or_b32 v1, v1, 2, v23
	v_and_or_b32 v28, v0, 3, v1
                                        ; implicit-def: $vgpr23
; %bb.2493:                             ;   in Loop: Header=BB4_2066 Depth=4
	s_andn2_saveexec_b64 s[28:29], s[28:29]
; %bb.2494:                             ;   in Loop: Header=BB4_2066 Depth=4
	v_mov_b32_e32 v28, v23
; %bb.2495:                             ;   in Loop: Header=BB4_2066 Depth=4
	s_or_b64 exec, exec, s[28:29]
.LBB4_2496:                             ;   in Loop: Header=BB4_2066 Depth=4
	s_or_b64 exec, exec, s[38:39]
                                        ; implicit-def: $vgpr23
.LBB4_2497:                             ;   in Loop: Header=BB4_2066 Depth=4
	s_andn2_saveexec_b64 s[28:29], s[36:37]
; %bb.2498:                             ;   in Loop: Header=BB4_2066 Depth=4
	v_or_b32_e32 v28, 0x7b, v23
; %bb.2499:                             ;   in Loop: Header=BB4_2066 Depth=4
	s_or_b64 exec, exec, s[28:29]
                                        ; implicit-def: $vgpr0
.LBB4_2500:                             ;   in Loop: Header=BB4_2066 Depth=4
	s_andn2_saveexec_b64 s[28:29], s[34:35]
	s_cbranch_execz .LBB4_2506
; %bb.2501:                             ;   in Loop: Header=BB4_2066 Depth=4
	v_cmp_ne_u64_e32 vcc, 0, v[60:61]
                                        ; implicit-def: $vgpr28
	s_and_saveexec_b64 s[34:35], vcc
	s_xor_b64 vcc, exec, s[34:35]
; %bb.2502:                             ;   in Loop: Header=BB4_2066 Depth=4
	v_or_b32_sdwa v28, v0, s44 dst_sel:DWORD dst_unused:UNUSED_PAD src0_sel:BYTE_3 src1_sel:DWORD
                                        ; implicit-def: $vgpr0
; %bb.2503:                             ;   in Loop: Header=BB4_2066 Depth=4
	s_andn2_saveexec_b64 s[34:35], vcc
; %bb.2504:                             ;   in Loop: Header=BB4_2066 Depth=4
	v_cmp_lt_i32_e32 vcc, -1, v0
	v_mov_b32_e32 v0, 0x7c
	v_cndmask_b32_e32 v28, -4, v0, vcc
; %bb.2505:                             ;   in Loop: Header=BB4_2066 Depth=4
	s_or_b64 exec, exec, s[34:35]
.LBB4_2506:                             ;   in Loop: Header=BB4_2066 Depth=4
	s_or_b64 exec, exec, s[28:29]
	v_cmp_ne_u16_e32 vcc, 0, v26
	v_mov_b32_e32 v0, 0
	v_mov_b32_e32 v1, 0
	s_and_saveexec_b64 s[28:29], vcc
	s_cbranch_execz .LBB4_2514
; %bb.2507:                             ;   in Loop: Header=BB4_2066 Depth=4
	v_cmp_ne_u16_e32 vcc, s70, v26
	v_bfrev_b32_e32 v1, 1
	s_and_saveexec_b64 s[34:35], vcc
	s_cbranch_execz .LBB4_2513
; %bb.2508:                             ;   in Loop: Header=BB4_2066 Depth=4
	v_and_b32_e32 v1, 0x7c, v26
	v_and_b32_e32 v2, 3, v26
	v_cmp_ne_u32_e32 vcc, s71, v1
                                        ; implicit-def: $vgpr1
	s_and_saveexec_b64 s[36:37], vcc
	s_xor_b64 s[36:37], exec, s[36:37]
	s_cbranch_execz .LBB4_2510
; %bb.2509:                             ;   in Loop: Header=BB4_2066 Depth=4
	v_ffbh_u32_e32 v23, v2
	v_min_u32_e32 v23, 32, v23
	v_and_b32_e32 v1, 0xff, v26
	v_mov_b32_e32 v27, v61
	v_subrev_u32_e32 v29, 29, v23
	v_bfe_u32 v1, v1, 2, 5
	v_lshlrev_b64 v[29:30], v29, v[26:27]
	v_sub_u32_e32 v23, 30, v23
	v_cmp_eq_u32_e32 vcc, 0, v1
	v_and_b32_e32 v27, 3, v29
	v_cndmask_b32_e32 v1, v1, v23, vcc
	v_and_b32_sdwa v23, sext(v26), s80 dst_sel:DWORD dst_unused:UNUSED_PAD src0_sel:WORD_0 src1_sel:DWORD
	v_cndmask_b32_e32 v2, v2, v27, vcc
	v_lshl_add_u32 v1, v1, 23, v23
	v_lshl_or_b32 v1, v2, 21, v1
	v_add_u32_e32 v1, 0x38000000, v1
                                        ; implicit-def: $vgpr2
                                        ; implicit-def: $vgpr26
.LBB4_2510:                             ;   in Loop: Header=BB4_2066 Depth=4
	s_andn2_saveexec_b64 s[36:37], s[36:37]
; %bb.2511:                             ;   in Loop: Header=BB4_2066 Depth=4
	v_cmp_lt_i16_e32 vcc, -1, v26
	v_mov_b32_e32 v1, 0xff800000
	v_cndmask_b32_e32 v1, v1, v47, vcc
	v_cmp_eq_u32_e32 vcc, 0, v2
	v_mov_b32_e32 v2, 0x7f800001
	v_cndmask_b32_e32 v1, v2, v1, vcc
; %bb.2512:                             ;   in Loop: Header=BB4_2066 Depth=4
	s_or_b64 exec, exec, s[36:37]
.LBB4_2513:                             ;   in Loop: Header=BB4_2066 Depth=4
	s_or_b64 exec, exec, s[34:35]
.LBB4_2514:                             ;   in Loop: Header=BB4_2066 Depth=4
	s_or_b64 exec, exec, s[28:29]
	v_cmp_ne_u16_e32 vcc, 0, v22
	s_and_saveexec_b64 s[28:29], vcc
	s_cbranch_execz .LBB4_2522
; %bb.2515:                             ;   in Loop: Header=BB4_2066 Depth=4
	v_cmp_ne_u16_e32 vcc, s70, v22
	v_bfrev_b32_e32 v0, 1
	s_and_saveexec_b64 s[34:35], vcc
	s_cbranch_execz .LBB4_2521
; %bb.2516:                             ;   in Loop: Header=BB4_2066 Depth=4
	v_and_b32_e32 v0, 0x7c, v22
	v_and_b32_e32 v2, 3, v22
	v_cmp_ne_u32_e32 vcc, s71, v0
                                        ; implicit-def: $vgpr0
	s_and_saveexec_b64 s[36:37], vcc
	s_xor_b64 s[36:37], exec, s[36:37]
	s_cbranch_execz .LBB4_2518
; %bb.2517:                             ;   in Loop: Header=BB4_2066 Depth=4
	v_ffbh_u32_e32 v26, v2
	v_min_u32_e32 v29, 32, v26
	v_and_b32_e32 v0, 0xff, v22
	v_mov_b32_e32 v23, v61
	v_subrev_u32_e32 v26, 29, v29
	v_bfe_u32 v0, v0, 2, 5
	v_lshlrev_b64 v[26:27], v26, v[22:23]
	v_sub_u32_e32 v23, 30, v29
	v_cmp_eq_u32_e32 vcc, 0, v0
	v_and_b32_e32 v26, 3, v26
	v_cndmask_b32_e32 v0, v0, v23, vcc
	v_and_b32_sdwa v22, sext(v22), s80 dst_sel:DWORD dst_unused:UNUSED_PAD src0_sel:WORD_0 src1_sel:DWORD
	v_cndmask_b32_e32 v2, v2, v26, vcc
	v_lshl_add_u32 v0, v0, 23, v22
	v_lshl_or_b32 v0, v2, 21, v0
	v_add_u32_e32 v0, 0x38000000, v0
                                        ; implicit-def: $vgpr2
                                        ; implicit-def: $vgpr22
.LBB4_2518:                             ;   in Loop: Header=BB4_2066 Depth=4
	s_andn2_saveexec_b64 s[36:37], s[36:37]
; %bb.2519:                             ;   in Loop: Header=BB4_2066 Depth=4
	v_cmp_lt_i16_e32 vcc, -1, v22
	v_mov_b32_e32 v0, 0xff800000
	v_cndmask_b32_e32 v0, v0, v47, vcc
	v_cmp_eq_u32_e32 vcc, 0, v2
	v_mov_b32_e32 v2, 0x7f800001
	v_cndmask_b32_e32 v0, v2, v0, vcc
; %bb.2520:                             ;   in Loop: Header=BB4_2066 Depth=4
	s_or_b64 exec, exec, s[36:37]
.LBB4_2521:                             ;   in Loop: Header=BB4_2066 Depth=4
	s_or_b64 exec, exec, s[34:35]
.LBB4_2522:                             ;   in Loop: Header=BB4_2066 Depth=4
	s_or_b64 exec, exec, s[28:29]
	v_mul_f32_e32 v0, v1, v0
	v_and_b32_e32 v1, 0x7f800000, v0
	v_mov_b32_e32 v2, v61
	v_cmp_ne_u64_e32 vcc, s[62:63], v[1:2]
	v_and_b32_e32 v60, 0x7fffff, v0
                                        ; implicit-def: $vgpr23
	s_and_saveexec_b64 s[28:29], vcc
	s_xor_b64 s[34:35], exec, s[28:29]
	s_cbranch_execz .LBB4_2540
; %bb.2523:                             ;   in Loop: Header=BB4_2066 Depth=4
	v_and_b32_e32 v1, 0x7fffffff, v0
	v_mov_b32_e32 v2, v61
	v_cmp_gt_u64_e32 vcc, s[78:79], v[1:2]
	v_and_b32_sdwa v22, v0, s81 dst_sel:DWORD dst_unused:UNUSED_PAD src0_sel:BYTE_3 src1_sel:DWORD
                                        ; implicit-def: $vgpr23
	s_and_saveexec_b64 s[28:29], vcc
	s_xor_b64 s[36:37], exec, s[28:29]
	s_cbranch_execz .LBB4_2537
; %bb.2524:                             ;   in Loop: Header=BB4_2066 Depth=4
	v_cmp_ne_u32_e32 vcc, 0, v0
	v_mov_b32_e32 v23, 0
	s_and_saveexec_b64 s[38:39], vcc
	s_cbranch_execz .LBB4_2536
; %bb.2525:                             ;   in Loop: Header=BB4_2066 Depth=4
	v_bfe_u32 v23, v0, 23, 8
	v_cmp_gt_u32_e64 s[28:29], s47, v23
	v_sub_u32_e32 v0, 0x71, v23
	v_cmp_eq_u32_e32 vcc, 0, v23
	v_cndmask_b32_e64 v0, 0, v0, s[28:29]
	v_mov_b32_e32 v2, 0x70
	v_cndmask_b32_e32 v26, v0, v2, vcc
	v_or_b32_e32 v1, 0x800000, v60
	v_add_u32_e32 v0, 21, v26
	v_cndmask_b32_e32 v60, v1, v60, vcc
	v_lshlrev_b64 v[0:1], v0, -1
	v_add_u32_e32 v2, 20, v26
	v_lshlrev_b64 v[29:30], v2, 1
	v_bfi_b32 v1, v1, 0, 0
	v_bfi_b32 v0, v0, 0, v60
	v_cmp_eq_u64_e64 s[28:29], v[0:1], v[29:30]
	v_lshrrev_b64 v[0:1], v26, v[60:61]
	v_mov_b32_e32 v2, v1
	v_mov_b32_e32 v1, v0
	s_and_saveexec_b64 s[48:49], s[28:29]
; %bb.2526:                             ;   in Loop: Header=BB4_2066 Depth=4
	v_bfe_u32 v1, v0, 21, 1
	v_add_co_u32_e64 v1, s[28:29], v0, v1
	v_add_co_u32_e64 v1, s[28:29], -1, v1
; %bb.2527:                             ;   in Loop: Header=BB4_2066 Depth=4
	s_or_b64 exec, exec, s[48:49]
	v_add_u32_e32 v2, 0xffffff81, v23
	v_mov_b32_e32 v23, 0xffffff82
	v_cndmask_b32_e32 v2, v2, v23, vcc
	v_lshrrev_b32_e32 v23, 23, v0
	v_add3_u32 v26, v26, v2, v23
	v_add_u32_e32 v23, 14, v26
	v_and_b32_e32 v1, 0x1fffff, v1
	v_add_u32_e32 v60, v1, v0
	v_cmp_ne_u32_e32 vcc, 0, v23
                                        ; implicit-def: $vgpr0_vgpr1
                                        ; implicit-def: $vgpr2
	s_and_saveexec_b64 s[28:29], vcc
	s_xor_b64 s[28:29], exec, s[28:29]
; %bb.2528:                             ;   in Loop: Header=BB4_2066 Depth=4
	v_cmp_lt_u64_e32 vcc, s[88:89], v[60:61]
	v_add_u32_e32 v0, 15, v26
	v_cndmask_b32_e32 v2, v23, v0, vcc
	v_cndmask_b32_e64 v0, 0, 1, vcc
	v_lshrrev_b64 v[0:1], v0, v[60:61]
; %bb.2529:                             ;   in Loop: Header=BB4_2066 Depth=4
	s_andn2_saveexec_b64 s[28:29], s[28:29]
; %bb.2530:                             ;   in Loop: Header=BB4_2066 Depth=4
	v_mov_b32_e32 v0, v60
	v_bfe_u32 v2, v60, 23, 1
	v_mov_b32_e32 v1, v61
; %bb.2531:                             ;   in Loop: Header=BB4_2066 Depth=4
	s_or_b64 exec, exec, s[28:29]
	v_lshrrev_b64 v[0:1], 21, v[0:1]
	v_cmp_gt_i32_e32 vcc, 32, v2
	v_cndmask_b32_e32 v1, 0, v1, vcc
	v_cndmask_b32_e32 v0, 3, v0, vcc
	v_cmp_ne_u64_e32 vcc, 0, v[0:1]
	v_cmp_ne_u32_e64 s[28:29], 0, v2
	s_or_b64 s[28:29], s[28:29], vcc
                                        ; implicit-def: $vgpr23
	s_and_saveexec_b64 vcc, s[28:29]
	s_xor_b64 s[28:29], exec, vcc
; %bb.2532:                             ;   in Loop: Header=BB4_2066 Depth=4
	v_min_i32_e32 v1, 31, v2
	v_lshl_or_b32 v1, v1, 2, v22
	v_and_or_b32 v23, v0, 3, v1
                                        ; implicit-def: $vgpr22
; %bb.2533:                             ;   in Loop: Header=BB4_2066 Depth=4
	s_andn2_saveexec_b64 s[28:29], s[28:29]
; %bb.2534:                             ;   in Loop: Header=BB4_2066 Depth=4
	v_mov_b32_e32 v23, v22
; %bb.2535:                             ;   in Loop: Header=BB4_2066 Depth=4
	s_or_b64 exec, exec, s[28:29]
.LBB4_2536:                             ;   in Loop: Header=BB4_2066 Depth=4
	s_or_b64 exec, exec, s[38:39]
                                        ; implicit-def: $vgpr22
.LBB4_2537:                             ;   in Loop: Header=BB4_2066 Depth=4
	s_andn2_saveexec_b64 s[28:29], s[36:37]
; %bb.2538:                             ;   in Loop: Header=BB4_2066 Depth=4
	v_or_b32_e32 v23, 0x7b, v22
; %bb.2539:                             ;   in Loop: Header=BB4_2066 Depth=4
	s_or_b64 exec, exec, s[28:29]
                                        ; implicit-def: $vgpr0
.LBB4_2540:                             ;   in Loop: Header=BB4_2066 Depth=4
	s_andn2_saveexec_b64 s[28:29], s[34:35]
	s_cbranch_execz .LBB4_2546
; %bb.2541:                             ;   in Loop: Header=BB4_2066 Depth=4
	v_cmp_ne_u64_e32 vcc, 0, v[60:61]
                                        ; implicit-def: $vgpr23
	s_and_saveexec_b64 s[34:35], vcc
	s_xor_b64 vcc, exec, s[34:35]
; %bb.2542:                             ;   in Loop: Header=BB4_2066 Depth=4
	v_or_b32_sdwa v23, v0, s44 dst_sel:DWORD dst_unused:UNUSED_PAD src0_sel:BYTE_3 src1_sel:DWORD
                                        ; implicit-def: $vgpr0
; %bb.2543:                             ;   in Loop: Header=BB4_2066 Depth=4
	s_andn2_saveexec_b64 s[34:35], vcc
; %bb.2544:                             ;   in Loop: Header=BB4_2066 Depth=4
	v_cmp_lt_i32_e32 vcc, -1, v0
	v_mov_b32_e32 v0, 0x7c
	v_cndmask_b32_e32 v23, -4, v0, vcc
; %bb.2545:                             ;   in Loop: Header=BB4_2066 Depth=4
	s_or_b64 exec, exec, s[34:35]
.LBB4_2546:                             ;   in Loop: Header=BB4_2066 Depth=4
	s_or_b64 exec, exec, s[28:29]
	v_cmp_ne_u16_e32 vcc, 0, v21
	v_mov_b32_e32 v0, 0
	v_mov_b32_e32 v1, 0
	s_and_saveexec_b64 s[28:29], vcc
	s_cbranch_execz .LBB4_2554
; %bb.2547:                             ;   in Loop: Header=BB4_2066 Depth=4
	v_cmp_ne_u16_e32 vcc, s70, v21
	v_bfrev_b32_e32 v1, 1
	s_and_saveexec_b64 s[34:35], vcc
	s_cbranch_execz .LBB4_2553
; %bb.2548:                             ;   in Loop: Header=BB4_2066 Depth=4
	v_and_b32_e32 v1, 0x7c, v21
	v_and_b32_e32 v2, 3, v21
	v_cmp_ne_u32_e32 vcc, s71, v1
                                        ; implicit-def: $vgpr1
	s_and_saveexec_b64 s[36:37], vcc
	s_xor_b64 s[36:37], exec, s[36:37]
	s_cbranch_execz .LBB4_2550
; %bb.2549:                             ;   in Loop: Header=BB4_2066 Depth=4
	v_ffbh_u32_e32 v26, v2
	v_min_u32_e32 v29, 32, v26
	v_and_b32_e32 v1, 0xff, v21
	v_mov_b32_e32 v22, v61
	v_subrev_u32_e32 v26, 29, v29
	v_bfe_u32 v1, v1, 2, 5
	v_lshlrev_b64 v[26:27], v26, v[21:22]
	v_sub_u32_e32 v22, 30, v29
	v_cmp_eq_u32_e32 vcc, 0, v1
	v_and_b32_e32 v26, 3, v26
	v_cndmask_b32_e32 v1, v1, v22, vcc
	v_and_b32_sdwa v21, sext(v21), s80 dst_sel:DWORD dst_unused:UNUSED_PAD src0_sel:WORD_0 src1_sel:DWORD
	v_cndmask_b32_e32 v2, v2, v26, vcc
	v_lshl_add_u32 v1, v1, 23, v21
	v_lshl_or_b32 v1, v2, 21, v1
	v_add_u32_e32 v1, 0x38000000, v1
                                        ; implicit-def: $vgpr2
                                        ; implicit-def: $vgpr21
.LBB4_2550:                             ;   in Loop: Header=BB4_2066 Depth=4
	s_andn2_saveexec_b64 s[36:37], s[36:37]
; %bb.2551:                             ;   in Loop: Header=BB4_2066 Depth=4
	v_cmp_lt_i16_e32 vcc, -1, v21
	v_mov_b32_e32 v1, 0xff800000
	v_cndmask_b32_e32 v1, v1, v47, vcc
	v_cmp_eq_u32_e32 vcc, 0, v2
	v_mov_b32_e32 v2, 0x7f800001
	v_cndmask_b32_e32 v1, v2, v1, vcc
; %bb.2552:                             ;   in Loop: Header=BB4_2066 Depth=4
	s_or_b64 exec, exec, s[36:37]
.LBB4_2553:                             ;   in Loop: Header=BB4_2066 Depth=4
	s_or_b64 exec, exec, s[34:35]
.LBB4_2554:                             ;   in Loop: Header=BB4_2066 Depth=4
	s_or_b64 exec, exec, s[28:29]
	v_cmp_ne_u16_e32 vcc, 0, v20
	s_and_saveexec_b64 s[28:29], vcc
	s_cbranch_execz .LBB4_2562
; %bb.2555:                             ;   in Loop: Header=BB4_2066 Depth=4
	v_cmp_ne_u16_e32 vcc, s70, v20
	v_bfrev_b32_e32 v0, 1
	s_and_saveexec_b64 s[34:35], vcc
	s_cbranch_execz .LBB4_2561
; %bb.2556:                             ;   in Loop: Header=BB4_2066 Depth=4
	v_and_b32_e32 v0, 0x7c, v20
	v_and_b32_e32 v2, 3, v20
	v_cmp_ne_u32_e32 vcc, s71, v0
                                        ; implicit-def: $vgpr0
	s_and_saveexec_b64 s[36:37], vcc
	s_xor_b64 s[36:37], exec, s[36:37]
	s_cbranch_execz .LBB4_2558
; %bb.2557:                             ;   in Loop: Header=BB4_2066 Depth=4
	v_ffbh_u32_e32 v22, v2
	v_min_u32_e32 v26, 32, v22
	v_and_b32_e32 v0, 0xff, v20
	v_mov_b32_e32 v21, v61
	v_subrev_u32_e32 v22, 29, v26
	v_bfe_u32 v0, v0, 2, 5
	v_lshlrev_b64 v[21:22], v22, v[20:21]
	v_sub_u32_e32 v22, 30, v26
	v_cmp_eq_u32_e32 vcc, 0, v0
	v_and_b32_e32 v21, 3, v21
	v_cndmask_b32_e32 v0, v0, v22, vcc
	v_and_b32_sdwa v20, sext(v20), s80 dst_sel:DWORD dst_unused:UNUSED_PAD src0_sel:WORD_0 src1_sel:DWORD
	v_cndmask_b32_e32 v2, v2, v21, vcc
	v_lshl_add_u32 v0, v0, 23, v20
	v_lshl_or_b32 v0, v2, 21, v0
	v_add_u32_e32 v0, 0x38000000, v0
                                        ; implicit-def: $vgpr2
                                        ; implicit-def: $vgpr20
.LBB4_2558:                             ;   in Loop: Header=BB4_2066 Depth=4
	s_andn2_saveexec_b64 s[36:37], s[36:37]
; %bb.2559:                             ;   in Loop: Header=BB4_2066 Depth=4
	v_cmp_lt_i16_e32 vcc, -1, v20
	v_mov_b32_e32 v0, 0xff800000
	v_cndmask_b32_e32 v0, v0, v47, vcc
	v_cmp_eq_u32_e32 vcc, 0, v2
	v_mov_b32_e32 v2, 0x7f800001
	v_cndmask_b32_e32 v0, v2, v0, vcc
; %bb.2560:                             ;   in Loop: Header=BB4_2066 Depth=4
	s_or_b64 exec, exec, s[36:37]
.LBB4_2561:                             ;   in Loop: Header=BB4_2066 Depth=4
	s_or_b64 exec, exec, s[34:35]
.LBB4_2562:                             ;   in Loop: Header=BB4_2066 Depth=4
	s_or_b64 exec, exec, s[28:29]
	v_mul_f32_e32 v0, v1, v0
	v_and_b32_e32 v1, 0x7f800000, v0
	v_mov_b32_e32 v2, v61
	v_cmp_ne_u64_e32 vcc, s[62:63], v[1:2]
	v_and_b32_e32 v60, 0x7fffff, v0
                                        ; implicit-def: $vgpr21
	s_and_saveexec_b64 s[28:29], vcc
	s_xor_b64 s[34:35], exec, s[28:29]
	s_cbranch_execz .LBB4_2580
; %bb.2563:                             ;   in Loop: Header=BB4_2066 Depth=4
	v_and_b32_e32 v1, 0x7fffffff, v0
	v_mov_b32_e32 v2, v61
	v_cmp_gt_u64_e32 vcc, s[78:79], v[1:2]
	v_and_b32_sdwa v20, v0, s81 dst_sel:DWORD dst_unused:UNUSED_PAD src0_sel:BYTE_3 src1_sel:DWORD
                                        ; implicit-def: $vgpr21
	s_and_saveexec_b64 s[28:29], vcc
	s_xor_b64 s[36:37], exec, s[28:29]
	s_cbranch_execz .LBB4_2577
; %bb.2564:                             ;   in Loop: Header=BB4_2066 Depth=4
	v_cmp_ne_u32_e32 vcc, 0, v0
	v_mov_b32_e32 v21, 0
	s_and_saveexec_b64 s[38:39], vcc
	s_cbranch_execz .LBB4_2576
; %bb.2565:                             ;   in Loop: Header=BB4_2066 Depth=4
	v_bfe_u32 v21, v0, 23, 8
	v_cmp_gt_u32_e64 s[28:29], s47, v21
	v_sub_u32_e32 v0, 0x71, v21
	v_cmp_eq_u32_e32 vcc, 0, v21
	v_cndmask_b32_e64 v0, 0, v0, s[28:29]
	v_mov_b32_e32 v2, 0x70
	v_cndmask_b32_e32 v22, v0, v2, vcc
	v_or_b32_e32 v1, 0x800000, v60
	v_add_u32_e32 v0, 21, v22
	v_cndmask_b32_e32 v60, v1, v60, vcc
	v_lshlrev_b64 v[0:1], v0, -1
	v_add_u32_e32 v2, 20, v22
	v_lshlrev_b64 v[26:27], v2, 1
	v_bfi_b32 v1, v1, 0, 0
	v_bfi_b32 v0, v0, 0, v60
	v_cmp_eq_u64_e64 s[28:29], v[0:1], v[26:27]
	v_lshrrev_b64 v[0:1], v22, v[60:61]
	v_mov_b32_e32 v2, v1
	v_mov_b32_e32 v1, v0
	s_and_saveexec_b64 s[48:49], s[28:29]
; %bb.2566:                             ;   in Loop: Header=BB4_2066 Depth=4
	v_bfe_u32 v1, v0, 21, 1
	v_add_co_u32_e64 v1, s[28:29], v0, v1
	v_add_co_u32_e64 v1, s[28:29], -1, v1
; %bb.2567:                             ;   in Loop: Header=BB4_2066 Depth=4
	s_or_b64 exec, exec, s[48:49]
	v_add_u32_e32 v2, 0xffffff81, v21
	v_mov_b32_e32 v21, 0xffffff82
	v_cndmask_b32_e32 v2, v2, v21, vcc
	v_lshrrev_b32_e32 v21, 23, v0
	v_add3_u32 v22, v22, v2, v21
	v_add_u32_e32 v21, 14, v22
	v_and_b32_e32 v1, 0x1fffff, v1
	v_add_u32_e32 v60, v1, v0
	v_cmp_ne_u32_e32 vcc, 0, v21
                                        ; implicit-def: $vgpr0_vgpr1
                                        ; implicit-def: $vgpr2
	s_and_saveexec_b64 s[28:29], vcc
	s_xor_b64 s[28:29], exec, s[28:29]
; %bb.2568:                             ;   in Loop: Header=BB4_2066 Depth=4
	v_cmp_lt_u64_e32 vcc, s[88:89], v[60:61]
	v_add_u32_e32 v0, 15, v22
	v_cndmask_b32_e32 v2, v21, v0, vcc
	v_cndmask_b32_e64 v0, 0, 1, vcc
	v_lshrrev_b64 v[0:1], v0, v[60:61]
; %bb.2569:                             ;   in Loop: Header=BB4_2066 Depth=4
	s_andn2_saveexec_b64 s[28:29], s[28:29]
; %bb.2570:                             ;   in Loop: Header=BB4_2066 Depth=4
	v_mov_b32_e32 v0, v60
	v_bfe_u32 v2, v60, 23, 1
	v_mov_b32_e32 v1, v61
; %bb.2571:                             ;   in Loop: Header=BB4_2066 Depth=4
	s_or_b64 exec, exec, s[28:29]
	v_lshrrev_b64 v[0:1], 21, v[0:1]
	v_cmp_gt_i32_e32 vcc, 32, v2
	v_cndmask_b32_e32 v1, 0, v1, vcc
	v_cndmask_b32_e32 v0, 3, v0, vcc
	v_cmp_ne_u64_e32 vcc, 0, v[0:1]
	v_cmp_ne_u32_e64 s[28:29], 0, v2
	s_or_b64 s[28:29], s[28:29], vcc
                                        ; implicit-def: $vgpr21
	s_and_saveexec_b64 vcc, s[28:29]
	s_xor_b64 s[28:29], exec, vcc
; %bb.2572:                             ;   in Loop: Header=BB4_2066 Depth=4
	v_min_i32_e32 v1, 31, v2
	v_lshl_or_b32 v1, v1, 2, v20
	v_and_or_b32 v21, v0, 3, v1
                                        ; implicit-def: $vgpr20
; %bb.2573:                             ;   in Loop: Header=BB4_2066 Depth=4
	s_andn2_saveexec_b64 s[28:29], s[28:29]
; %bb.2574:                             ;   in Loop: Header=BB4_2066 Depth=4
	v_mov_b32_e32 v21, v20
; %bb.2575:                             ;   in Loop: Header=BB4_2066 Depth=4
	s_or_b64 exec, exec, s[28:29]
.LBB4_2576:                             ;   in Loop: Header=BB4_2066 Depth=4
	s_or_b64 exec, exec, s[38:39]
                                        ; implicit-def: $vgpr20
.LBB4_2577:                             ;   in Loop: Header=BB4_2066 Depth=4
	s_andn2_saveexec_b64 s[28:29], s[36:37]
; %bb.2578:                             ;   in Loop: Header=BB4_2066 Depth=4
	v_or_b32_e32 v21, 0x7b, v20
; %bb.2579:                             ;   in Loop: Header=BB4_2066 Depth=4
	s_or_b64 exec, exec, s[28:29]
                                        ; implicit-def: $vgpr0
.LBB4_2580:                             ;   in Loop: Header=BB4_2066 Depth=4
	s_andn2_saveexec_b64 s[28:29], s[34:35]
	s_cbranch_execz .LBB4_2586
; %bb.2581:                             ;   in Loop: Header=BB4_2066 Depth=4
	v_cmp_ne_u64_e32 vcc, 0, v[60:61]
                                        ; implicit-def: $vgpr21
	s_and_saveexec_b64 s[34:35], vcc
	s_xor_b64 vcc, exec, s[34:35]
; %bb.2582:                             ;   in Loop: Header=BB4_2066 Depth=4
	v_or_b32_sdwa v21, v0, s44 dst_sel:DWORD dst_unused:UNUSED_PAD src0_sel:BYTE_3 src1_sel:DWORD
                                        ; implicit-def: $vgpr0
; %bb.2583:                             ;   in Loop: Header=BB4_2066 Depth=4
	s_andn2_saveexec_b64 s[34:35], vcc
; %bb.2584:                             ;   in Loop: Header=BB4_2066 Depth=4
	v_cmp_lt_i32_e32 vcc, -1, v0
	v_mov_b32_e32 v0, 0x7c
	v_cndmask_b32_e32 v21, -4, v0, vcc
; %bb.2585:                             ;   in Loop: Header=BB4_2066 Depth=4
	s_or_b64 exec, exec, s[34:35]
.LBB4_2586:                             ;   in Loop: Header=BB4_2066 Depth=4
	s_or_b64 exec, exec, s[28:29]
	v_cmp_ne_u16_e32 vcc, 0, v19
	v_mov_b32_e32 v0, 0
	v_mov_b32_e32 v1, 0
	s_and_saveexec_b64 s[28:29], vcc
	s_cbranch_execz .LBB4_2594
; %bb.2587:                             ;   in Loop: Header=BB4_2066 Depth=4
	v_cmp_ne_u16_e32 vcc, s70, v19
	v_bfrev_b32_e32 v1, 1
	s_and_saveexec_b64 s[34:35], vcc
	s_cbranch_execz .LBB4_2593
; %bb.2588:                             ;   in Loop: Header=BB4_2066 Depth=4
	v_and_b32_e32 v1, 0x7c, v19
	v_and_b32_e32 v2, 3, v19
	v_cmp_ne_u32_e32 vcc, s71, v1
                                        ; implicit-def: $vgpr1
	s_and_saveexec_b64 s[36:37], vcc
	s_xor_b64 s[36:37], exec, s[36:37]
	s_cbranch_execz .LBB4_2590
; %bb.2589:                             ;   in Loop: Header=BB4_2066 Depth=4
	v_ffbh_u32_e32 v22, v2
	v_min_u32_e32 v22, 32, v22
	v_and_b32_e32 v1, 0xff, v19
	v_mov_b32_e32 v20, v61
	v_subrev_u32_e32 v26, 29, v22
	v_bfe_u32 v1, v1, 2, 5
	v_lshlrev_b64 v[26:27], v26, v[19:20]
	v_sub_u32_e32 v20, 30, v22
	v_cmp_eq_u32_e32 vcc, 0, v1
	v_and_b32_e32 v22, 3, v26
	v_cndmask_b32_e32 v1, v1, v20, vcc
	v_and_b32_sdwa v19, sext(v19), s80 dst_sel:DWORD dst_unused:UNUSED_PAD src0_sel:WORD_0 src1_sel:DWORD
	v_cndmask_b32_e32 v2, v2, v22, vcc
	v_lshl_add_u32 v1, v1, 23, v19
	v_lshl_or_b32 v1, v2, 21, v1
	v_add_u32_e32 v1, 0x38000000, v1
                                        ; implicit-def: $vgpr2
                                        ; implicit-def: $vgpr19
.LBB4_2590:                             ;   in Loop: Header=BB4_2066 Depth=4
	s_andn2_saveexec_b64 s[36:37], s[36:37]
; %bb.2591:                             ;   in Loop: Header=BB4_2066 Depth=4
	v_cmp_lt_i16_e32 vcc, -1, v19
	v_mov_b32_e32 v1, 0xff800000
	v_cndmask_b32_e32 v1, v1, v47, vcc
	v_cmp_eq_u32_e32 vcc, 0, v2
	v_mov_b32_e32 v2, 0x7f800001
	v_cndmask_b32_e32 v1, v2, v1, vcc
; %bb.2592:                             ;   in Loop: Header=BB4_2066 Depth=4
	s_or_b64 exec, exec, s[36:37]
.LBB4_2593:                             ;   in Loop: Header=BB4_2066 Depth=4
	s_or_b64 exec, exec, s[34:35]
.LBB4_2594:                             ;   in Loop: Header=BB4_2066 Depth=4
	s_or_b64 exec, exec, s[28:29]
	v_cmp_ne_u16_e32 vcc, 0, v18
	s_and_saveexec_b64 s[28:29], vcc
	s_cbranch_execz .LBB4_2602
; %bb.2595:                             ;   in Loop: Header=BB4_2066 Depth=4
	v_cmp_ne_u16_e32 vcc, s70, v18
	v_bfrev_b32_e32 v0, 1
	s_and_saveexec_b64 s[34:35], vcc
	s_cbranch_execz .LBB4_2601
; %bb.2596:                             ;   in Loop: Header=BB4_2066 Depth=4
	v_and_b32_e32 v0, 0x7c, v18
	v_and_b32_e32 v2, 3, v18
	v_cmp_ne_u32_e32 vcc, s71, v0
                                        ; implicit-def: $vgpr0
	s_and_saveexec_b64 s[36:37], vcc
	s_xor_b64 s[36:37], exec, s[36:37]
	s_cbranch_execz .LBB4_2598
; %bb.2597:                             ;   in Loop: Header=BB4_2066 Depth=4
	v_ffbh_u32_e32 v20, v2
	v_min_u32_e32 v22, 32, v20
	v_and_b32_e32 v0, 0xff, v18
	v_mov_b32_e32 v19, v61
	v_subrev_u32_e32 v20, 29, v22
	v_bfe_u32 v0, v0, 2, 5
	v_lshlrev_b64 v[19:20], v20, v[18:19]
	v_sub_u32_e32 v20, 30, v22
	v_cmp_eq_u32_e32 vcc, 0, v0
	v_and_b32_e32 v19, 3, v19
	v_cndmask_b32_e32 v0, v0, v20, vcc
	v_and_b32_sdwa v18, sext(v18), s80 dst_sel:DWORD dst_unused:UNUSED_PAD src0_sel:WORD_0 src1_sel:DWORD
	v_cndmask_b32_e32 v2, v2, v19, vcc
	v_lshl_add_u32 v0, v0, 23, v18
	v_lshl_or_b32 v0, v2, 21, v0
	v_add_u32_e32 v0, 0x38000000, v0
                                        ; implicit-def: $vgpr2
                                        ; implicit-def: $vgpr18
.LBB4_2598:                             ;   in Loop: Header=BB4_2066 Depth=4
	s_andn2_saveexec_b64 s[36:37], s[36:37]
; %bb.2599:                             ;   in Loop: Header=BB4_2066 Depth=4
	v_cmp_lt_i16_e32 vcc, -1, v18
	v_mov_b32_e32 v0, 0xff800000
	v_cndmask_b32_e32 v0, v0, v47, vcc
	v_cmp_eq_u32_e32 vcc, 0, v2
	v_mov_b32_e32 v2, 0x7f800001
	v_cndmask_b32_e32 v0, v2, v0, vcc
; %bb.2600:                             ;   in Loop: Header=BB4_2066 Depth=4
	s_or_b64 exec, exec, s[36:37]
.LBB4_2601:                             ;   in Loop: Header=BB4_2066 Depth=4
	s_or_b64 exec, exec, s[34:35]
.LBB4_2602:                             ;   in Loop: Header=BB4_2066 Depth=4
	s_or_b64 exec, exec, s[28:29]
	v_mul_f32_e32 v0, v1, v0
	v_and_b32_e32 v1, 0x7f800000, v0
	v_mov_b32_e32 v2, v61
	v_cmp_ne_u64_e32 vcc, s[62:63], v[1:2]
	v_and_b32_e32 v60, 0x7fffff, v0
                                        ; implicit-def: $vgpr19
	s_and_saveexec_b64 s[28:29], vcc
	s_xor_b64 s[34:35], exec, s[28:29]
	s_cbranch_execz .LBB4_2620
; %bb.2603:                             ;   in Loop: Header=BB4_2066 Depth=4
	v_and_b32_e32 v1, 0x7fffffff, v0
	v_mov_b32_e32 v2, v61
	v_cmp_gt_u64_e32 vcc, s[78:79], v[1:2]
	v_and_b32_sdwa v18, v0, s81 dst_sel:DWORD dst_unused:UNUSED_PAD src0_sel:BYTE_3 src1_sel:DWORD
                                        ; implicit-def: $vgpr19
	s_and_saveexec_b64 s[28:29], vcc
	s_xor_b64 s[36:37], exec, s[28:29]
	s_cbranch_execz .LBB4_2617
; %bb.2604:                             ;   in Loop: Header=BB4_2066 Depth=4
	v_cmp_ne_u32_e32 vcc, 0, v0
	v_mov_b32_e32 v19, 0
	s_and_saveexec_b64 s[38:39], vcc
	s_cbranch_execz .LBB4_2616
; %bb.2605:                             ;   in Loop: Header=BB4_2066 Depth=4
	v_bfe_u32 v19, v0, 23, 8
	v_cmp_gt_u32_e64 s[28:29], s47, v19
	v_sub_u32_e32 v0, 0x71, v19
	v_cmp_eq_u32_e32 vcc, 0, v19
	v_cndmask_b32_e64 v0, 0, v0, s[28:29]
	v_mov_b32_e32 v2, 0x70
	v_cndmask_b32_e32 v20, v0, v2, vcc
	v_or_b32_e32 v1, 0x800000, v60
	v_add_u32_e32 v0, 21, v20
	v_cndmask_b32_e32 v60, v1, v60, vcc
	v_lshlrev_b64 v[0:1], v0, -1
	v_add_u32_e32 v2, 20, v20
	v_lshlrev_b64 v[26:27], v2, 1
	v_bfi_b32 v1, v1, 0, 0
	v_bfi_b32 v0, v0, 0, v60
	v_cmp_eq_u64_e64 s[28:29], v[0:1], v[26:27]
	v_lshrrev_b64 v[0:1], v20, v[60:61]
	v_mov_b32_e32 v2, v1
	v_mov_b32_e32 v1, v0
	s_and_saveexec_b64 s[48:49], s[28:29]
; %bb.2606:                             ;   in Loop: Header=BB4_2066 Depth=4
	v_bfe_u32 v1, v0, 21, 1
	v_add_co_u32_e64 v1, s[28:29], v0, v1
	v_add_co_u32_e64 v1, s[28:29], -1, v1
; %bb.2607:                             ;   in Loop: Header=BB4_2066 Depth=4
	s_or_b64 exec, exec, s[48:49]
	v_add_u32_e32 v2, 0xffffff81, v19
	v_mov_b32_e32 v19, 0xffffff82
	v_cndmask_b32_e32 v2, v2, v19, vcc
	v_lshrrev_b32_e32 v19, 23, v0
	v_add3_u32 v20, v20, v2, v19
	v_add_u32_e32 v19, 14, v20
	v_and_b32_e32 v1, 0x1fffff, v1
	v_add_u32_e32 v60, v1, v0
	v_cmp_ne_u32_e32 vcc, 0, v19
                                        ; implicit-def: $vgpr0_vgpr1
                                        ; implicit-def: $vgpr2
	s_and_saveexec_b64 s[28:29], vcc
	s_xor_b64 s[28:29], exec, s[28:29]
; %bb.2608:                             ;   in Loop: Header=BB4_2066 Depth=4
	v_cmp_lt_u64_e32 vcc, s[88:89], v[60:61]
	v_add_u32_e32 v0, 15, v20
	v_cndmask_b32_e32 v2, v19, v0, vcc
	v_cndmask_b32_e64 v0, 0, 1, vcc
	v_lshrrev_b64 v[0:1], v0, v[60:61]
; %bb.2609:                             ;   in Loop: Header=BB4_2066 Depth=4
	s_andn2_saveexec_b64 s[28:29], s[28:29]
; %bb.2610:                             ;   in Loop: Header=BB4_2066 Depth=4
	v_mov_b32_e32 v0, v60
	v_bfe_u32 v2, v60, 23, 1
	v_mov_b32_e32 v1, v61
; %bb.2611:                             ;   in Loop: Header=BB4_2066 Depth=4
	s_or_b64 exec, exec, s[28:29]
	v_lshrrev_b64 v[0:1], 21, v[0:1]
	v_cmp_gt_i32_e32 vcc, 32, v2
	v_cndmask_b32_e32 v1, 0, v1, vcc
	v_cndmask_b32_e32 v0, 3, v0, vcc
	v_cmp_ne_u64_e32 vcc, 0, v[0:1]
	v_cmp_ne_u32_e64 s[28:29], 0, v2
	s_or_b64 s[28:29], s[28:29], vcc
                                        ; implicit-def: $vgpr19
	s_and_saveexec_b64 vcc, s[28:29]
	s_xor_b64 s[28:29], exec, vcc
; %bb.2612:                             ;   in Loop: Header=BB4_2066 Depth=4
	v_min_i32_e32 v1, 31, v2
	v_lshl_or_b32 v1, v1, 2, v18
	v_and_or_b32 v19, v0, 3, v1
                                        ; implicit-def: $vgpr18
; %bb.2613:                             ;   in Loop: Header=BB4_2066 Depth=4
	s_andn2_saveexec_b64 s[28:29], s[28:29]
; %bb.2614:                             ;   in Loop: Header=BB4_2066 Depth=4
	v_mov_b32_e32 v19, v18
; %bb.2615:                             ;   in Loop: Header=BB4_2066 Depth=4
	s_or_b64 exec, exec, s[28:29]
.LBB4_2616:                             ;   in Loop: Header=BB4_2066 Depth=4
	s_or_b64 exec, exec, s[38:39]
                                        ; implicit-def: $vgpr18
.LBB4_2617:                             ;   in Loop: Header=BB4_2066 Depth=4
	s_andn2_saveexec_b64 s[28:29], s[36:37]
; %bb.2618:                             ;   in Loop: Header=BB4_2066 Depth=4
	v_or_b32_e32 v19, 0x7b, v18
; %bb.2619:                             ;   in Loop: Header=BB4_2066 Depth=4
	s_or_b64 exec, exec, s[28:29]
                                        ; implicit-def: $vgpr0
.LBB4_2620:                             ;   in Loop: Header=BB4_2066 Depth=4
	s_andn2_saveexec_b64 s[28:29], s[34:35]
	s_cbranch_execz .LBB4_2626
; %bb.2621:                             ;   in Loop: Header=BB4_2066 Depth=4
	v_cmp_ne_u64_e32 vcc, 0, v[60:61]
                                        ; implicit-def: $vgpr19
	s_and_saveexec_b64 s[34:35], vcc
	s_xor_b64 vcc, exec, s[34:35]
; %bb.2622:                             ;   in Loop: Header=BB4_2066 Depth=4
	v_or_b32_sdwa v19, v0, s44 dst_sel:DWORD dst_unused:UNUSED_PAD src0_sel:BYTE_3 src1_sel:DWORD
                                        ; implicit-def: $vgpr0
; %bb.2623:                             ;   in Loop: Header=BB4_2066 Depth=4
	s_andn2_saveexec_b64 s[34:35], vcc
; %bb.2624:                             ;   in Loop: Header=BB4_2066 Depth=4
	v_cmp_lt_i32_e32 vcc, -1, v0
	v_mov_b32_e32 v0, 0x7c
	v_cndmask_b32_e32 v19, -4, v0, vcc
; %bb.2625:                             ;   in Loop: Header=BB4_2066 Depth=4
	s_or_b64 exec, exec, s[34:35]
.LBB4_2626:                             ;   in Loop: Header=BB4_2066 Depth=4
	s_or_b64 exec, exec, s[28:29]
	v_cmp_ne_u16_e32 vcc, 0, v17
	v_mov_b32_e32 v0, 0
	v_mov_b32_e32 v1, 0
	s_and_saveexec_b64 s[28:29], vcc
	s_cbranch_execz .LBB4_2634
; %bb.2627:                             ;   in Loop: Header=BB4_2066 Depth=4
	v_cmp_ne_u16_e32 vcc, s70, v17
	v_bfrev_b32_e32 v1, 1
	s_and_saveexec_b64 s[34:35], vcc
	s_cbranch_execz .LBB4_2633
; %bb.2628:                             ;   in Loop: Header=BB4_2066 Depth=4
	v_and_b32_e32 v1, 0x7c, v17
	v_and_b32_e32 v2, 3, v17
	v_cmp_ne_u32_e32 vcc, s71, v1
                                        ; implicit-def: $vgpr1
	s_and_saveexec_b64 s[36:37], vcc
	s_xor_b64 s[36:37], exec, s[36:37]
	s_cbranch_execz .LBB4_2630
; %bb.2629:                             ;   in Loop: Header=BB4_2066 Depth=4
	v_ffbh_u32_e32 v20, v2
	v_min_u32_e32 v20, 32, v20
	v_and_b32_e32 v1, 0xff, v17
	v_mov_b32_e32 v18, v61
	v_subrev_u32_e32 v22, 29, v20
	v_bfe_u32 v1, v1, 2, 5
	v_lshlrev_b64 v[26:27], v22, v[17:18]
	v_sub_u32_e32 v18, 30, v20
	v_cmp_eq_u32_e32 vcc, 0, v1
	v_and_b32_e32 v20, 3, v26
	v_cndmask_b32_e32 v1, v1, v18, vcc
	v_and_b32_sdwa v17, sext(v17), s80 dst_sel:DWORD dst_unused:UNUSED_PAD src0_sel:WORD_0 src1_sel:DWORD
	v_cndmask_b32_e32 v2, v2, v20, vcc
	v_lshl_add_u32 v1, v1, 23, v17
	v_lshl_or_b32 v1, v2, 21, v1
	v_add_u32_e32 v1, 0x38000000, v1
                                        ; implicit-def: $vgpr2
                                        ; implicit-def: $vgpr17
.LBB4_2630:                             ;   in Loop: Header=BB4_2066 Depth=4
	s_andn2_saveexec_b64 s[36:37], s[36:37]
; %bb.2631:                             ;   in Loop: Header=BB4_2066 Depth=4
	v_cmp_lt_i16_e32 vcc, -1, v17
	v_mov_b32_e32 v1, 0xff800000
	v_cndmask_b32_e32 v1, v1, v47, vcc
	v_cmp_eq_u32_e32 vcc, 0, v2
	v_mov_b32_e32 v2, 0x7f800001
	v_cndmask_b32_e32 v1, v2, v1, vcc
; %bb.2632:                             ;   in Loop: Header=BB4_2066 Depth=4
	s_or_b64 exec, exec, s[36:37]
.LBB4_2633:                             ;   in Loop: Header=BB4_2066 Depth=4
	s_or_b64 exec, exec, s[34:35]
.LBB4_2634:                             ;   in Loop: Header=BB4_2066 Depth=4
	s_or_b64 exec, exec, s[28:29]
	v_cmp_ne_u16_e32 vcc, 0, v16
	s_and_saveexec_b64 s[28:29], vcc
	s_cbranch_execz .LBB4_2642
; %bb.2635:                             ;   in Loop: Header=BB4_2066 Depth=4
	v_cmp_ne_u16_e32 vcc, s70, v16
	v_bfrev_b32_e32 v0, 1
	s_and_saveexec_b64 s[34:35], vcc
	s_cbranch_execz .LBB4_2641
; %bb.2636:                             ;   in Loop: Header=BB4_2066 Depth=4
	v_and_b32_e32 v0, 0x7c, v16
	v_and_b32_e32 v2, 3, v16
	v_cmp_ne_u32_e32 vcc, s71, v0
                                        ; implicit-def: $vgpr0
	s_and_saveexec_b64 s[36:37], vcc
	s_xor_b64 s[36:37], exec, s[36:37]
	s_cbranch_execz .LBB4_2638
; %bb.2637:                             ;   in Loop: Header=BB4_2066 Depth=4
	v_ffbh_u32_e32 v18, v2
	v_min_u32_e32 v20, 32, v18
	v_and_b32_e32 v0, 0xff, v16
	v_mov_b32_e32 v17, v61
	v_subrev_u32_e32 v18, 29, v20
	v_bfe_u32 v0, v0, 2, 5
	v_lshlrev_b64 v[17:18], v18, v[16:17]
	v_sub_u32_e32 v18, 30, v20
	v_cmp_eq_u32_e32 vcc, 0, v0
	v_and_b32_e32 v17, 3, v17
	v_cndmask_b32_e32 v0, v0, v18, vcc
	v_and_b32_sdwa v16, sext(v16), s80 dst_sel:DWORD dst_unused:UNUSED_PAD src0_sel:WORD_0 src1_sel:DWORD
	v_cndmask_b32_e32 v2, v2, v17, vcc
	v_lshl_add_u32 v0, v0, 23, v16
	v_lshl_or_b32 v0, v2, 21, v0
	v_add_u32_e32 v0, 0x38000000, v0
                                        ; implicit-def: $vgpr2
                                        ; implicit-def: $vgpr16
.LBB4_2638:                             ;   in Loop: Header=BB4_2066 Depth=4
	s_andn2_saveexec_b64 s[36:37], s[36:37]
; %bb.2639:                             ;   in Loop: Header=BB4_2066 Depth=4
	v_cmp_lt_i16_e32 vcc, -1, v16
	v_mov_b32_e32 v0, 0xff800000
	v_cndmask_b32_e32 v0, v0, v47, vcc
	v_cmp_eq_u32_e32 vcc, 0, v2
	v_mov_b32_e32 v2, 0x7f800001
	v_cndmask_b32_e32 v0, v2, v0, vcc
; %bb.2640:                             ;   in Loop: Header=BB4_2066 Depth=4
	s_or_b64 exec, exec, s[36:37]
.LBB4_2641:                             ;   in Loop: Header=BB4_2066 Depth=4
	s_or_b64 exec, exec, s[34:35]
.LBB4_2642:                             ;   in Loop: Header=BB4_2066 Depth=4
	s_or_b64 exec, exec, s[28:29]
	v_mul_f32_e32 v0, v1, v0
	v_and_b32_e32 v1, 0x7f800000, v0
	v_mov_b32_e32 v2, v61
	v_cmp_ne_u64_e32 vcc, s[62:63], v[1:2]
	v_and_b32_e32 v60, 0x7fffff, v0
                                        ; implicit-def: $vgpr17
	s_and_saveexec_b64 s[28:29], vcc
	s_xor_b64 s[34:35], exec, s[28:29]
	s_cbranch_execz .LBB4_2660
; %bb.2643:                             ;   in Loop: Header=BB4_2066 Depth=4
	v_and_b32_e32 v1, 0x7fffffff, v0
	v_mov_b32_e32 v2, v61
	v_cmp_gt_u64_e32 vcc, s[78:79], v[1:2]
	v_and_b32_sdwa v16, v0, s81 dst_sel:DWORD dst_unused:UNUSED_PAD src0_sel:BYTE_3 src1_sel:DWORD
                                        ; implicit-def: $vgpr17
	s_and_saveexec_b64 s[28:29], vcc
	s_xor_b64 s[36:37], exec, s[28:29]
	s_cbranch_execz .LBB4_2657
; %bb.2644:                             ;   in Loop: Header=BB4_2066 Depth=4
	v_cmp_ne_u32_e32 vcc, 0, v0
	v_mov_b32_e32 v17, 0
	s_and_saveexec_b64 s[38:39], vcc
	s_cbranch_execz .LBB4_2656
; %bb.2645:                             ;   in Loop: Header=BB4_2066 Depth=4
	v_bfe_u32 v17, v0, 23, 8
	v_cmp_gt_u32_e64 s[28:29], s47, v17
	v_sub_u32_e32 v0, 0x71, v17
	v_cmp_eq_u32_e32 vcc, 0, v17
	v_cndmask_b32_e64 v0, 0, v0, s[28:29]
	v_mov_b32_e32 v2, 0x70
	v_cndmask_b32_e32 v18, v0, v2, vcc
	v_or_b32_e32 v1, 0x800000, v60
	v_add_u32_e32 v0, 21, v18
	v_cndmask_b32_e32 v60, v1, v60, vcc
	v_lshlrev_b64 v[0:1], v0, -1
	v_add_u32_e32 v2, 20, v18
	v_lshlrev_b64 v[26:27], v2, 1
	v_bfi_b32 v1, v1, 0, 0
	v_bfi_b32 v0, v0, 0, v60
	v_cmp_eq_u64_e64 s[28:29], v[0:1], v[26:27]
	v_lshrrev_b64 v[0:1], v18, v[60:61]
	v_mov_b32_e32 v2, v1
	v_mov_b32_e32 v1, v0
	s_and_saveexec_b64 s[48:49], s[28:29]
; %bb.2646:                             ;   in Loop: Header=BB4_2066 Depth=4
	v_bfe_u32 v1, v0, 21, 1
	v_add_co_u32_e64 v1, s[28:29], v0, v1
	v_add_co_u32_e64 v1, s[28:29], -1, v1
; %bb.2647:                             ;   in Loop: Header=BB4_2066 Depth=4
	s_or_b64 exec, exec, s[48:49]
	v_add_u32_e32 v2, 0xffffff81, v17
	v_mov_b32_e32 v17, 0xffffff82
	v_cndmask_b32_e32 v2, v2, v17, vcc
	v_lshrrev_b32_e32 v17, 23, v0
	v_add3_u32 v18, v18, v2, v17
	v_add_u32_e32 v17, 14, v18
	v_and_b32_e32 v1, 0x1fffff, v1
	v_add_u32_e32 v60, v1, v0
	v_cmp_ne_u32_e32 vcc, 0, v17
                                        ; implicit-def: $vgpr0_vgpr1
                                        ; implicit-def: $vgpr2
	s_and_saveexec_b64 s[28:29], vcc
	s_xor_b64 s[28:29], exec, s[28:29]
; %bb.2648:                             ;   in Loop: Header=BB4_2066 Depth=4
	v_cmp_lt_u64_e32 vcc, s[88:89], v[60:61]
	v_add_u32_e32 v0, 15, v18
	v_cndmask_b32_e32 v2, v17, v0, vcc
	v_cndmask_b32_e64 v0, 0, 1, vcc
	v_lshrrev_b64 v[0:1], v0, v[60:61]
; %bb.2649:                             ;   in Loop: Header=BB4_2066 Depth=4
	s_andn2_saveexec_b64 s[28:29], s[28:29]
; %bb.2650:                             ;   in Loop: Header=BB4_2066 Depth=4
	v_mov_b32_e32 v0, v60
	v_bfe_u32 v2, v60, 23, 1
	v_mov_b32_e32 v1, v61
; %bb.2651:                             ;   in Loop: Header=BB4_2066 Depth=4
	s_or_b64 exec, exec, s[28:29]
	v_lshrrev_b64 v[0:1], 21, v[0:1]
	v_cmp_gt_i32_e32 vcc, 32, v2
	v_cndmask_b32_e32 v1, 0, v1, vcc
	v_cndmask_b32_e32 v0, 3, v0, vcc
	v_cmp_ne_u64_e32 vcc, 0, v[0:1]
	v_cmp_ne_u32_e64 s[28:29], 0, v2
	s_or_b64 s[28:29], s[28:29], vcc
                                        ; implicit-def: $vgpr17
	s_and_saveexec_b64 vcc, s[28:29]
	s_xor_b64 s[28:29], exec, vcc
; %bb.2652:                             ;   in Loop: Header=BB4_2066 Depth=4
	v_min_i32_e32 v1, 31, v2
	v_lshl_or_b32 v1, v1, 2, v16
	v_and_or_b32 v17, v0, 3, v1
                                        ; implicit-def: $vgpr16
; %bb.2653:                             ;   in Loop: Header=BB4_2066 Depth=4
	s_andn2_saveexec_b64 s[28:29], s[28:29]
; %bb.2654:                             ;   in Loop: Header=BB4_2066 Depth=4
	v_mov_b32_e32 v17, v16
; %bb.2655:                             ;   in Loop: Header=BB4_2066 Depth=4
	s_or_b64 exec, exec, s[28:29]
.LBB4_2656:                             ;   in Loop: Header=BB4_2066 Depth=4
	s_or_b64 exec, exec, s[38:39]
                                        ; implicit-def: $vgpr16
.LBB4_2657:                             ;   in Loop: Header=BB4_2066 Depth=4
	s_andn2_saveexec_b64 s[28:29], s[36:37]
; %bb.2658:                             ;   in Loop: Header=BB4_2066 Depth=4
	v_or_b32_e32 v17, 0x7b, v16
; %bb.2659:                             ;   in Loop: Header=BB4_2066 Depth=4
	s_or_b64 exec, exec, s[28:29]
                                        ; implicit-def: $vgpr0
.LBB4_2660:                             ;   in Loop: Header=BB4_2066 Depth=4
	s_andn2_saveexec_b64 s[28:29], s[34:35]
	s_cbranch_execz .LBB4_2666
; %bb.2661:                             ;   in Loop: Header=BB4_2066 Depth=4
	v_cmp_ne_u64_e32 vcc, 0, v[60:61]
                                        ; implicit-def: $vgpr17
	s_and_saveexec_b64 s[34:35], vcc
	s_xor_b64 vcc, exec, s[34:35]
; %bb.2662:                             ;   in Loop: Header=BB4_2066 Depth=4
	v_or_b32_sdwa v17, v0, s44 dst_sel:DWORD dst_unused:UNUSED_PAD src0_sel:BYTE_3 src1_sel:DWORD
                                        ; implicit-def: $vgpr0
; %bb.2663:                             ;   in Loop: Header=BB4_2066 Depth=4
	s_andn2_saveexec_b64 s[34:35], vcc
; %bb.2664:                             ;   in Loop: Header=BB4_2066 Depth=4
	v_cmp_lt_i32_e32 vcc, -1, v0
	v_mov_b32_e32 v0, 0x7c
	v_cndmask_b32_e32 v17, -4, v0, vcc
; %bb.2665:                             ;   in Loop: Header=BB4_2066 Depth=4
	s_or_b64 exec, exec, s[34:35]
.LBB4_2666:                             ;   in Loop: Header=BB4_2066 Depth=4
	s_or_b64 exec, exec, s[28:29]
	v_cmp_ne_u16_e32 vcc, 0, v15
	v_mov_b32_e32 v0, 0
	v_mov_b32_e32 v1, 0
	s_and_saveexec_b64 s[28:29], vcc
	s_cbranch_execz .LBB4_2674
; %bb.2667:                             ;   in Loop: Header=BB4_2066 Depth=4
	v_cmp_ne_u16_e32 vcc, s70, v15
	v_bfrev_b32_e32 v1, 1
	s_and_saveexec_b64 s[34:35], vcc
	s_cbranch_execz .LBB4_2673
; %bb.2668:                             ;   in Loop: Header=BB4_2066 Depth=4
	v_and_b32_e32 v1, 0x7c, v15
	v_and_b32_e32 v2, 3, v15
	v_cmp_ne_u32_e32 vcc, s71, v1
                                        ; implicit-def: $vgpr1
	s_and_saveexec_b64 s[36:37], vcc
	s_xor_b64 s[36:37], exec, s[36:37]
	s_cbranch_execz .LBB4_2670
; %bb.2669:                             ;   in Loop: Header=BB4_2066 Depth=4
	v_ffbh_u32_e32 v18, v2
	v_min_u32_e32 v18, 32, v18
	v_and_b32_e32 v1, 0xff, v15
	v_mov_b32_e32 v16, v61
	v_subrev_u32_e32 v20, 29, v18
	v_bfe_u32 v1, v1, 2, 5
	v_lshlrev_b64 v[26:27], v20, v[15:16]
	v_sub_u32_e32 v16, 30, v18
	v_cmp_eq_u32_e32 vcc, 0, v1
	v_and_b32_e32 v18, 3, v26
	v_cndmask_b32_e32 v1, v1, v16, vcc
	v_and_b32_sdwa v15, sext(v15), s80 dst_sel:DWORD dst_unused:UNUSED_PAD src0_sel:WORD_0 src1_sel:DWORD
	v_cndmask_b32_e32 v2, v2, v18, vcc
	v_lshl_add_u32 v1, v1, 23, v15
	v_lshl_or_b32 v1, v2, 21, v1
	v_add_u32_e32 v1, 0x38000000, v1
                                        ; implicit-def: $vgpr2
                                        ; implicit-def: $vgpr15
.LBB4_2670:                             ;   in Loop: Header=BB4_2066 Depth=4
	s_andn2_saveexec_b64 s[36:37], s[36:37]
; %bb.2671:                             ;   in Loop: Header=BB4_2066 Depth=4
	v_cmp_lt_i16_e32 vcc, -1, v15
	v_mov_b32_e32 v1, 0xff800000
	v_cndmask_b32_e32 v1, v1, v47, vcc
	v_cmp_eq_u32_e32 vcc, 0, v2
	v_mov_b32_e32 v2, 0x7f800001
	v_cndmask_b32_e32 v1, v2, v1, vcc
; %bb.2672:                             ;   in Loop: Header=BB4_2066 Depth=4
	s_or_b64 exec, exec, s[36:37]
.LBB4_2673:                             ;   in Loop: Header=BB4_2066 Depth=4
	s_or_b64 exec, exec, s[34:35]
.LBB4_2674:                             ;   in Loop: Header=BB4_2066 Depth=4
	s_or_b64 exec, exec, s[28:29]
	v_cmp_ne_u16_e32 vcc, 0, v14
	s_and_saveexec_b64 s[28:29], vcc
	s_cbranch_execz .LBB4_2682
; %bb.2675:                             ;   in Loop: Header=BB4_2066 Depth=4
	v_cmp_ne_u16_e32 vcc, s70, v14
	v_bfrev_b32_e32 v0, 1
	s_and_saveexec_b64 s[34:35], vcc
	s_cbranch_execz .LBB4_2681
; %bb.2676:                             ;   in Loop: Header=BB4_2066 Depth=4
	v_and_b32_e32 v0, 0x7c, v14
	v_and_b32_e32 v2, 3, v14
	v_cmp_ne_u32_e32 vcc, s71, v0
                                        ; implicit-def: $vgpr0
	s_and_saveexec_b64 s[36:37], vcc
	s_xor_b64 s[36:37], exec, s[36:37]
	s_cbranch_execz .LBB4_2678
; %bb.2677:                             ;   in Loop: Header=BB4_2066 Depth=4
	v_ffbh_u32_e32 v16, v2
	v_min_u32_e32 v18, 32, v16
	v_and_b32_e32 v0, 0xff, v14
	v_mov_b32_e32 v15, v61
	v_subrev_u32_e32 v16, 29, v18
	v_bfe_u32 v0, v0, 2, 5
	v_lshlrev_b64 v[15:16], v16, v[14:15]
	v_sub_u32_e32 v16, 30, v18
	v_cmp_eq_u32_e32 vcc, 0, v0
	v_and_b32_e32 v15, 3, v15
	v_cndmask_b32_e32 v0, v0, v16, vcc
	v_and_b32_sdwa v14, sext(v14), s80 dst_sel:DWORD dst_unused:UNUSED_PAD src0_sel:WORD_0 src1_sel:DWORD
	v_cndmask_b32_e32 v2, v2, v15, vcc
	v_lshl_add_u32 v0, v0, 23, v14
	v_lshl_or_b32 v0, v2, 21, v0
	v_add_u32_e32 v0, 0x38000000, v0
                                        ; implicit-def: $vgpr2
                                        ; implicit-def: $vgpr14
.LBB4_2678:                             ;   in Loop: Header=BB4_2066 Depth=4
	s_andn2_saveexec_b64 s[36:37], s[36:37]
; %bb.2679:                             ;   in Loop: Header=BB4_2066 Depth=4
	v_cmp_lt_i16_e32 vcc, -1, v14
	v_mov_b32_e32 v0, 0xff800000
	v_cndmask_b32_e32 v0, v0, v47, vcc
	v_cmp_eq_u32_e32 vcc, 0, v2
	v_mov_b32_e32 v2, 0x7f800001
	v_cndmask_b32_e32 v0, v2, v0, vcc
; %bb.2680:                             ;   in Loop: Header=BB4_2066 Depth=4
	s_or_b64 exec, exec, s[36:37]
.LBB4_2681:                             ;   in Loop: Header=BB4_2066 Depth=4
	s_or_b64 exec, exec, s[34:35]
.LBB4_2682:                             ;   in Loop: Header=BB4_2066 Depth=4
	s_or_b64 exec, exec, s[28:29]
	v_mul_f32_e32 v0, v1, v0
	v_and_b32_e32 v1, 0x7f800000, v0
	v_mov_b32_e32 v2, v61
	v_cmp_ne_u64_e32 vcc, s[62:63], v[1:2]
	v_and_b32_e32 v60, 0x7fffff, v0
                                        ; implicit-def: $vgpr1
	s_and_saveexec_b64 s[28:29], vcc
	s_xor_b64 s[34:35], exec, s[28:29]
	s_cbranch_execz .LBB4_2700
; %bb.2683:                             ;   in Loop: Header=BB4_2066 Depth=4
	v_and_b32_e32 v1, 0x7fffffff, v0
	v_mov_b32_e32 v2, v61
	v_cmp_gt_u64_e32 vcc, s[78:79], v[1:2]
	v_and_b32_sdwa v14, v0, s81 dst_sel:DWORD dst_unused:UNUSED_PAD src0_sel:BYTE_3 src1_sel:DWORD
                                        ; implicit-def: $vgpr1
	s_and_saveexec_b64 s[28:29], vcc
	s_xor_b64 s[36:37], exec, s[28:29]
	s_cbranch_execz .LBB4_2697
; %bb.2684:                             ;   in Loop: Header=BB4_2066 Depth=4
	v_cmp_ne_u32_e32 vcc, 0, v0
	v_mov_b32_e32 v1, 0
	s_and_saveexec_b64 s[38:39], vcc
	s_cbranch_execz .LBB4_2696
; %bb.2685:                             ;   in Loop: Header=BB4_2066 Depth=4
	v_bfe_u32 v15, v0, 23, 8
	v_cmp_gt_u32_e64 s[28:29], s47, v15
	v_sub_u32_e32 v0, 0x71, v15
	v_cmp_eq_u32_e32 vcc, 0, v15
	v_cndmask_b32_e64 v0, 0, v0, s[28:29]
	v_mov_b32_e32 v2, 0x70
	v_cndmask_b32_e32 v16, v0, v2, vcc
	v_or_b32_e32 v1, 0x800000, v60
	v_add_u32_e32 v0, 21, v16
	v_cndmask_b32_e32 v60, v1, v60, vcc
	v_lshlrev_b64 v[0:1], v0, -1
	v_add_u32_e32 v2, 20, v16
	v_lshlrev_b64 v[26:27], v2, 1
	v_bfi_b32 v1, v1, 0, 0
	v_bfi_b32 v0, v0, 0, v60
	v_cmp_eq_u64_e64 s[28:29], v[0:1], v[26:27]
	v_lshrrev_b64 v[0:1], v16, v[60:61]
	v_mov_b32_e32 v2, v1
	v_mov_b32_e32 v1, v0
	s_and_saveexec_b64 s[48:49], s[28:29]
; %bb.2686:                             ;   in Loop: Header=BB4_2066 Depth=4
	v_bfe_u32 v1, v0, 21, 1
	v_add_co_u32_e64 v1, s[28:29], v0, v1
	v_add_co_u32_e64 v1, s[28:29], -1, v1
; %bb.2687:                             ;   in Loop: Header=BB4_2066 Depth=4
	s_or_b64 exec, exec, s[48:49]
	v_add_u32_e32 v2, 0xffffff81, v15
	v_mov_b32_e32 v15, 0xffffff82
	v_cndmask_b32_e32 v2, v2, v15, vcc
	v_lshrrev_b32_e32 v15, 23, v0
	v_add3_u32 v16, v16, v2, v15
	v_add_u32_e32 v15, 14, v16
	v_and_b32_e32 v1, 0x1fffff, v1
	v_add_u32_e32 v60, v1, v0
	v_cmp_ne_u32_e32 vcc, 0, v15
                                        ; implicit-def: $vgpr0_vgpr1
                                        ; implicit-def: $vgpr2
	s_and_saveexec_b64 s[28:29], vcc
	s_xor_b64 s[28:29], exec, s[28:29]
; %bb.2688:                             ;   in Loop: Header=BB4_2066 Depth=4
	v_cmp_lt_u64_e32 vcc, s[88:89], v[60:61]
	v_add_u32_e32 v0, 15, v16
	v_cndmask_b32_e32 v2, v15, v0, vcc
	v_cndmask_b32_e64 v0, 0, 1, vcc
	v_lshrrev_b64 v[0:1], v0, v[60:61]
; %bb.2689:                             ;   in Loop: Header=BB4_2066 Depth=4
	s_andn2_saveexec_b64 s[28:29], s[28:29]
; %bb.2690:                             ;   in Loop: Header=BB4_2066 Depth=4
	v_mov_b32_e32 v0, v60
	v_bfe_u32 v2, v60, 23, 1
	v_mov_b32_e32 v1, v61
; %bb.2691:                             ;   in Loop: Header=BB4_2066 Depth=4
	s_or_b64 exec, exec, s[28:29]
	v_lshrrev_b64 v[0:1], 21, v[0:1]
	v_cmp_gt_i32_e32 vcc, 32, v2
	v_cndmask_b32_e32 v1, 0, v1, vcc
	v_cndmask_b32_e32 v0, 3, v0, vcc
	v_cmp_ne_u64_e32 vcc, 0, v[0:1]
	v_cmp_ne_u32_e64 s[28:29], 0, v2
	s_or_b64 s[28:29], s[28:29], vcc
                                        ; implicit-def: $vgpr1
	s_and_saveexec_b64 vcc, s[28:29]
	s_xor_b64 s[28:29], exec, vcc
; %bb.2692:                             ;   in Loop: Header=BB4_2066 Depth=4
	v_min_i32_e32 v1, 31, v2
	v_lshl_or_b32 v1, v1, 2, v14
	v_and_or_b32 v1, v0, 3, v1
                                        ; implicit-def: $vgpr14
; %bb.2693:                             ;   in Loop: Header=BB4_2066 Depth=4
	s_andn2_saveexec_b64 s[28:29], s[28:29]
; %bb.2694:                             ;   in Loop: Header=BB4_2066 Depth=4
	v_mov_b32_e32 v1, v14
; %bb.2695:                             ;   in Loop: Header=BB4_2066 Depth=4
	s_or_b64 exec, exec, s[28:29]
.LBB4_2696:                             ;   in Loop: Header=BB4_2066 Depth=4
	s_or_b64 exec, exec, s[38:39]
                                        ; implicit-def: $vgpr14
.LBB4_2697:                             ;   in Loop: Header=BB4_2066 Depth=4
	s_andn2_saveexec_b64 s[28:29], s[36:37]
; %bb.2698:                             ;   in Loop: Header=BB4_2066 Depth=4
	v_or_b32_e32 v1, 0x7b, v14
; %bb.2699:                             ;   in Loop: Header=BB4_2066 Depth=4
	s_or_b64 exec, exec, s[28:29]
                                        ; implicit-def: $vgpr0
.LBB4_2700:                             ;   in Loop: Header=BB4_2066 Depth=4
	s_andn2_saveexec_b64 s[28:29], s[34:35]
	s_cbranch_execz .LBB4_2065
; %bb.2701:                             ;   in Loop: Header=BB4_2066 Depth=4
	v_cmp_ne_u64_e32 vcc, 0, v[60:61]
                                        ; implicit-def: $vgpr1
	s_and_saveexec_b64 s[34:35], vcc
	s_xor_b64 vcc, exec, s[34:35]
; %bb.2702:                             ;   in Loop: Header=BB4_2066 Depth=4
	v_or_b32_sdwa v1, v0, s44 dst_sel:DWORD dst_unused:UNUSED_PAD src0_sel:BYTE_3 src1_sel:DWORD
                                        ; implicit-def: $vgpr0
; %bb.2703:                             ;   in Loop: Header=BB4_2066 Depth=4
	s_andn2_saveexec_b64 s[34:35], vcc
	s_cbranch_execz .LBB4_2064
; %bb.2704:                             ;   in Loop: Header=BB4_2066 Depth=4
	v_cmp_lt_i32_e32 vcc, -1, v0
	v_mov_b32_e32 v0, 0x7c
	v_cndmask_b32_e32 v1, -4, v0, vcc
	s_branch .LBB4_2064
.LBB4_2705:                             ;   in Loop: Header=BB4_274 Depth=3
	s_or_b64 exec, exec, s[30:31]
	buffer_load_dword v59, off, s[0:3], s33 offset:192 ; 4-byte Folded Reload
	buffer_load_dword v8, off, s[0:3], s33 offset:200 ; 4-byte Folded Reload
	;; [unrolled: 1-line block ×6, first 2 shown]
.LBB4_2706:                             ;   in Loop: Header=BB4_274 Depth=3
	s_or_b64 exec, exec, s[42:43]
	s_waitcnt vmcnt(0)
	v_lshlrev_b32_e32 v0, 10, v5
	v_cmp_ne_u32_e32 vcc, v9, v0
	s_and_b64 exec, exec, vcc
	s_cbranch_execz .LBB4_2750
; %bb.2707:                             ;   in Loop: Header=BB4_274 Depth=3
	v_add_u32_e32 v1, v2, v1
	v_and_b32_e32 v1, 0xffffffc0, v1
	v_sub_u32_e32 v1, v2, v1
	v_lshlrev_b32_e32 v2, 6, v45
	v_sub_u32_e32 v1, v1, v2
	v_add_u32_e32 v0, v0, v1
	v_sub_u32_e32 v9, v9, v0
	v_cmp_lt_i32_e32 vcc, 0, v9
	s_and_b64 exec, exec, vcc
	s_cbranch_execz .LBB4_2750
; %bb.2708:                             ;   in Loop: Header=BB4_274 Depth=3
	v_add_u32_e32 v6, v0, v8
	s_trap 2
	ds_read_b128 v[0:3], v0
	v_ashrrev_i32_e32 v7, 31, v6
	s_mov_b64 s[42:43], 0
	s_waitcnt lgkmcnt(0)
	v_add_co_u32_e32 v0, vcc, v0, v6
	ds_read_b64 v[4:5], v0
	v_addc_co_u32_e32 v1, vcc, v1, v7, vcc
	v_add_co_u32_e32 v2, vcc, v2, v6
	v_addc_co_u32_e32 v3, vcc, v3, v7, vcc
	s_waitcnt lgkmcnt(0)
	v_add_co_u32_e32 v4, vcc, v4, v6
	v_addc_co_u32_e32 v5, vcc, v5, v7, vcc
	s_branch .LBB4_2711
.LBB4_2709:                             ;   in Loop: Header=BB4_2711 Depth=4
	s_or_b64 exec, exec, s[30:31]
.LBB4_2710:                             ;   in Loop: Header=BB4_2711 Depth=4
	s_or_b64 exec, exec, s[28:29]
	buffer_load_dword v6, off, s[0:3], s33 offset:72 ; 4-byte Folded Reload
	s_waitcnt vmcnt(0)
	v_add_co_u32_e32 v0, vcc, v0, v6
	v_addc_co_u32_e32 v1, vcc, 0, v1, vcc
	v_add_co_u32_e32 v2, vcc, v2, v6
	v_addc_co_u32_e32 v3, vcc, 0, v3, vcc
	v_sub_u32_e32 v9, v9, v6
	v_cmp_gt_i32_e32 vcc, 1, v9
	flat_store_byte v[4:5], v7 glc slc
	s_or_b64 s[42:43], vcc, s[42:43]
	v_add_co_u32_e32 v4, vcc, v4, v6
	v_addc_co_u32_e32 v5, vcc, 0, v5, vcc
	s_andn2_b64 exec, exec, s[42:43]
	s_cbranch_execz .LBB4_2750
.LBB4_2711:                             ;   Parent Loop BB4_47 Depth=1
                                        ;     Parent Loop BB4_271 Depth=2
                                        ;       Parent Loop BB4_274 Depth=3
                                        ; =>      This Inner Loop Header: Depth=4
	flat_load_sbyte v60, v[0:1] glc slc
	flat_load_sbyte v6, v[2:3] glc slc
	v_mov_b32_e32 v7, 0
	v_mov_b32_e32 v8, 0
	s_waitcnt vmcnt(0) lgkmcnt(0)
	v_cmp_ne_u16_e32 vcc, 0, v60
	s_and_saveexec_b64 s[28:29], vcc
	s_cbranch_execz .LBB4_2719
; %bb.2712:                             ;   in Loop: Header=BB4_2711 Depth=4
	v_cmp_ne_u16_e32 vcc, s70, v60
	v_bfrev_b32_e32 v8, 1
	s_and_saveexec_b64 s[30:31], vcc
	s_cbranch_execz .LBB4_2718
; %bb.2713:                             ;   in Loop: Header=BB4_2711 Depth=4
	v_and_b32_e32 v8, 0x7c, v60
	v_and_b32_e32 v10, 3, v60
	v_cmp_ne_u32_e32 vcc, s71, v8
                                        ; implicit-def: $vgpr8
	s_and_saveexec_b64 s[34:35], vcc
	s_xor_b64 s[34:35], exec, s[34:35]
	s_cbranch_execz .LBB4_2715
; %bb.2714:                             ;   in Loop: Header=BB4_2711 Depth=4
	v_ffbh_u32_e32 v11, v10
	v_min_u32_e32 v13, 32, v11
	v_subrev_u32_e32 v11, 29, v13
	v_and_b32_e32 v8, 0xff, v60
	v_lshlrev_b64 v[11:12], v11, v[60:61]
	v_bfe_u32 v8, v8, 2, 5
	v_sub_u32_e32 v12, 30, v13
	v_and_b32_e32 v11, 3, v11
	v_cmp_eq_u32_e32 vcc, 0, v8
	v_cndmask_b32_e32 v8, v8, v12, vcc
	v_cndmask_b32_e32 v10, v10, v11, vcc
	v_and_b32_sdwa v11, sext(v60), s80 dst_sel:DWORD dst_unused:UNUSED_PAD src0_sel:WORD_0 src1_sel:DWORD
	v_lshl_add_u32 v8, v8, 23, v11
	v_lshl_or_b32 v8, v10, 21, v8
	v_add_u32_e32 v8, 0x38000000, v8
                                        ; implicit-def: $vgpr10
.LBB4_2715:                             ;   in Loop: Header=BB4_2711 Depth=4
	s_andn2_saveexec_b64 s[34:35], s[34:35]
; %bb.2716:                             ;   in Loop: Header=BB4_2711 Depth=4
	v_cmp_lt_i16_e32 vcc, -1, v60
	v_mov_b32_e32 v8, 0xff800000
	v_cndmask_b32_e32 v8, v8, v47, vcc
	v_cmp_eq_u32_e32 vcc, 0, v10
	v_mov_b32_e32 v10, 0x7f800001
	v_cndmask_b32_e32 v8, v10, v8, vcc
; %bb.2717:                             ;   in Loop: Header=BB4_2711 Depth=4
	s_or_b64 exec, exec, s[34:35]
.LBB4_2718:                             ;   in Loop: Header=BB4_2711 Depth=4
	s_or_b64 exec, exec, s[30:31]
.LBB4_2719:                             ;   in Loop: Header=BB4_2711 Depth=4
	s_or_b64 exec, exec, s[28:29]
	v_cmp_ne_u16_e32 vcc, 0, v6
	s_and_saveexec_b64 s[28:29], vcc
	s_cbranch_execz .LBB4_2727
; %bb.2720:                             ;   in Loop: Header=BB4_2711 Depth=4
	v_cmp_ne_u16_e32 vcc, s70, v6
	v_bfrev_b32_e32 v7, 1
	s_and_saveexec_b64 s[30:31], vcc
	s_cbranch_execz .LBB4_2726
; %bb.2721:                             ;   in Loop: Header=BB4_2711 Depth=4
	v_and_b32_e32 v7, 0x7c, v6
	v_and_b32_e32 v10, 3, v6
	v_cmp_ne_u32_e32 vcc, s71, v7
                                        ; implicit-def: $vgpr7
	s_and_saveexec_b64 s[34:35], vcc
	s_xor_b64 s[34:35], exec, s[34:35]
	s_cbranch_execz .LBB4_2723
; %bb.2722:                             ;   in Loop: Header=BB4_2711 Depth=4
	v_ffbh_u32_e32 v13, v10
	v_and_b32_e32 v7, 0xff, v6
	v_min_u32_e32 v13, 32, v13
	v_bfe_u32 v11, v7, 2, 5
	v_mov_b32_e32 v7, v61
	v_subrev_u32_e32 v14, 29, v13
	v_and_b32_sdwa v12, sext(v6), s80 dst_sel:DWORD dst_unused:UNUSED_PAD src0_sel:WORD_0 src1_sel:DWORD
	v_lshlrev_b64 v[6:7], v14, v[6:7]
	v_sub_u32_e32 v7, 30, v13
	v_cmp_eq_u32_e32 vcc, 0, v11
	v_and_b32_e32 v6, 3, v6
	v_cndmask_b32_e32 v7, v11, v7, vcc
	v_cndmask_b32_e32 v6, v10, v6, vcc
	v_lshl_add_u32 v7, v7, 23, v12
	v_lshl_or_b32 v6, v6, 21, v7
	v_add_u32_e32 v7, 0x38000000, v6
                                        ; implicit-def: $vgpr6
                                        ; implicit-def: $vgpr10
.LBB4_2723:                             ;   in Loop: Header=BB4_2711 Depth=4
	s_andn2_saveexec_b64 s[34:35], s[34:35]
; %bb.2724:                             ;   in Loop: Header=BB4_2711 Depth=4
	v_cmp_lt_i16_e32 vcc, -1, v6
	v_mov_b32_e32 v6, 0xff800000
	v_cndmask_b32_e32 v6, v6, v47, vcc
	v_cmp_eq_u32_e32 vcc, 0, v10
	v_mov_b32_e32 v7, 0x7f800001
	v_cndmask_b32_e32 v7, v7, v6, vcc
; %bb.2725:                             ;   in Loop: Header=BB4_2711 Depth=4
	s_or_b64 exec, exec, s[34:35]
.LBB4_2726:                             ;   in Loop: Header=BB4_2711 Depth=4
	s_or_b64 exec, exec, s[30:31]
.LBB4_2727:                             ;   in Loop: Header=BB4_2711 Depth=4
	s_or_b64 exec, exec, s[28:29]
	v_mul_f32_e32 v6, v8, v7
	v_and_b32_e32 v7, 0x7f800000, v6
	v_mov_b32_e32 v8, v61
	v_cmp_ne_u64_e32 vcc, s[62:63], v[7:8]
	v_and_b32_e32 v60, 0x7fffff, v6
                                        ; implicit-def: $vgpr7
	s_and_saveexec_b64 s[28:29], vcc
	s_xor_b64 s[30:31], exec, s[28:29]
	s_cbranch_execz .LBB4_2745
; %bb.2728:                             ;   in Loop: Header=BB4_2711 Depth=4
	v_and_b32_e32 v7, 0x7fffffff, v6
	v_mov_b32_e32 v8, v61
	v_cmp_gt_u64_e32 vcc, s[78:79], v[7:8]
	v_and_b32_sdwa v10, v6, s81 dst_sel:DWORD dst_unused:UNUSED_PAD src0_sel:BYTE_3 src1_sel:DWORD
                                        ; implicit-def: $vgpr7
	s_and_saveexec_b64 s[28:29], vcc
	s_xor_b64 s[34:35], exec, s[28:29]
	s_cbranch_execz .LBB4_2742
; %bb.2729:                             ;   in Loop: Header=BB4_2711 Depth=4
	v_cmp_ne_u32_e32 vcc, 0, v6
	v_mov_b32_e32 v7, 0
	s_and_saveexec_b64 s[36:37], vcc
	s_cbranch_execz .LBB4_2741
; %bb.2730:                             ;   in Loop: Header=BB4_2711 Depth=4
	v_bfe_u32 v11, v6, 23, 8
	v_cmp_gt_u32_e64 s[28:29], s47, v11
	v_sub_u32_e32 v6, 0x71, v11
	v_cmp_eq_u32_e32 vcc, 0, v11
	v_cndmask_b32_e64 v6, 0, v6, s[28:29]
	v_mov_b32_e32 v8, 0x70
	v_cndmask_b32_e32 v12, v6, v8, vcc
	v_or_b32_e32 v7, 0x800000, v60
	v_add_u32_e32 v6, 21, v12
	v_cndmask_b32_e32 v60, v7, v60, vcc
	v_lshlrev_b64 v[6:7], v6, -1
	v_add_u32_e32 v8, 20, v12
	v_lshlrev_b64 v[13:14], v8, 1
	v_bfi_b32 v7, v7, 0, 0
	v_bfi_b32 v6, v6, 0, v60
	v_cmp_eq_u64_e64 s[28:29], v[6:7], v[13:14]
	v_lshrrev_b64 v[6:7], v12, v[60:61]
	v_mov_b32_e32 v8, v7
	v_mov_b32_e32 v7, v6
	s_and_saveexec_b64 s[38:39], s[28:29]
; %bb.2731:                             ;   in Loop: Header=BB4_2711 Depth=4
	v_bfe_u32 v7, v6, 21, 1
	v_add_co_u32_e64 v7, s[28:29], v6, v7
	v_add_co_u32_e64 v7, s[28:29], -1, v7
; %bb.2732:                             ;   in Loop: Header=BB4_2711 Depth=4
	s_or_b64 exec, exec, s[38:39]
	v_add_u32_e32 v8, 0xffffff81, v11
	v_mov_b32_e32 v11, 0xffffff82
	v_cndmask_b32_e32 v8, v8, v11, vcc
	v_lshrrev_b32_e32 v11, 23, v6
	v_add3_u32 v12, v12, v8, v11
	v_add_u32_e32 v11, 14, v12
	v_and_b32_e32 v7, 0x1fffff, v7
	v_add_u32_e32 v60, v7, v6
	v_cmp_ne_u32_e32 vcc, 0, v11
                                        ; implicit-def: $vgpr6_vgpr7
                                        ; implicit-def: $vgpr8
	s_and_saveexec_b64 s[28:29], vcc
	s_xor_b64 s[28:29], exec, s[28:29]
; %bb.2733:                             ;   in Loop: Header=BB4_2711 Depth=4
	v_cmp_lt_u64_e32 vcc, s[88:89], v[60:61]
	v_add_u32_e32 v6, 15, v12
	v_cndmask_b32_e32 v8, v11, v6, vcc
	v_cndmask_b32_e64 v6, 0, 1, vcc
	v_lshrrev_b64 v[6:7], v6, v[60:61]
; %bb.2734:                             ;   in Loop: Header=BB4_2711 Depth=4
	s_andn2_saveexec_b64 s[28:29], s[28:29]
; %bb.2735:                             ;   in Loop: Header=BB4_2711 Depth=4
	v_mov_b32_e32 v6, v60
	v_bfe_u32 v8, v60, 23, 1
	v_mov_b32_e32 v7, v61
; %bb.2736:                             ;   in Loop: Header=BB4_2711 Depth=4
	s_or_b64 exec, exec, s[28:29]
	v_lshrrev_b64 v[6:7], 21, v[6:7]
	v_cmp_gt_i32_e32 vcc, 32, v8
	v_cndmask_b32_e32 v7, 0, v7, vcc
	v_cndmask_b32_e32 v6, 3, v6, vcc
	v_cmp_ne_u64_e32 vcc, 0, v[6:7]
	v_cmp_ne_u32_e64 s[28:29], 0, v8
	s_or_b64 s[28:29], s[28:29], vcc
                                        ; implicit-def: $vgpr7
	s_and_saveexec_b64 vcc, s[28:29]
	s_xor_b64 s[28:29], exec, vcc
; %bb.2737:                             ;   in Loop: Header=BB4_2711 Depth=4
	v_min_i32_e32 v7, 31, v8
	v_lshl_or_b32 v7, v7, 2, v10
	v_and_or_b32 v7, v6, 3, v7
                                        ; implicit-def: $vgpr10
; %bb.2738:                             ;   in Loop: Header=BB4_2711 Depth=4
	s_andn2_saveexec_b64 s[28:29], s[28:29]
; %bb.2739:                             ;   in Loop: Header=BB4_2711 Depth=4
	v_mov_b32_e32 v7, v10
; %bb.2740:                             ;   in Loop: Header=BB4_2711 Depth=4
	s_or_b64 exec, exec, s[28:29]
.LBB4_2741:                             ;   in Loop: Header=BB4_2711 Depth=4
	s_or_b64 exec, exec, s[36:37]
                                        ; implicit-def: $vgpr10
.LBB4_2742:                             ;   in Loop: Header=BB4_2711 Depth=4
	s_andn2_saveexec_b64 s[28:29], s[34:35]
; %bb.2743:                             ;   in Loop: Header=BB4_2711 Depth=4
	v_or_b32_e32 v7, 0x7b, v10
; %bb.2744:                             ;   in Loop: Header=BB4_2711 Depth=4
	s_or_b64 exec, exec, s[28:29]
                                        ; implicit-def: $vgpr6
.LBB4_2745:                             ;   in Loop: Header=BB4_2711 Depth=4
	s_andn2_saveexec_b64 s[28:29], s[30:31]
	s_cbranch_execz .LBB4_2710
; %bb.2746:                             ;   in Loop: Header=BB4_2711 Depth=4
	v_cmp_ne_u64_e32 vcc, 0, v[60:61]
                                        ; implicit-def: $vgpr7
	s_and_saveexec_b64 s[30:31], vcc
	s_xor_b64 vcc, exec, s[30:31]
; %bb.2747:                             ;   in Loop: Header=BB4_2711 Depth=4
	v_or_b32_sdwa v7, v6, s44 dst_sel:DWORD dst_unused:UNUSED_PAD src0_sel:BYTE_3 src1_sel:DWORD
                                        ; implicit-def: $vgpr6
; %bb.2748:                             ;   in Loop: Header=BB4_2711 Depth=4
	s_andn2_saveexec_b64 s[30:31], vcc
	s_cbranch_execz .LBB4_2709
; %bb.2749:                             ;   in Loop: Header=BB4_2711 Depth=4
	v_cmp_lt_i32_e32 vcc, -1, v6
	v_mov_b32_e32 v6, 0x7c
	v_cndmask_b32_e32 v7, -4, v6, vcc
	s_branch .LBB4_2709
.LBB4_2750:                             ;   in Loop: Header=BB4_274 Depth=3
	s_or_b64 exec, exec, s[40:41]
	buffer_load_dword v0, off, s[0:3], s33 offset:116 ; 4-byte Folded Reload
	s_waitcnt vmcnt(0)
	v_cmp_lt_i32_e64 s[28:29], 0, v0
	s_and_saveexec_b64 s[40:41], s[10:11]
	s_cbranch_execz .LBB4_349
.LBB4_2751:                             ;   in Loop: Header=BB4_274 Depth=3
	s_and_saveexec_b64 s[42:43], s[58:59]
	s_xor_b64 s[42:43], exec, s[42:43]
	s_cbranch_execz .LBB4_2766
; %bb.2752:                             ;   in Loop: Header=BB4_274 Depth=3
	s_and_saveexec_b64 s[30:31], s[16:17]
	s_cbranch_execz .LBB4_2765
; %bb.2753:                             ;   in Loop: Header=BB4_274 Depth=3
	s_mov_b64 s[36:37], exec
	v_mbcnt_lo_u32_b32 v0, s36, 0
	v_mbcnt_hi_u32_b32 v0, s37, v0
	v_cmp_eq_u32_e32 vcc, 0, v0
	s_waitcnt vmcnt(0) lgkmcnt(0)
	buffer_wbinvl1_vol
	s_and_saveexec_b64 s[34:35], vcc
	s_cbranch_execz .LBB4_2755
; %bb.2754:                             ;   in Loop: Header=BB4_274 Depth=3
	s_bcnt1_i32_b64 vcc_lo, s[36:37]
	v_mov_b32_e32 v0, vcc_lo
	v_mov_b32_e32 v1, v61
	ds_add_u64 v0, v[0:1]
	s_trap 2
.LBB4_2755:                             ;   in Loop: Header=BB4_274 Depth=3
	s_or_b64 exec, exec, s[34:35]
	s_trap 2
	ds_read_b64 v[0:1], v0
	s_waitcnt lgkmcnt(0)
	v_mov_b32_e32 v2, v40
	v_mov_b32_e32 v3, v41
	v_add_co_u32_e32 v2, vcc, v2, v21
	v_addc_co_u32_e32 v3, vcc, 0, v3, vcc
	v_mov_b32_e32 v41, v3
	v_cmp_lt_u64_e32 vcc, v[0:1], v[2:3]
	v_mov_b32_e32 v40, v2
	s_and_saveexec_b64 s[34:35], vcc
	s_cbranch_execz .LBB4_2764
; %bb.2756:                             ;   in Loop: Header=BB4_274 Depth=3
	s_mov_b32 s54, 0
	s_mov_b64 s[36:37], 0
                                        ; implicit-def: $sgpr38_sgpr39
                                        ; implicit-def: $sgpr48_sgpr49
	s_branch .LBB4_2758
.LBB4_2757:                             ;   in Loop: Header=BB4_2758 Depth=4
	s_or_b64 exec, exec, s[52:53]
	s_and_b64 vcc, exec, vcc
	s_or_b64 s[36:37], vcc, s[36:37]
	s_andn2_b64 vcc, s[38:39], exec
	s_and_b64 s[38:39], s[48:49], exec
	s_or_b64 s[38:39], vcc, s[38:39]
	s_andn2_b64 exec, exec, s[36:37]
	s_cbranch_execz .LBB4_2762
.LBB4_2758:                             ;   Parent Loop BB4_47 Depth=1
                                        ;     Parent Loop BB4_271 Depth=2
                                        ;       Parent Loop BB4_274 Depth=3
                                        ; =>      This Inner Loop Header: Depth=4
	s_add_i32 s54, s54, 1
	s_cmpk_lg_i32 s54, 0x2710
	s_cselect_b64 s[50:51], -1, 0
	s_and_b64 vcc, exec, s[50:51]
	s_cbranch_vccz .LBB4_2760
; %bb.2759:                             ;   in Loop: Header=BB4_2758 Depth=4
	s_mov_b64 vcc, -1
	s_or_b64 s[48:49], s[48:49], exec
	s_and_saveexec_b64 s[52:53], s[50:51]
	s_cbranch_execz .LBB4_2757
	s_branch .LBB4_2761
.LBB4_2760:                             ;   in Loop: Header=BB4_2758 Depth=4
	s_trap 2
	ds_read_b64 v[0:1], v0
	s_andn2_b64 s[50:51], s[50:51], exec
	s_mov_b32 s54, 0
	s_waitcnt lgkmcnt(0)
	flat_load_dword v0, v[0:1] glc
	s_waitcnt vmcnt(0) lgkmcnt(0)
	buffer_wbinvl1_vol
	v_cmp_eq_u32_e32 vcc, 0, v0
	s_and_b64 vcc, vcc, exec
	s_or_b64 s[50:51], s[50:51], vcc
	s_mov_b64 vcc, -1
	s_or_b64 s[48:49], s[48:49], exec
	s_and_saveexec_b64 s[52:53], s[50:51]
	s_cbranch_execz .LBB4_2757
.LBB4_2761:                             ;   in Loop: Header=BB4_2758 Depth=4
	s_sleep 1
	s_trap 2
	ds_read_b64 v[0:1], v0
	s_waitcnt lgkmcnt(0)
	s_andn2_b64 s[48:49], s[48:49], exec
	v_cmp_ge_u64_e32 vcc, v[0:1], v[40:41]
	s_orn2_b64 vcc, vcc, exec
	s_branch .LBB4_2757
.LBB4_2762:                             ;   in Loop: Header=BB4_274 Depth=3
	s_or_b64 exec, exec, s[36:37]
	s_and_saveexec_b64 vcc, s[38:39]
	s_xor_b64 vcc, exec, vcc
	s_cbranch_execz .LBB4_2764
; %bb.2763:                             ;   in Loop: Header=BB4_274 Depth=3
	v_mov_b32_e32 v0, 1
	ds_write_b32 v0, v0
	s_trap 2
.LBB4_2764:                             ;   in Loop: Header=BB4_274 Depth=3
	s_or_b64 exec, exec, s[34:35]
	;;#ASMSTART
	s_wakeup
	;;#ASMEND
.LBB4_2765:                             ;   in Loop: Header=BB4_274 Depth=3
	s_or_b64 exec, exec, s[30:31]
.LBB4_2766:                             ;   in Loop: Header=BB4_274 Depth=3
	s_andn2_saveexec_b64 s[42:43], s[42:43]
	s_cbranch_execz .LBB4_2768
; %bb.2767:                             ;   in Loop: Header=BB4_274 Depth=3
	s_waitcnt vmcnt(0) lgkmcnt(0)
	buffer_wbinvl1_vol
	s_barrier
.LBB4_2768:                             ;   in Loop: Header=BB4_274 Depth=3
	s_or_b64 exec, exec, s[42:43]
	s_or_b64 exec, exec, s[40:41]
                                        ; implicit-def: $vgpr0
	s_and_saveexec_b64 s[40:41], s[24:25]
	s_xor_b64 s[40:41], exec, s[40:41]
	s_cbranch_execnz .LBB4_350
.LBB4_2769:                             ;   in Loop: Header=BB4_274 Depth=3
	s_andn2_saveexec_b64 s[28:29], s[40:41]
	s_cbranch_execz .LBB4_2788
.LBB4_2770:                             ;   in Loop: Header=BB4_274 Depth=3
	s_and_saveexec_b64 s[40:41], s[58:59]
	s_xor_b64 s[40:41], exec, s[40:41]
	s_cbranch_execz .LBB4_2785
; %bb.2771:                             ;   in Loop: Header=BB4_274 Depth=3
	s_and_saveexec_b64 s[42:43], s[16:17]
	s_cbranch_execz .LBB4_2784
; %bb.2772:                             ;   in Loop: Header=BB4_274 Depth=3
	s_mov_b64 s[34:35], exec
	v_mbcnt_lo_u32_b32 v0, s34, 0
	v_mbcnt_hi_u32_b32 v0, s35, v0
	v_cmp_eq_u32_e32 vcc, 0, v0
	;;#ASMSTART
	s_waitcnt lgkmcnt(0) vmcnt(0)
	;;#ASMEND
	s_and_saveexec_b64 s[30:31], vcc
	s_cbranch_execz .LBB4_2774
; %bb.2773:                             ;   in Loop: Header=BB4_274 Depth=3
	s_bcnt1_i32_b64 vcc_lo, s[34:35]
	v_mov_b32_e32 v0, vcc_lo
	v_mov_b32_e32 v1, v61
	s_waitcnt lgkmcnt(0)
	ds_add_u64 v0, v[0:1]
	s_trap 2
.LBB4_2774:                             ;   in Loop: Header=BB4_274 Depth=3
	s_or_b64 exec, exec, s[30:31]
	s_trap 2
	ds_read_b64 v[0:1], v0
	s_waitcnt lgkmcnt(0)
	v_mov_b32_e32 v2, v40
	v_mov_b32_e32 v3, v41
	v_add_co_u32_e32 v2, vcc, v2, v21
	v_addc_co_u32_e32 v3, vcc, 0, v3, vcc
	v_mov_b32_e32 v41, v3
	v_cmp_lt_u64_e32 vcc, v[0:1], v[2:3]
	v_mov_b32_e32 v40, v2
	s_and_saveexec_b64 s[30:31], vcc
	s_cbranch_execz .LBB4_2783
; %bb.2775:                             ;   in Loop: Header=BB4_274 Depth=3
	s_mov_b32 s52, 0
	s_mov_b64 s[34:35], 0
                                        ; implicit-def: $sgpr36_sgpr37
                                        ; implicit-def: $sgpr38_sgpr39
	s_branch .LBB4_2777
.LBB4_2776:                             ;   in Loop: Header=BB4_2777 Depth=4
	s_or_b64 exec, exec, s[50:51]
	s_and_b64 vcc, exec, vcc
	s_or_b64 s[34:35], vcc, s[34:35]
	s_andn2_b64 vcc, s[36:37], exec
	s_and_b64 s[36:37], s[38:39], exec
	s_or_b64 s[36:37], vcc, s[36:37]
	s_andn2_b64 exec, exec, s[34:35]
	s_cbranch_execz .LBB4_2781
.LBB4_2777:                             ;   Parent Loop BB4_47 Depth=1
                                        ;     Parent Loop BB4_271 Depth=2
                                        ;       Parent Loop BB4_274 Depth=3
                                        ; =>      This Inner Loop Header: Depth=4
	s_add_i32 s52, s52, 1
	s_cmpk_lg_i32 s52, 0x2710
	s_cselect_b64 s[48:49], -1, 0
	s_and_b64 vcc, exec, s[48:49]
	s_cbranch_vccz .LBB4_2779
; %bb.2778:                             ;   in Loop: Header=BB4_2777 Depth=4
	s_mov_b64 vcc, -1
	s_or_b64 s[38:39], s[38:39], exec
	s_and_saveexec_b64 s[50:51], s[48:49]
	s_cbranch_execz .LBB4_2776
	s_branch .LBB4_2780
.LBB4_2779:                             ;   in Loop: Header=BB4_2777 Depth=4
	s_trap 2
	ds_read_b64 v[0:1], v0
	s_andn2_b64 s[48:49], s[48:49], exec
	s_mov_b32 s52, 0
	s_waitcnt vmcnt(0) lgkmcnt(0)
	flat_load_dword v0, v[0:1] glc
	s_waitcnt vmcnt(0) lgkmcnt(0)
	buffer_wbinvl1_vol
	v_cmp_eq_u32_e32 vcc, 0, v0
	s_and_b64 vcc, vcc, exec
	s_or_b64 s[48:49], s[48:49], vcc
	s_mov_b64 vcc, -1
	s_or_b64 s[38:39], s[38:39], exec
	s_and_saveexec_b64 s[50:51], s[48:49]
	s_cbranch_execz .LBB4_2776
.LBB4_2780:                             ;   in Loop: Header=BB4_2777 Depth=4
	s_sleep 1
	s_trap 2
	ds_read_b64 v[0:1], v0
	s_waitcnt lgkmcnt(0)
	s_andn2_b64 s[38:39], s[38:39], exec
	v_cmp_ge_u64_e32 vcc, v[0:1], v[40:41]
	s_orn2_b64 vcc, vcc, exec
	s_branch .LBB4_2776
.LBB4_2781:                             ;   in Loop: Header=BB4_274 Depth=3
	s_or_b64 exec, exec, s[34:35]
	s_and_saveexec_b64 vcc, s[36:37]
	s_xor_b64 vcc, exec, vcc
	s_cbranch_execz .LBB4_2783
; %bb.2782:                             ;   in Loop: Header=BB4_274 Depth=3
	v_mov_b32_e32 v0, 1
	ds_write_b32 v0, v0
	s_trap 2
.LBB4_2783:                             ;   in Loop: Header=BB4_274 Depth=3
	s_or_b64 exec, exec, s[30:31]
	;;#ASMSTART
	s_wakeup
	;;#ASMEND
.LBB4_2784:                             ;   in Loop: Header=BB4_274 Depth=3
	s_or_b64 exec, exec, s[42:43]
.LBB4_2785:                             ;   in Loop: Header=BB4_274 Depth=3
	s_andn2_saveexec_b64 s[40:41], s[40:41]
	s_cbranch_execz .LBB4_2787
; %bb.2786:                             ;   in Loop: Header=BB4_274 Depth=3
	;;#ASMSTART
	s_waitcnt lgkmcnt(0) vmcnt(0)
	;;#ASMEND
	s_waitcnt vmcnt(0) lgkmcnt(0)
	s_barrier
.LBB4_2787:                             ;   in Loop: Header=BB4_274 Depth=3
	s_or_b64 exec, exec, s[40:41]
	v_and_b32_e32 v0, 16, v46
.LBB4_2788:                             ;   in Loop: Header=BB4_274 Depth=3
	s_or_b64 exec, exec, s[28:29]
	v_cmp_ne_u32_e32 vcc, 0, v0
	s_xor_b64 s[28:29], s[12:13], -1
	s_and_b64 s[40:41], vcc, s[28:29]
	s_and_saveexec_b64 s[28:29], s[40:41]
	s_cbranch_execz .LBB4_2790
; %bb.2789:                             ;   in Loop: Header=BB4_274 Depth=3
	buffer_load_dword v0, off, s[0:3], s33 offset:104 ; 4-byte Folded Reload
	buffer_load_dword v1, off, s[0:3], s33 offset:108 ; 4-byte Folded Reload
	v_mov_b32_e32 v2, 1
	s_waitcnt vmcnt(0)
	flat_store_dword v[0:1], v2
.LBB4_2790:                             ;   in Loop: Header=BB4_274 Depth=3
	s_or_b64 exec, exec, s[28:29]
	v_and_b32_e32 v0, 48, v46
	v_cmp_ne_u32_e32 vcc, 0, v0
	s_and_saveexec_b64 s[28:29], vcc
	s_cbranch_execz .LBB4_273
; %bb.2791:                             ;   in Loop: Header=BB4_274 Depth=3
	buffer_load_dword v0, off, s[0:3], s33 offset:56 ; 4-byte Folded Reload
	buffer_load_dword v1, off, s[0:3], s33 offset:60 ; 4-byte Folded Reload
	s_waitcnt vmcnt(0)
	v_add_co_u32_e32 v0, vcc, 2, v0
	v_addc_co_u32_e32 v1, vcc, 0, v1, vcc
	buffer_store_dword v0, off, s[0:3], s33 offset:56 ; 4-byte Folded Spill
	s_nop 0
	buffer_store_dword v1, off, s[0:3], s33 offset:60 ; 4-byte Folded Spill
	flat_store_dwordx2 v[32:33], v[0:1]
	s_branch .LBB4_273
.LBB4_2792:                             ;   in Loop: Header=BB4_271 Depth=2
	s_or_b64 exec, exec, s[92:93]
.LBB4_2793:                             ;   in Loop: Header=BB4_271 Depth=2
	s_or_b64 exec, exec, s[90:91]
	v_cmp_gt_i32_e32 vcc, 2, v0
	s_and_saveexec_b64 s[40:41], vcc
	s_cbranch_execz .LBB4_270
; %bb.2794:                             ;   in Loop: Header=BB4_271 Depth=2
	v_cmp_eq_u32_e64 s[90:91], 0, v0
	s_mov_b64 s[42:43], 0
	s_branch .LBB4_2796
.LBB4_2795:                             ;   in Loop: Header=BB4_2796 Depth=3
	s_or_b64 exec, exec, s[28:29]
	v_add_u32_e32 v38, v44, v38
	s_mov_b64 s[90:91], 0
	s_andn2_b64 exec, exec, s[42:43]
	s_cbranch_execz .LBB4_269
.LBB4_2796:                             ;   Parent Loop BB4_47 Depth=1
                                        ;     Parent Loop BB4_271 Depth=2
                                        ; =>    This Loop Header: Depth=3
                                        ;         Child Loop BB4_2802 Depth 4
                                        ;         Child Loop BB4_2830 Depth 4
	;; [unrolled: 1-line block ×3, first 2 shown]
	v_sub_u32_e32 v0, v59, v38
	v_min_i32_e32 v44, v44, v0
	v_and_b32_e32 v0, 12, v46
	v_cmp_ne_u32_e32 vcc, 0, v0
	s_and_saveexec_b64 s[92:93], vcc
	s_cbranch_execz .LBB4_2822
; %bb.2797:                             ;   in Loop: Header=BB4_2796 Depth=3
	buffer_load_dword v0, off, s[0:3], s33 offset:56 ; 4-byte Folded Reload
	buffer_load_dword v1, off, s[0:3], s33 offset:60 ; 4-byte Folded Reload
	v_and_b32_e32 v8, 8, v46
	s_waitcnt lgkmcnt(0)
	v_add_co_u32_e32 v2, vcc, v48, v8
	v_addc_co_u32_e32 v3, vcc, 0, v49, vcc
	s_waitcnt vmcnt(0)
	v_add_co_u32_e32 v0, vcc, 2, v0
	v_addc_co_u32_e32 v1, vcc, 0, v1, vcc
	v_cmp_lt_u64_e32 vcc, v[2:3], v[0:1]
	s_and_saveexec_b64 s[94:95], vcc
	s_cbranch_execz .LBB4_2809
; %bb.2798:                             ;   in Loop: Header=BB4_2796 Depth=3
	v_and_b32_e32 v2, 64, v46
	s_mov_b32 s8, 0
	v_cmp_eq_u32_e32 vcc, 0, v2
	s_mov_b64 s[30:31], 0
                                        ; implicit-def: $sgpr34_sgpr35
                                        ; implicit-def: $sgpr36_sgpr37
                                        ; implicit-def: $sgpr38_sgpr39
	s_branch .LBB4_2802
.LBB4_2799:                             ;   in Loop: Header=BB4_2802 Depth=4
	s_waitcnt vmcnt(0) lgkmcnt(0)
	v_add_co_u32_e64 v3, s[28:29], v48, v8
	v_addc_co_u32_e64 v4, s[28:29], 0, v49, s[28:29]
	v_cmp_ge_u64_e64 s[28:29], v[3:4], v[0:1]
	s_or_b64 s[52:53], s[52:53], exec
	s_orn2_b64 s[50:51], s[28:29], exec
.LBB4_2800:                             ;   in Loop: Header=BB4_2802 Depth=4
	s_or_b64 exec, exec, s[64:65]
	s_andn2_b64 s[28:29], s[38:39], exec
	s_and_b64 s[38:39], s[52:53], exec
	s_or_b64 s[38:39], s[28:29], s[38:39]
	s_andn2_b64 s[28:29], s[36:37], exec
	s_and_b64 s[36:37], s[50:51], exec
	s_or_b64 s[36:37], s[28:29], s[36:37]
.LBB4_2801:                             ;   in Loop: Header=BB4_2802 Depth=4
	s_or_b64 exec, exec, s[48:49]
	s_and_b64 s[28:29], exec, s[36:37]
	s_or_b64 s[30:31], s[28:29], s[30:31]
	s_andn2_b64 s[28:29], s[34:35], exec
	s_and_b64 s[34:35], s[38:39], exec
	s_or_b64 s[34:35], s[28:29], s[34:35]
	s_andn2_b64 exec, exec, s[30:31]
	s_cbranch_execz .LBB4_2806
.LBB4_2802:                             ;   Parent Loop BB4_47 Depth=1
                                        ;     Parent Loop BB4_271 Depth=2
                                        ;       Parent Loop BB4_2796 Depth=3
                                        ; =>      This Inner Loop Header: Depth=4
	s_sleep 1
	s_waitcnt vmcnt(0) lgkmcnt(0)
	flat_load_dwordx2 v[48:49], v[32:33] glc
	s_or_b64 s[38:39], s[38:39], exec
	s_or_b64 s[36:37], s[36:37], exec
                                        ; implicit-def: $vgpr2
	s_and_saveexec_b64 s[48:49], vcc
	s_cbranch_execz .LBB4_2801
; %bb.2803:                             ;   in Loop: Header=BB4_2802 Depth=4
	s_cmpk_lt_i32 s8, 0x270f
	s_cselect_b64 s[54:55], -1, 0
	s_cmpk_gt_i32 s8, 0x270e
	s_mov_b64 s[50:51], -1
	s_cbranch_scc0 .LBB4_2805
; %bb.2804:                             ;   in Loop: Header=BB4_2802 Depth=4
	s_trap 2
	ds_read_b64 v[2:3], v0
	s_andn2_b64 s[54:55], s[54:55], exec
	s_mov_b32 s8, 0
	s_mov_b64 s[52:53], 0
	s_waitcnt vmcnt(0) lgkmcnt(0)
	flat_load_dword v2, v[2:3] glc
	s_waitcnt vmcnt(0) lgkmcnt(0)
	buffer_wbinvl1_vol
	v_cmp_eq_u32_e64 s[28:29], 0, v2
	s_and_b64 s[28:29], s[28:29], exec
	s_or_b64 s[54:55], s[54:55], s[28:29]
	s_and_saveexec_b64 s[64:65], s[54:55]
	s_cbranch_execz .LBB4_2800
	s_branch .LBB4_2799
.LBB4_2805:                             ;   in Loop: Header=BB4_2802 Depth=4
	s_add_i32 s8, s8, 1
	s_mov_b64 s[52:53], -1
                                        ; implicit-def: $vgpr2
	s_and_saveexec_b64 s[64:65], s[54:55]
	s_cbranch_execz .LBB4_2800
	s_branch .LBB4_2799
.LBB4_2806:                             ;   in Loop: Header=BB4_2796 Depth=3
	s_or_b64 exec, exec, s[30:31]
	s_xor_b64 s[28:29], s[34:35], -1
	s_and_saveexec_b64 vcc, s[28:29]
	s_xor_b64 s[28:29], exec, vcc
	s_cbranch_execz .LBB4_2808
; %bb.2807:                             ;   in Loop: Header=BB4_2796 Depth=3
	v_or_b32_e32 v46, 64, v46
	s_waitcnt lgkmcnt(0)
	ds_write_b32 v0, v2
	s_trap 2
.LBB4_2808:                             ;   in Loop: Header=BB4_2796 Depth=3
	s_or_b64 exec, exec, s[28:29]
.LBB4_2809:                             ;   in Loop: Header=BB4_2796 Depth=3
	s_or_b64 exec, exec, s[94:95]
	v_and_b32_e32 v2, 0x108, v46
	v_cmp_ne_u32_e32 vcc, s69, v2
	;;#ASMSTART
	s_wakeup
	;;#ASMEND
                                        ; implicit-def: $vgpr2_vgpr3
	s_and_saveexec_b64 s[28:29], vcc
	s_xor_b64 s[28:29], exec, s[28:29]
	s_cbranch_execz .LBB4_2811
; %bb.2810:                             ;   in Loop: Header=BB4_2796 Depth=3
	buffer_load_dword v2, off, s[0:3], s33 offset:56 ; 4-byte Folded Reload
	buffer_load_dword v3, off, s[0:3], s33 offset:60 ; 4-byte Folded Reload
	s_waitcnt vmcnt(0)
	v_mov_b32_e32 v3, v61
                                        ; implicit-def: $vgpr4_vgpr5
                                        ; kill: killed $vgpr4_vgpr5
	v_and_b32_e32 v2, 7, v2
.LBB4_2811:                             ;   in Loop: Header=BB4_2796 Depth=3
	s_andn2_saveexec_b64 s[28:29], s[28:29]
	s_cbranch_execz .LBB4_2813
; %bb.2812:                             ;   in Loop: Header=BB4_2796 Depth=3
	buffer_load_dword v2, off, s[0:3], s33 offset:56 ; 4-byte Folded Reload
	buffer_load_dword v3, off, s[0:3], s33 offset:60 ; 4-byte Folded Reload
	;; [unrolled: 1-line block ×6, first 2 shown]
	v_ashrrev_i32_e32 v45, 31, v44
	s_waitcnt vmcnt(0)
	v_and_b32_e32 v2, 7, v2
	v_mad_u64_u32 v[4:5], s[94:95], v2, 24, v[3:4]
	v_mov_b32_e32 v3, v61
	flat_store_dwordx2 v[4:5], v[44:45] offset:8
.LBB4_2813:                             ;   in Loop: Header=BB4_2796 Depth=3
	s_or_b64 exec, exec, s[28:29]
	v_and_b32_e32 v4, 0x100, v46
	v_cmp_ne_u32_e32 vcc, 0, v4
	s_mov_b64 s[28:29], -1
                                        ; implicit-def: $vgpr4_vgpr5
	s_and_saveexec_b64 s[94:95], vcc
	s_cbranch_execz .LBB4_2817
; %bb.2814:                             ;   in Loop: Header=BB4_2796 Depth=3
	buffer_load_dword v4, off, s[0:3], s33 offset:88 ; 4-byte Folded Reload
	buffer_load_dword v5, off, s[0:3], s33 offset:92 ; 4-byte Folded Reload
	;; [unrolled: 1-line block ×4, first 2 shown]
	s_waitcnt vmcnt(0)
	v_mad_u64_u32 v[6:7], s[28:29], v2, 24, v[4:5]
	v_mov_b32_e32 v4, v7
	v_mad_u64_u32 v[4:5], s[28:29], v3, 24, v[4:5]
	v_mov_b32_e32 v7, v4
	flat_load_dword v4, v[6:7]
	s_waitcnt vmcnt(0) lgkmcnt(0)
	v_cmp_ne_u32_e32 vcc, 1, v4
	v_cmp_eq_u32_e64 s[28:29], 1, v4
                                        ; implicit-def: $vgpr4_vgpr5
	s_and_saveexec_b64 s[30:31], s[28:29]
	s_cbranch_execz .LBB4_2816
; %bb.2815:                             ;   in Loop: Header=BB4_2796 Depth=3
	flat_load_dword v4, v[6:7] offset:4 glc
	s_waitcnt vmcnt(0) lgkmcnt(0)
	v_ashrrev_i32_e32 v5, 31, v4
.LBB4_2816:                             ;   in Loop: Header=BB4_2796 Depth=3
	s_or_b64 exec, exec, s[30:31]
	s_orn2_b64 s[28:29], vcc, exec
.LBB4_2817:                             ;   in Loop: Header=BB4_2796 Depth=3
	s_or_b64 exec, exec, s[94:95]
	s_and_saveexec_b64 s[94:95], s[28:29]
	s_cbranch_execz .LBB4_2819
; %bb.2818:                             ;   in Loop: Header=BB4_2796 Depth=3
	buffer_load_dword v4, off, s[0:3], s33 offset:124 ; 4-byte Folded Reload
	buffer_load_dword v5, off, s[0:3], s33 offset:144 ; 4-byte Folded Reload
	s_waitcnt vmcnt(0)
	v_mul_lo_u32 v3, v3, v4
	v_mul_lo_u32 v6, v2, v5
	v_mad_u64_u32 v[4:5], s[28:29], v2, v4, 0
	v_add3_u32 v5, v5, v6, v3
.LBB4_2819:                             ;   in Loop: Header=BB4_2796 Depth=3
	s_or_b64 exec, exec, s[94:95]
	v_cmp_eq_u32_e32 vcc, 0, v8
	v_mov_b32_e32 v2, 0xc8
	v_mov_b32_e32 v3, 0x90
	v_cndmask_b32_e32 v6, v2, v3, vcc
	buffer_load_dword v2, off, s[0:3], s33 offset:80 ; 4-byte Folded Reload
	buffer_load_dword v3, off, s[0:3], s33 offset:84 ; 4-byte Folded Reload
	s_waitcnt vmcnt(0)
	v_add_co_u32_e32 v2, vcc, v2, v4
	v_addc_co_u32_e32 v3, vcc, v3, v5, vcc
	v_add_u32_e32 v4, v0, v6
	ds_write_b64 v4, v[2:3] offset:584
	v_and_b32_e32 v2, 0x2000, v46
	v_cmp_ne_u32_e32 vcc, 0, v2
	s_and_saveexec_b64 s[28:29], vcc
	s_cbranch_execz .LBB4_2821
; %bb.2820:                             ;   in Loop: Header=BB4_2796 Depth=3
	ds_read_b64 v[2:3], v0 offset:872
	s_waitcnt lgkmcnt(0)
	v_add_co_u32_e32 v2, vcc, 1, v2
	v_addc_co_u32_e32 v3, vcc, 0, v3, vcc
	ds_write_b64 v0, v[2:3] offset:872
.LBB4_2821:                             ;   in Loop: Header=BB4_2796 Depth=3
	s_or_b64 exec, exec, s[28:29]
	buffer_store_dword v0, off, s[0:3], s33 offset:56 ; 4-byte Folded Spill
	s_nop 0
	buffer_store_dword v1, off, s[0:3], s33 offset:60 ; 4-byte Folded Spill
.LBB4_2822:                             ;   in Loop: Header=BB4_2796 Depth=3
	s_or_b64 exec, exec, s[92:93]
	s_xor_b64 s[28:29], s[90:91], -1
	s_and_b64 s[28:29], exec, s[28:29]
	s_or_b64 s[42:43], s[28:29], s[42:43]
	s_and_saveexec_b64 s[28:29], s[10:11]
	s_cbranch_execz .LBB4_2841
; %bb.2823:                             ;   in Loop: Header=BB4_2796 Depth=3
	s_and_saveexec_b64 s[90:91], s[58:59]
	s_xor_b64 s[90:91], exec, s[90:91]
	s_cbranch_execz .LBB4_2838
; %bb.2824:                             ;   in Loop: Header=BB4_2796 Depth=3
	s_and_saveexec_b64 s[92:93], s[16:17]
	s_cbranch_execz .LBB4_2837
; %bb.2825:                             ;   in Loop: Header=BB4_2796 Depth=3
	s_mov_b64 s[30:31], exec
	v_mbcnt_lo_u32_b32 v0, s30, 0
	v_mbcnt_hi_u32_b32 v0, s31, v0
	v_cmp_eq_u32_e32 vcc, 0, v0
	s_waitcnt vmcnt(0) lgkmcnt(0)
	buffer_wbinvl1_vol
	s_and_saveexec_b64 s[94:95], vcc
	s_cbranch_execz .LBB4_2827
; %bb.2826:                             ;   in Loop: Header=BB4_2796 Depth=3
	s_bcnt1_i32_b64 s8, s[30:31]
	v_mov_b32_e32 v0, s8
	v_mov_b32_e32 v1, v61
	ds_add_u64 v0, v[0:1]
	s_trap 2
.LBB4_2827:                             ;   in Loop: Header=BB4_2796 Depth=3
	s_or_b64 exec, exec, s[94:95]
	s_trap 2
	ds_read_b64 v[0:1], v0
	s_waitcnt lgkmcnt(0)
	v_mov_b32_e32 v2, v40
	v_mov_b32_e32 v3, v41
	v_add_co_u32_e32 v2, vcc, v2, v21
	v_addc_co_u32_e32 v3, vcc, 0, v3, vcc
	v_mov_b32_e32 v41, v3
	v_cmp_lt_u64_e32 vcc, v[0:1], v[2:3]
	v_mov_b32_e32 v40, v2
	s_and_saveexec_b64 s[94:95], vcc
	s_cbranch_execz .LBB4_2836
; %bb.2828:                             ;   in Loop: Header=BB4_2796 Depth=3
	s_mov_b32 s8, 0
	s_mov_b64 s[30:31], 0
                                        ; implicit-def: $sgpr34_sgpr35
                                        ; implicit-def: $sgpr36_sgpr37
	s_branch .LBB4_2830
.LBB4_2829:                             ;   in Loop: Header=BB4_2830 Depth=4
	s_or_b64 exec, exec, s[48:49]
	s_and_b64 vcc, exec, vcc
	s_or_b64 s[30:31], vcc, s[30:31]
	s_andn2_b64 vcc, s[34:35], exec
	s_and_b64 s[34:35], s[36:37], exec
	s_or_b64 s[34:35], vcc, s[34:35]
	s_andn2_b64 exec, exec, s[30:31]
	s_cbranch_execz .LBB4_2834
.LBB4_2830:                             ;   Parent Loop BB4_47 Depth=1
                                        ;     Parent Loop BB4_271 Depth=2
                                        ;       Parent Loop BB4_2796 Depth=3
                                        ; =>      This Inner Loop Header: Depth=4
	s_add_i32 s8, s8, 1
	s_cmpk_lg_i32 s8, 0x2710
	s_cselect_b64 s[38:39], -1, 0
	s_and_b64 vcc, exec, s[38:39]
	s_cbranch_vccz .LBB4_2832
; %bb.2831:                             ;   in Loop: Header=BB4_2830 Depth=4
	s_mov_b64 vcc, -1
	s_or_b64 s[36:37], s[36:37], exec
	s_and_saveexec_b64 s[48:49], s[38:39]
	s_cbranch_execz .LBB4_2829
	s_branch .LBB4_2833
.LBB4_2832:                             ;   in Loop: Header=BB4_2830 Depth=4
	s_trap 2
	ds_read_b64 v[0:1], v0
	s_andn2_b64 s[38:39], s[38:39], exec
	s_mov_b32 s8, 0
	s_waitcnt lgkmcnt(0)
	flat_load_dword v0, v[0:1] glc
	s_waitcnt vmcnt(0) lgkmcnt(0)
	buffer_wbinvl1_vol
	v_cmp_eq_u32_e32 vcc, 0, v0
	s_and_b64 vcc, vcc, exec
	s_or_b64 s[38:39], s[38:39], vcc
	s_mov_b64 vcc, -1
	s_or_b64 s[36:37], s[36:37], exec
	s_and_saveexec_b64 s[48:49], s[38:39]
	s_cbranch_execz .LBB4_2829
.LBB4_2833:                             ;   in Loop: Header=BB4_2830 Depth=4
	s_sleep 1
	s_trap 2
	ds_read_b64 v[0:1], v0
	s_waitcnt lgkmcnt(0)
	s_andn2_b64 s[36:37], s[36:37], exec
	v_cmp_ge_u64_e32 vcc, v[0:1], v[40:41]
	s_orn2_b64 vcc, vcc, exec
	s_branch .LBB4_2829
.LBB4_2834:                             ;   in Loop: Header=BB4_2796 Depth=3
	s_or_b64 exec, exec, s[30:31]
	s_and_saveexec_b64 vcc, s[34:35]
	s_xor_b64 vcc, exec, vcc
	s_cbranch_execz .LBB4_2836
; %bb.2835:                             ;   in Loop: Header=BB4_2796 Depth=3
	v_mov_b32_e32 v0, 1
	ds_write_b32 v0, v0
	s_trap 2
.LBB4_2836:                             ;   in Loop: Header=BB4_2796 Depth=3
	s_or_b64 exec, exec, s[94:95]
	;;#ASMSTART
	s_wakeup
	;;#ASMEND
.LBB4_2837:                             ;   in Loop: Header=BB4_2796 Depth=3
	s_or_b64 exec, exec, s[92:93]
.LBB4_2838:                             ;   in Loop: Header=BB4_2796 Depth=3
	s_andn2_saveexec_b64 s[90:91], s[90:91]
	s_cbranch_execz .LBB4_2840
; %bb.2839:                             ;   in Loop: Header=BB4_2796 Depth=3
	s_waitcnt vmcnt(0) lgkmcnt(0)
	buffer_wbinvl1_vol
	s_barrier
.LBB4_2840:                             ;   in Loop: Header=BB4_2796 Depth=3
	s_or_b64 exec, exec, s[90:91]
.LBB4_2841:                             ;   in Loop: Header=BB4_2796 Depth=3
	s_or_b64 exec, exec, s[28:29]
                                        ; implicit-def: $vgpr0
	s_and_saveexec_b64 s[28:29], s[74:75]
	s_xor_b64 s[28:29], exec, s[28:29]
	s_cbranch_execz .LBB4_2853
; %bb.2842:                             ;   in Loop: Header=BB4_2796 Depth=3
	s_and_saveexec_b64 s[90:91], s[58:59]
	s_xor_b64 s[90:91], exec, s[90:91]
	s_cbranch_execz .LBB4_2858
; %bb.2843:                             ;   in Loop: Header=BB4_2796 Depth=3
	s_and_saveexec_b64 s[92:93], s[16:17]
	s_cbranch_execz .LBB4_2857
; %bb.2844:                             ;   in Loop: Header=BB4_2796 Depth=3
	s_mov_b64 s[30:31], exec
	v_mbcnt_lo_u32_b32 v0, s30, 0
	v_mbcnt_hi_u32_b32 v0, s31, v0
	v_cmp_eq_u32_e32 vcc, 0, v0
	;;#ASMSTART
	s_waitcnt lgkmcnt(0) vmcnt(0)
	;;#ASMEND
	s_and_saveexec_b64 s[94:95], vcc
	s_cbranch_execz .LBB4_2846
; %bb.2845:                             ;   in Loop: Header=BB4_2796 Depth=3
	s_bcnt1_i32_b64 s8, s[30:31]
	v_mov_b32_e32 v0, s8
	v_mov_b32_e32 v1, v61
	s_waitcnt lgkmcnt(0)
	ds_add_u64 v0, v[0:1]
	s_trap 2
.LBB4_2846:                             ;   in Loop: Header=BB4_2796 Depth=3
	s_or_b64 exec, exec, s[94:95]
	s_trap 2
	ds_read_b64 v[0:1], v0
	s_waitcnt lgkmcnt(0)
	v_mov_b32_e32 v2, v40
	v_mov_b32_e32 v3, v41
	v_add_co_u32_e32 v2, vcc, v2, v21
	v_addc_co_u32_e32 v3, vcc, 0, v3, vcc
	v_mov_b32_e32 v41, v3
	v_cmp_lt_u64_e32 vcc, v[0:1], v[2:3]
	v_mov_b32_e32 v40, v2
	s_and_saveexec_b64 s[94:95], vcc
	s_cbranch_execz .LBB4_2856
; %bb.2847:                             ;   in Loop: Header=BB4_2796 Depth=3
	s_mov_b32 s8, 0
	s_mov_b64 s[30:31], 0
                                        ; implicit-def: $sgpr34_sgpr35
                                        ; implicit-def: $sgpr36_sgpr37
	s_branch .LBB4_2849
.LBB4_2848:                             ;   in Loop: Header=BB4_2849 Depth=4
	s_or_b64 exec, exec, s[48:49]
	s_and_b64 vcc, exec, vcc
	s_or_b64 s[30:31], vcc, s[30:31]
	s_andn2_b64 vcc, s[34:35], exec
	s_and_b64 s[34:35], s[36:37], exec
	s_or_b64 s[34:35], vcc, s[34:35]
	s_andn2_b64 exec, exec, s[30:31]
	s_cbranch_execz .LBB4_2854
.LBB4_2849:                             ;   Parent Loop BB4_47 Depth=1
                                        ;     Parent Loop BB4_271 Depth=2
                                        ;       Parent Loop BB4_2796 Depth=3
                                        ; =>      This Inner Loop Header: Depth=4
	s_add_i32 s8, s8, 1
	s_cmpk_lg_i32 s8, 0x2710
	s_cselect_b64 s[38:39], -1, 0
	s_and_b64 vcc, exec, s[38:39]
	s_cbranch_vccz .LBB4_2851
; %bb.2850:                             ;   in Loop: Header=BB4_2849 Depth=4
	s_mov_b64 vcc, -1
	s_or_b64 s[36:37], s[36:37], exec
	s_and_saveexec_b64 s[48:49], s[38:39]
	s_cbranch_execz .LBB4_2848
	s_branch .LBB4_2852
.LBB4_2851:                             ;   in Loop: Header=BB4_2849 Depth=4
	s_trap 2
	ds_read_b64 v[0:1], v0
	s_andn2_b64 s[38:39], s[38:39], exec
	s_mov_b32 s8, 0
	s_waitcnt vmcnt(0) lgkmcnt(0)
	flat_load_dword v0, v[0:1] glc
	s_waitcnt vmcnt(0) lgkmcnt(0)
	buffer_wbinvl1_vol
	v_cmp_eq_u32_e32 vcc, 0, v0
	s_and_b64 vcc, vcc, exec
	s_or_b64 s[38:39], s[38:39], vcc
	s_mov_b64 vcc, -1
	s_or_b64 s[36:37], s[36:37], exec
	s_and_saveexec_b64 s[48:49], s[38:39]
	s_cbranch_execz .LBB4_2848
.LBB4_2852:                             ;   in Loop: Header=BB4_2849 Depth=4
	s_sleep 1
	s_trap 2
	ds_read_b64 v[0:1], v0
	s_waitcnt lgkmcnt(0)
	s_andn2_b64 s[36:37], s[36:37], exec
	v_cmp_ge_u64_e32 vcc, v[0:1], v[40:41]
	s_orn2_b64 vcc, vcc, exec
	s_branch .LBB4_2848
.LBB4_2853:                             ;   in Loop: Header=BB4_2796 Depth=3
	s_andn2_saveexec_b64 s[28:29], s[28:29]
	s_cbranch_execnz .LBB4_2861
	s_branch .LBB4_2864
.LBB4_2854:                             ;   in Loop: Header=BB4_2796 Depth=3
	s_or_b64 exec, exec, s[30:31]
	s_and_saveexec_b64 vcc, s[34:35]
	s_xor_b64 vcc, exec, vcc
	s_cbranch_execz .LBB4_2856
; %bb.2855:                             ;   in Loop: Header=BB4_2796 Depth=3
	v_mov_b32_e32 v0, 1
	ds_write_b32 v0, v0
	s_trap 2
.LBB4_2856:                             ;   in Loop: Header=BB4_2796 Depth=3
	s_or_b64 exec, exec, s[94:95]
	;;#ASMSTART
	s_wakeup
	;;#ASMEND
.LBB4_2857:                             ;   in Loop: Header=BB4_2796 Depth=3
	s_or_b64 exec, exec, s[92:93]
.LBB4_2858:                             ;   in Loop: Header=BB4_2796 Depth=3
	s_andn2_saveexec_b64 s[90:91], s[90:91]
	s_cbranch_execz .LBB4_2860
; %bb.2859:                             ;   in Loop: Header=BB4_2796 Depth=3
	;;#ASMSTART
	s_waitcnt lgkmcnt(0) vmcnt(0)
	;;#ASMEND
	s_waitcnt vmcnt(0) lgkmcnt(0)
	s_barrier
.LBB4_2860:                             ;   in Loop: Header=BB4_2796 Depth=3
	s_or_b64 exec, exec, s[90:91]
	v_and_b32_e32 v0, 16, v46
	s_andn2_saveexec_b64 s[28:29], s[28:29]
	s_cbranch_execz .LBB4_2864
.LBB4_2861:                             ;   in Loop: Header=BB4_2796 Depth=3
	s_trap 2
	ds_read_b32 v0, v0
	v_cmp_lt_i32_e32 vcc, 0, v44
	v_and_b32_e32 v1, 16, v46
	s_waitcnt lgkmcnt(0)
	v_readfirstlane_b32 s8, v0
	s_cmp_eq_u32 s8, 0
	s_cselect_b64 s[90:91], -1, 0
	s_and_b64 s[90:91], vcc, s[90:91]
	v_cmp_ne_u32_e32 vcc, 0, v1
	v_and_b32_e32 v0, 16, v46
	s_and_b64 s[92:93], vcc, s[90:91]
	s_and_saveexec_b64 s[90:91], s[92:93]
	s_cbranch_execz .LBB4_2863
; %bb.2862:                             ;   in Loop: Header=BB4_2796 Depth=3
	v_mov_b32_e32 v0, 1
	s_waitcnt vmcnt(0)
	buffer_wbinvl1_vol
.LBB4_2863:                             ;   in Loop: Header=BB4_2796 Depth=3
	s_or_b64 exec, exec, s[90:91]
.LBB4_2864:                             ;   in Loop: Header=BB4_2796 Depth=3
	s_or_b64 exec, exec, s[28:29]
	v_cmp_ne_u32_e32 vcc, 0, v0
	s_xor_b64 s[28:29], s[12:13], -1
	s_and_b64 s[90:91], vcc, s[28:29]
	s_and_saveexec_b64 s[28:29], s[90:91]
	s_cbranch_execz .LBB4_2866
; %bb.2865:                             ;   in Loop: Header=BB4_2796 Depth=3
	buffer_load_dword v0, off, s[0:3], s33 offset:104 ; 4-byte Folded Reload
	buffer_load_dword v1, off, s[0:3], s33 offset:108 ; 4-byte Folded Reload
	v_mov_b32_e32 v2, 1
	s_waitcnt vmcnt(0)
	flat_store_dword v[0:1], v2
.LBB4_2866:                             ;   in Loop: Header=BB4_2796 Depth=3
	s_or_b64 exec, exec, s[28:29]
	v_and_b32_e32 v0, 48, v46
	v_cmp_ne_u32_e32 vcc, 0, v0
	s_and_saveexec_b64 s[28:29], vcc
	s_cbranch_execz .LBB4_2795
; %bb.2867:                             ;   in Loop: Header=BB4_2796 Depth=3
	buffer_load_dword v0, off, s[0:3], s33 offset:56 ; 4-byte Folded Reload
	buffer_load_dword v1, off, s[0:3], s33 offset:60 ; 4-byte Folded Reload
	s_waitcnt vmcnt(0)
	v_add_co_u32_e32 v0, vcc, 2, v0
	v_addc_co_u32_e32 v1, vcc, 0, v1, vcc
	buffer_store_dword v0, off, s[0:3], s33 offset:56 ; 4-byte Folded Spill
	s_nop 0
	buffer_store_dword v1, off, s[0:3], s33 offset:60 ; 4-byte Folded Spill
	flat_store_dwordx2 v[32:33], v[0:1]
	s_branch .LBB4_2795
.LBB4_2868:                             ;   in Loop: Header=BB4_47 Depth=1
	buffer_load_dword v4, off, s[0:3], s33 offset:240 ; 4-byte Folded Reload
	buffer_load_dword v5, off, s[0:3], s33 offset:244 ; 4-byte Folded Reload
	v_mov_b32_e32 v12, 0
	s_waitcnt vmcnt(0)
	v_mul_lo_u32 v3, v4, s67
	v_mul_lo_u32 v2, v5, s66
	v_mad_u64_u32 v[0:1], s[8:9], v4, s66, 0
	v_add3_u32 v1, v1, v3, v2
	buffer_load_dword v2, off, s[0:3], s33 offset:232 ; 4-byte Folded Reload
	buffer_load_dword v3, off, s[0:3], s33 offset:236 ; 4-byte Folded Reload
	s_waitcnt vmcnt(0)
	v_sub_co_u32_e32 v2, vcc, v2, v0
	v_subb_co_u32_e32 v3, vcc, v3, v1, vcc
	v_cmp_lt_i64_e32 vcc, v[4:5], v[2:3]
	v_cndmask_b32_e32 v3, v2, v4, vcc
	v_max_i32_e32 v9, 0, v3
	v_add_u32_e32 v4, 31, v9
	v_lshrrev_b32_e32 v4, 1, v4
	v_and_b32_e32 v4, 0x3ffffff0, v4
	v_cmp_lt_i32_e32 vcc, 0, v3
	v_mov_b32_e32 v2, 0
	v_max_i32_e32 v10, s87, v4
	s_and_b64 s[8:9], s[76:77], vcc
	s_and_saveexec_b64 s[90:91], s[8:9]
	s_cbranch_execnz .LBB4_2869
; %bb.8393:                             ;   in Loop: Header=BB4_47 Depth=1
	s_getpc_b64 s[98:99]
.Lpost_getpc9:
	s_add_u32 s98, s98, (.LBB4_7800-.Lpost_getpc9)&4294967295
	s_addc_u32 s99, s99, (.LBB4_7800-.Lpost_getpc9)>>32
	s_setpc_b64 s[98:99]
.LBB4_2869:                             ;   in Loop: Header=BB4_47 Depth=1
	buffer_load_dword v2, off, s[0:3], s33 offset:176 ; 4-byte Folded Reload
	s_mov_b32 s9, 1
	s_mov_b64 s[94:95], -1
	v_mov_b32_e32 v12, 0
	s_mov_b64 s[92:93], 0
	buffer_store_dword v9, off, s[0:3], s33 offset:224 ; 4-byte Folded Spill
	s_waitcnt vmcnt(0)
	v_add_co_u32_e32 v0, vcc, v0, v2
	buffer_store_dword v0, off, s[0:3], s33 offset:208 ; 4-byte Folded Spill
	buffer_load_dword v0, off, s[0:3], s33 offset:180 ; 4-byte Folded Reload
	s_waitcnt vmcnt(0)
	v_addc_co_u32_e32 v0, vcc, v1, v0, vcc
	buffer_store_dword v0, off, s[0:3], s33 offset:212 ; 4-byte Folded Spill
	s_branch .LBB4_2871
.LBB4_2870:                             ;   in Loop: Header=BB4_2871 Depth=2
	s_or_b64 exec, exec, s[28:29]
	v_add_u32_e32 v12, v10, v12
	v_cmp_ge_i32_e32 vcc, v12, v9
	s_xor_b64 s[28:29], s[94:95], -1
	s_or_b64 s[28:29], s[28:29], vcc
	s_and_b64 s[28:29], exec, s[28:29]
	s_or_b64 s[92:93], s[28:29], s[92:93]
	s_mov_b64 s[94:95], 0
	v_mov_b32_e32 v2, s9
	s_mov_b32 s9, 2
	s_andn2_b64 exec, exec, s[92:93]
	s_cbranch_execnz .LBB4_2871
; %bb.8395:                             ;   in Loop: Header=BB4_47 Depth=1
	s_getpc_b64 s[98:99]
.Lpost_getpc10:
	s_add_u32 s98, s98, (.LBB4_7875-.Lpost_getpc10)&4294967295
	s_addc_u32 s99, s99, (.LBB4_7875-.Lpost_getpc10)>>32
	s_setpc_b64 s[98:99]
.LBB4_2871:                             ;   Parent Loop BB4_47 Depth=1
                                        ; =>  This Loop Header: Depth=2
                                        ;       Child Loop BB4_2879 Depth 3
                                        ;       Child Loop BB4_2907 Depth 3
	;; [unrolled: 1-line block ×9, first 2 shown]
                                        ;         Child Loop BB4_4636 Depth 4
                                        ;       Child Loop BB4_4667 Depth 3
                                        ;       Child Loop BB4_5310 Depth 3
                                        ;         Child Loop BB4_5351 Depth 4
                                        ;       Child Loop BB4_7766 Depth 3
                                        ;       Child Loop BB4_7785 Depth 3
	s_and_saveexec_b64 s[28:29], s[4:5]
	s_cbranch_execz .LBB4_2873
; %bb.2872:                             ;   in Loop: Header=BB4_2871 Depth=2
	s_trap 2
	buffer_load_dword v5, off, s[0:3], s33 offset:208 ; 4-byte Folded Reload
	buffer_load_dword v6, off, s[0:3], s33 offset:212 ; 4-byte Folded Reload
	ds_read2_b64 v[0:3], v0 offset1:1
	v_ashrrev_i32_e32 v4, 31, v12
	s_waitcnt vmcnt(0) lgkmcnt(0)
	v_add_co_u32_e32 v0, vcc, v0, v5
	v_addc_co_u32_e32 v1, vcc, v1, v6, vcc
	v_add_co_u32_e32 v0, vcc, v0, v12
	v_addc_co_u32_e32 v1, vcc, v1, v4, vcc
	ds_write_b64 v0, v[0:1]
	v_add_co_u32_e32 v0, vcc, v2, v5
	v_addc_co_u32_e32 v1, vcc, v3, v6, vcc
	v_add_co_u32_e32 v0, vcc, v0, v12
	v_addc_co_u32_e32 v1, vcc, v1, v4, vcc
	ds_write_b64 v0, v[0:1]
	ds_read_b64 v[0:1], v0
	s_waitcnt lgkmcnt(0)
	v_add_co_u32_e32 v2, vcc, v0, v5
	v_addc_co_u32_e32 v3, vcc, v1, v6, vcc
	v_add_co_u32_e32 v2, vcc, v2, v12
	v_addc_co_u32_e32 v3, vcc, v3, v4, vcc
	v_cmp_ne_u64_e32 vcc, 0, v[0:1]
	v_cndmask_b32_e32 v1, 0, v3, vcc
	v_cndmask_b32_e32 v0, 0, v2, vcc
	ds_write_b64 v0, v[0:1]
.LBB4_2873:                             ;   in Loop: Header=BB4_2871 Depth=2
	s_or_b64 exec, exec, s[28:29]
	v_sub_u32_e32 v0, v9, v12
	v_min_i32_e32 v10, v10, v0
	v_and_b32_e32 v0, 12, v46
	v_cmp_ne_u32_e32 vcc, 0, v0
	s_and_saveexec_b64 s[40:41], vcc
	s_cbranch_execz .LBB4_2899
; %bb.2874:                             ;   in Loop: Header=BB4_2871 Depth=2
	buffer_load_dword v0, off, s[0:3], s33 offset:56 ; 4-byte Folded Reload
	buffer_load_dword v1, off, s[0:3], s33 offset:60 ; 4-byte Folded Reload
	v_and_b32_e32 v8, 8, v46
	s_waitcnt lgkmcnt(0)
	v_add_co_u32_e32 v2, vcc, v48, v8
	v_addc_co_u32_e32 v3, vcc, 0, v49, vcc
	s_waitcnt vmcnt(0)
	v_add_co_u32_e32 v0, vcc, 2, v0
	s_waitcnt vmcnt(0)
	v_addc_co_u32_e32 v1, vcc, 0, v1, vcc
	v_cmp_lt_u64_e32 vcc, v[2:3], v[0:1]
	s_and_saveexec_b64 s[42:43], vcc
	s_cbranch_execz .LBB4_2886
; %bb.2875:                             ;   in Loop: Header=BB4_2871 Depth=2
	v_and_b32_e32 v2, 64, v46
	s_mov_b32 s8, 0
	v_cmp_eq_u32_e32 vcc, 0, v2
	s_mov_b64 s[30:31], 0
                                        ; implicit-def: $sgpr34_sgpr35
                                        ; implicit-def: $sgpr36_sgpr37
                                        ; implicit-def: $sgpr38_sgpr39
	s_branch .LBB4_2879
.LBB4_2876:                             ;   in Loop: Header=BB4_2879 Depth=3
	s_waitcnt vmcnt(0) lgkmcnt(0)
	v_add_co_u32_e64 v3, s[28:29], v48, v8
	v_addc_co_u32_e64 v4, s[28:29], 0, v49, s[28:29]
	v_cmp_ge_u64_e64 s[28:29], v[3:4], v[0:1]
	s_or_b64 s[52:53], s[52:53], exec
	s_orn2_b64 s[50:51], s[28:29], exec
.LBB4_2877:                             ;   in Loop: Header=BB4_2879 Depth=3
	s_or_b64 exec, exec, s[64:65]
	s_andn2_b64 s[28:29], s[38:39], exec
	s_and_b64 s[38:39], s[52:53], exec
	s_or_b64 s[38:39], s[28:29], s[38:39]
	s_andn2_b64 s[28:29], s[36:37], exec
	s_and_b64 s[36:37], s[50:51], exec
	s_or_b64 s[36:37], s[28:29], s[36:37]
.LBB4_2878:                             ;   in Loop: Header=BB4_2879 Depth=3
	s_or_b64 exec, exec, s[48:49]
	s_and_b64 s[28:29], exec, s[36:37]
	s_or_b64 s[30:31], s[28:29], s[30:31]
	s_andn2_b64 s[28:29], s[34:35], exec
	s_and_b64 s[34:35], s[38:39], exec
	s_or_b64 s[34:35], s[28:29], s[34:35]
	s_andn2_b64 exec, exec, s[30:31]
	s_cbranch_execz .LBB4_2883
.LBB4_2879:                             ;   Parent Loop BB4_47 Depth=1
                                        ;     Parent Loop BB4_2871 Depth=2
                                        ; =>    This Inner Loop Header: Depth=3
	s_sleep 1
	s_waitcnt vmcnt(0) lgkmcnt(0)
	flat_load_dwordx2 v[48:49], v[32:33] glc
	s_or_b64 s[38:39], s[38:39], exec
	s_or_b64 s[36:37], s[36:37], exec
                                        ; implicit-def: $vgpr2
	s_and_saveexec_b64 s[48:49], vcc
	s_cbranch_execz .LBB4_2878
; %bb.2880:                             ;   in Loop: Header=BB4_2879 Depth=3
	s_cmpk_lt_i32 s8, 0x270f
	s_cselect_b64 s[54:55], -1, 0
	s_cmpk_gt_i32 s8, 0x270e
	s_mov_b64 s[50:51], -1
	s_cbranch_scc0 .LBB4_2882
; %bb.2881:                             ;   in Loop: Header=BB4_2879 Depth=3
	s_trap 2
	ds_read_b64 v[2:3], v0
	s_andn2_b64 s[54:55], s[54:55], exec
	s_mov_b32 s8, 0
	s_mov_b64 s[52:53], 0
	s_waitcnt vmcnt(0) lgkmcnt(0)
	flat_load_dword v2, v[2:3] glc
	s_waitcnt vmcnt(0) lgkmcnt(0)
	buffer_wbinvl1_vol
	v_cmp_eq_u32_e64 s[28:29], 0, v2
	s_and_b64 s[28:29], s[28:29], exec
	s_or_b64 s[54:55], s[54:55], s[28:29]
	s_and_saveexec_b64 s[64:65], s[54:55]
	s_cbranch_execz .LBB4_2877
	s_branch .LBB4_2876
.LBB4_2882:                             ;   in Loop: Header=BB4_2879 Depth=3
	s_add_i32 s8, s8, 1
	s_mov_b64 s[52:53], -1
                                        ; implicit-def: $vgpr2
	s_and_saveexec_b64 s[64:65], s[54:55]
	s_cbranch_execz .LBB4_2877
	s_branch .LBB4_2876
.LBB4_2883:                             ;   in Loop: Header=BB4_2871 Depth=2
	s_or_b64 exec, exec, s[30:31]
	s_xor_b64 s[28:29], s[34:35], -1
	s_and_saveexec_b64 vcc, s[28:29]
	s_xor_b64 s[28:29], exec, vcc
	s_cbranch_execz .LBB4_2885
; %bb.2884:                             ;   in Loop: Header=BB4_2871 Depth=2
	v_or_b32_e32 v46, 64, v46
	s_waitcnt lgkmcnt(0)
	ds_write_b32 v0, v2
	s_trap 2
.LBB4_2885:                             ;   in Loop: Header=BB4_2871 Depth=2
	s_or_b64 exec, exec, s[28:29]
.LBB4_2886:                             ;   in Loop: Header=BB4_2871 Depth=2
	s_or_b64 exec, exec, s[42:43]
	v_and_b32_e32 v2, 0x108, v46
	v_cmp_ne_u32_e32 vcc, s69, v2
	;;#ASMSTART
	s_wakeup
	;;#ASMEND
                                        ; implicit-def: $vgpr2_vgpr3
	s_and_saveexec_b64 s[28:29], vcc
	s_xor_b64 s[28:29], exec, s[28:29]
	s_cbranch_execz .LBB4_2888
; %bb.2887:                             ;   in Loop: Header=BB4_2871 Depth=2
	buffer_load_dword v2, off, s[0:3], s33 offset:56 ; 4-byte Folded Reload
	buffer_load_dword v3, off, s[0:3], s33 offset:60 ; 4-byte Folded Reload
	s_waitcnt vmcnt(0)
	v_mov_b32_e32 v3, v61
                                        ; implicit-def: $vgpr4_vgpr5
                                        ; kill: killed $vgpr4_vgpr5
	v_and_b32_e32 v2, 7, v2
.LBB4_2888:                             ;   in Loop: Header=BB4_2871 Depth=2
	s_andn2_saveexec_b64 s[28:29], s[28:29]
	s_cbranch_execz .LBB4_2890
; %bb.2889:                             ;   in Loop: Header=BB4_2871 Depth=2
	buffer_load_dword v2, off, s[0:3], s33 offset:56 ; 4-byte Folded Reload
	buffer_load_dword v3, off, s[0:3], s33 offset:60 ; 4-byte Folded Reload
	buffer_load_dword v3, off, s[0:3], s33 offset:88 ; 4-byte Folded Reload
	buffer_load_dword v4, off, s[0:3], s33 offset:92 ; 4-byte Folded Reload
	buffer_load_dword v5, off, s[0:3], s33 offset:96 ; 4-byte Folded Reload
	buffer_load_dword v6, off, s[0:3], s33 offset:100 ; 4-byte Folded Reload
	v_ashrrev_i32_e32 v11, 31, v10
	s_waitcnt vmcnt(0)
	v_and_b32_e32 v2, 7, v2
	v_mad_u64_u32 v[4:5], s[42:43], v2, 24, v[3:4]
	v_mov_b32_e32 v3, v61
	flat_store_dwordx2 v[4:5], v[10:11] offset:8
.LBB4_2890:                             ;   in Loop: Header=BB4_2871 Depth=2
	s_or_b64 exec, exec, s[28:29]
	v_and_b32_e32 v4, 0x100, v46
	v_cmp_ne_u32_e32 vcc, 0, v4
	s_mov_b64 s[28:29], -1
                                        ; implicit-def: $vgpr4_vgpr5
	s_and_saveexec_b64 s[42:43], vcc
	s_cbranch_execz .LBB4_2894
; %bb.2891:                             ;   in Loop: Header=BB4_2871 Depth=2
	buffer_load_dword v4, off, s[0:3], s33 offset:88 ; 4-byte Folded Reload
	buffer_load_dword v5, off, s[0:3], s33 offset:92 ; 4-byte Folded Reload
	;; [unrolled: 1-line block ×4, first 2 shown]
	s_waitcnt vmcnt(0)
	v_mad_u64_u32 v[6:7], s[28:29], v2, 24, v[4:5]
	v_mov_b32_e32 v4, v7
	v_mad_u64_u32 v[4:5], s[28:29], v3, 24, v[4:5]
	v_mov_b32_e32 v7, v4
	flat_load_dword v4, v[6:7]
	s_waitcnt vmcnt(0) lgkmcnt(0)
	v_cmp_ne_u32_e32 vcc, 1, v4
	v_cmp_eq_u32_e64 s[28:29], 1, v4
                                        ; implicit-def: $vgpr4_vgpr5
	s_and_saveexec_b64 s[30:31], s[28:29]
	s_cbranch_execz .LBB4_2893
; %bb.2892:                             ;   in Loop: Header=BB4_2871 Depth=2
	flat_load_dword v4, v[6:7] offset:4 glc
	s_waitcnt vmcnt(0) lgkmcnt(0)
	v_ashrrev_i32_e32 v5, 31, v4
.LBB4_2893:                             ;   in Loop: Header=BB4_2871 Depth=2
	s_or_b64 exec, exec, s[30:31]
	s_orn2_b64 s[28:29], vcc, exec
.LBB4_2894:                             ;   in Loop: Header=BB4_2871 Depth=2
	s_or_b64 exec, exec, s[42:43]
	s_and_saveexec_b64 s[42:43], s[28:29]
	s_cbranch_execz .LBB4_2896
; %bb.2895:                             ;   in Loop: Header=BB4_2871 Depth=2
	buffer_load_dword v4, off, s[0:3], s33 offset:124 ; 4-byte Folded Reload
	buffer_load_dword v5, off, s[0:3], s33 offset:144 ; 4-byte Folded Reload
	s_waitcnt vmcnt(0)
	v_mul_lo_u32 v3, v3, v4
	v_mul_lo_u32 v6, v2, v5
	v_mad_u64_u32 v[4:5], s[28:29], v2, v4, 0
	v_add3_u32 v5, v5, v6, v3
.LBB4_2896:                             ;   in Loop: Header=BB4_2871 Depth=2
	s_or_b64 exec, exec, s[42:43]
	v_cmp_eq_u32_e32 vcc, 0, v8
	v_mov_b32_e32 v2, 0x90
	v_mov_b32_e32 v3, 0xd0
	v_cndmask_b32_e32 v6, v3, v2, vcc
	buffer_load_dword v2, off, s[0:3], s33 offset:80 ; 4-byte Folded Reload
	buffer_load_dword v3, off, s[0:3], s33 offset:84 ; 4-byte Folded Reload
	s_waitcnt vmcnt(0)
	v_add_co_u32_e32 v2, vcc, v2, v4
	v_addc_co_u32_e32 v3, vcc, v3, v5, vcc
	v_add_u32_e32 v4, v0, v6
	ds_write_b64 v4, v[2:3] offset:584
	v_and_b32_e32 v2, 0x2000, v46
	v_cmp_ne_u32_e32 vcc, 0, v2
	s_and_saveexec_b64 s[28:29], vcc
	s_cbranch_execz .LBB4_2898
; %bb.2897:                             ;   in Loop: Header=BB4_2871 Depth=2
	ds_read_b64 v[2:3], v0 offset:872
	s_waitcnt lgkmcnt(0)
	v_add_co_u32_e32 v2, vcc, 1, v2
	v_addc_co_u32_e32 v3, vcc, 0, v3, vcc
	ds_write_b64 v0, v[2:3] offset:872
.LBB4_2898:                             ;   in Loop: Header=BB4_2871 Depth=2
	s_or_b64 exec, exec, s[28:29]
	buffer_store_dword v0, off, s[0:3], s33 offset:56 ; 4-byte Folded Spill
	s_nop 0
	buffer_store_dword v1, off, s[0:3], s33 offset:60 ; 4-byte Folded Spill
.LBB4_2899:                             ;   in Loop: Header=BB4_2871 Depth=2
	s_or_b64 exec, exec, s[40:41]
	s_and_saveexec_b64 s[28:29], s[10:11]
	s_cbranch_execz .LBB4_2918
; %bb.2900:                             ;   in Loop: Header=BB4_2871 Depth=2
	s_and_saveexec_b64 s[40:41], s[58:59]
	s_xor_b64 s[40:41], exec, s[40:41]
	s_cbranch_execz .LBB4_2915
; %bb.2901:                             ;   in Loop: Header=BB4_2871 Depth=2
	s_and_saveexec_b64 s[42:43], s[16:17]
	s_cbranch_execz .LBB4_2914
; %bb.2902:                             ;   in Loop: Header=BB4_2871 Depth=2
	s_mov_b64 s[34:35], exec
	v_mbcnt_lo_u32_b32 v0, s34, 0
	v_mbcnt_hi_u32_b32 v0, s35, v0
	v_cmp_eq_u32_e32 vcc, 0, v0
	s_waitcnt vmcnt(0) lgkmcnt(0)
	buffer_wbinvl1_vol
	s_and_saveexec_b64 s[30:31], vcc
	s_cbranch_execz .LBB4_2904
; %bb.2903:                             ;   in Loop: Header=BB4_2871 Depth=2
	s_bcnt1_i32_b64 s8, s[34:35]
	v_mov_b32_e32 v0, s8
	v_mov_b32_e32 v1, v61
	ds_add_u64 v0, v[0:1]
	s_trap 2
.LBB4_2904:                             ;   in Loop: Header=BB4_2871 Depth=2
	s_or_b64 exec, exec, s[30:31]
	s_trap 2
	ds_read_b64 v[0:1], v0
	s_waitcnt lgkmcnt(0)
	v_add_co_u32_e32 v40, vcc, v40, v21
	v_addc_co_u32_e32 v41, vcc, 0, v41, vcc
	v_cmp_lt_u64_e32 vcc, v[0:1], v[40:41]
	s_and_saveexec_b64 s[30:31], vcc
	s_cbranch_execz .LBB4_2913
; %bb.2905:                             ;   in Loop: Header=BB4_2871 Depth=2
	s_mov_b32 s8, 0
	s_mov_b64 s[34:35], 0
                                        ; implicit-def: $sgpr36_sgpr37
                                        ; implicit-def: $sgpr38_sgpr39
	s_branch .LBB4_2907
.LBB4_2906:                             ;   in Loop: Header=BB4_2907 Depth=3
	s_or_b64 exec, exec, s[50:51]
	s_and_b64 vcc, exec, vcc
	s_or_b64 s[34:35], vcc, s[34:35]
	s_andn2_b64 vcc, s[36:37], exec
	s_and_b64 s[36:37], s[38:39], exec
	s_or_b64 s[36:37], vcc, s[36:37]
	s_andn2_b64 exec, exec, s[34:35]
	s_cbranch_execz .LBB4_2911
.LBB4_2907:                             ;   Parent Loop BB4_47 Depth=1
                                        ;     Parent Loop BB4_2871 Depth=2
                                        ; =>    This Inner Loop Header: Depth=3
	s_add_i32 s8, s8, 1
	s_cmpk_lg_i32 s8, 0x2710
	s_cselect_b64 s[48:49], -1, 0
	s_and_b64 vcc, exec, s[48:49]
	s_cbranch_vccz .LBB4_2909
; %bb.2908:                             ;   in Loop: Header=BB4_2907 Depth=3
	s_mov_b64 vcc, -1
	s_or_b64 s[38:39], s[38:39], exec
	s_and_saveexec_b64 s[50:51], s[48:49]
	s_cbranch_execz .LBB4_2906
	s_branch .LBB4_2910
.LBB4_2909:                             ;   in Loop: Header=BB4_2907 Depth=3
	s_trap 2
	ds_read_b64 v[0:1], v0
	s_andn2_b64 s[48:49], s[48:49], exec
	s_mov_b32 s8, 0
	s_waitcnt lgkmcnt(0)
	flat_load_dword v0, v[0:1] glc
	s_waitcnt vmcnt(0) lgkmcnt(0)
	buffer_wbinvl1_vol
	v_cmp_eq_u32_e32 vcc, 0, v0
	s_and_b64 vcc, vcc, exec
	s_or_b64 s[48:49], s[48:49], vcc
	s_mov_b64 vcc, -1
	s_or_b64 s[38:39], s[38:39], exec
	s_and_saveexec_b64 s[50:51], s[48:49]
	s_cbranch_execz .LBB4_2906
.LBB4_2910:                             ;   in Loop: Header=BB4_2907 Depth=3
	s_sleep 1
	s_trap 2
	ds_read_b64 v[0:1], v0
	s_waitcnt lgkmcnt(0)
	s_andn2_b64 s[38:39], s[38:39], exec
	v_cmp_ge_u64_e32 vcc, v[0:1], v[40:41]
	s_orn2_b64 vcc, vcc, exec
	s_branch .LBB4_2906
.LBB4_2911:                             ;   in Loop: Header=BB4_2871 Depth=2
	s_or_b64 exec, exec, s[34:35]
	s_and_saveexec_b64 vcc, s[36:37]
	s_xor_b64 vcc, exec, vcc
	s_cbranch_execz .LBB4_2913
; %bb.2912:                             ;   in Loop: Header=BB4_2871 Depth=2
	v_mov_b32_e32 v0, 1
	ds_write_b32 v0, v0
	s_trap 2
.LBB4_2913:                             ;   in Loop: Header=BB4_2871 Depth=2
	s_or_b64 exec, exec, s[30:31]
	;;#ASMSTART
	s_wakeup
	;;#ASMEND
.LBB4_2914:                             ;   in Loop: Header=BB4_2871 Depth=2
	s_or_b64 exec, exec, s[42:43]
.LBB4_2915:                             ;   in Loop: Header=BB4_2871 Depth=2
	s_andn2_saveexec_b64 s[40:41], s[40:41]
	s_cbranch_execz .LBB4_2917
; %bb.2916:                             ;   in Loop: Header=BB4_2871 Depth=2
	s_waitcnt vmcnt(0) lgkmcnt(0)
	buffer_wbinvl1_vol
	s_barrier
.LBB4_2917:                             ;   in Loop: Header=BB4_2871 Depth=2
	s_or_b64 exec, exec, s[40:41]
.LBB4_2918:                             ;   in Loop: Header=BB4_2871 Depth=2
	s_or_b64 exec, exec, s[28:29]
	s_trap 2
	ds_read_b32 v0, v0
	v_and_b32_e32 v1, 0x4000, v46
	v_cmp_ne_u32_e32 vcc, 0, v1
	s_xor_b64 s[28:29], s[6:7], -1
	s_and_b64 s[40:41], s[28:29], vcc
	s_and_saveexec_b64 s[28:29], s[40:41]
	s_cbranch_execz .LBB4_2937
; %bb.2919:                             ;   in Loop: Header=BB4_2871 Depth=2
	s_and_saveexec_b64 s[40:41], s[58:59]
	s_xor_b64 s[40:41], exec, s[40:41]
	s_cbranch_execz .LBB4_2934
; %bb.2920:                             ;   in Loop: Header=BB4_2871 Depth=2
	s_and_saveexec_b64 s[42:43], s[16:17]
	s_cbranch_execz .LBB4_2933
; %bb.2921:                             ;   in Loop: Header=BB4_2871 Depth=2
	s_mov_b64 s[34:35], exec
	v_mbcnt_lo_u32_b32 v1, s34, 0
	v_mbcnt_hi_u32_b32 v1, s35, v1
	v_cmp_eq_u32_e32 vcc, 0, v1
	s_waitcnt vmcnt(0) lgkmcnt(0)
	buffer_wbinvl1_vol
	s_and_saveexec_b64 s[30:31], vcc
	s_cbranch_execz .LBB4_2923
; %bb.2922:                             ;   in Loop: Header=BB4_2871 Depth=2
	s_bcnt1_i32_b64 s8, s[34:35]
	v_mov_b32_e32 v1, s8
	v_mov_b32_e32 v2, v61
	ds_add_u64 v0, v[1:2]
	s_trap 2
.LBB4_2923:                             ;   in Loop: Header=BB4_2871 Depth=2
	s_or_b64 exec, exec, s[30:31]
	s_trap 2
	ds_read_b64 v[1:2], v0
	s_waitcnt lgkmcnt(0)
	v_add_co_u32_e32 v40, vcc, v40, v21
	v_addc_co_u32_e32 v41, vcc, 0, v41, vcc
	v_cmp_lt_u64_e32 vcc, v[1:2], v[40:41]
	s_and_saveexec_b64 s[30:31], vcc
	s_cbranch_execz .LBB4_2932
; %bb.2924:                             ;   in Loop: Header=BB4_2871 Depth=2
	s_mov_b32 s8, 0
	s_mov_b64 s[34:35], 0
                                        ; implicit-def: $sgpr36_sgpr37
                                        ; implicit-def: $sgpr38_sgpr39
	s_branch .LBB4_2926
.LBB4_2925:                             ;   in Loop: Header=BB4_2926 Depth=3
	s_or_b64 exec, exec, s[50:51]
	s_and_b64 vcc, exec, vcc
	s_or_b64 s[34:35], vcc, s[34:35]
	s_andn2_b64 vcc, s[36:37], exec
	s_and_b64 s[36:37], s[38:39], exec
	s_or_b64 s[36:37], vcc, s[36:37]
	s_andn2_b64 exec, exec, s[34:35]
	s_cbranch_execz .LBB4_2930
.LBB4_2926:                             ;   Parent Loop BB4_47 Depth=1
                                        ;     Parent Loop BB4_2871 Depth=2
                                        ; =>    This Inner Loop Header: Depth=3
	s_add_i32 s8, s8, 1
	s_cmpk_lg_i32 s8, 0x2710
	s_cselect_b64 s[48:49], -1, 0
	s_and_b64 vcc, exec, s[48:49]
	s_cbranch_vccz .LBB4_2928
; %bb.2927:                             ;   in Loop: Header=BB4_2926 Depth=3
	s_mov_b64 vcc, -1
	s_or_b64 s[38:39], s[38:39], exec
	s_and_saveexec_b64 s[50:51], s[48:49]
	s_cbranch_execz .LBB4_2925
	s_branch .LBB4_2929
.LBB4_2928:                             ;   in Loop: Header=BB4_2926 Depth=3
	s_trap 2
	ds_read_b64 v[1:2], v0
	s_andn2_b64 s[48:49], s[48:49], exec
	s_mov_b32 s8, 0
	s_waitcnt lgkmcnt(0)
	flat_load_dword v1, v[1:2] glc
	s_waitcnt vmcnt(0) lgkmcnt(0)
	buffer_wbinvl1_vol
	v_cmp_eq_u32_e32 vcc, 0, v1
	s_and_b64 vcc, vcc, exec
	s_or_b64 s[48:49], s[48:49], vcc
	s_mov_b64 vcc, -1
	s_or_b64 s[38:39], s[38:39], exec
	s_and_saveexec_b64 s[50:51], s[48:49]
	s_cbranch_execz .LBB4_2925
.LBB4_2929:                             ;   in Loop: Header=BB4_2926 Depth=3
	s_sleep 1
	s_trap 2
	ds_read_b64 v[1:2], v0
	s_waitcnt lgkmcnt(0)
	s_andn2_b64 s[38:39], s[38:39], exec
	v_cmp_ge_u64_e32 vcc, v[1:2], v[40:41]
	s_orn2_b64 vcc, vcc, exec
	s_branch .LBB4_2925
.LBB4_2930:                             ;   in Loop: Header=BB4_2871 Depth=2
	s_or_b64 exec, exec, s[34:35]
	s_and_saveexec_b64 vcc, s[36:37]
	s_xor_b64 vcc, exec, vcc
	s_cbranch_execz .LBB4_2932
; %bb.2931:                             ;   in Loop: Header=BB4_2871 Depth=2
	v_mov_b32_e32 v1, 1
	ds_write_b32 v0, v1
	s_trap 2
.LBB4_2932:                             ;   in Loop: Header=BB4_2871 Depth=2
	s_or_b64 exec, exec, s[30:31]
	;;#ASMSTART
	s_wakeup
	;;#ASMEND
.LBB4_2933:                             ;   in Loop: Header=BB4_2871 Depth=2
	s_or_b64 exec, exec, s[42:43]
.LBB4_2934:                             ;   in Loop: Header=BB4_2871 Depth=2
	s_andn2_saveexec_b64 s[40:41], s[40:41]
	s_cbranch_execz .LBB4_2936
; %bb.2935:                             ;   in Loop: Header=BB4_2871 Depth=2
	s_waitcnt vmcnt(0) lgkmcnt(0)
	buffer_wbinvl1_vol
	s_barrier
.LBB4_2936:                             ;   in Loop: Header=BB4_2871 Depth=2
	s_or_b64 exec, exec, s[40:41]
.LBB4_2937:                             ;   in Loop: Header=BB4_2871 Depth=2
	s_or_b64 exec, exec, s[28:29]
	s_trap 2
	s_waitcnt lgkmcnt(0)
	ds_read_b64 v[1:2], v0
	s_waitcnt lgkmcnt(0)
	v_cmp_eq_u64_e32 vcc, 0, v[1:2]
	s_cbranch_vccnz .LBB4_2946
; %bb.2938:                             ;   in Loop: Header=BB4_2871 Depth=2
	buffer_store_dword v1, off, s[0:3], s33 offset:184 ; 4-byte Folded Spill
	s_nop 0
	buffer_store_dword v2, off, s[0:3], s33 offset:188 ; 4-byte Folded Spill
	s_trap 2
	ds_read_b64 v[1:2], v0
	s_waitcnt lgkmcnt(0)
	buffer_store_dword v1, off, s[0:3], s33 offset:116 ; 4-byte Folded Spill
	s_nop 0
	buffer_store_dword v2, off, s[0:3], s33 offset:120 ; 4-byte Folded Spill
	v_cmp_eq_u64_e32 vcc, 0, v[1:2]
	s_cbranch_vccnz .LBB4_2946
; %bb.2939:                             ;   in Loop: Header=BB4_2871 Depth=2
	s_trap 2
	ds_read_b64 v[13:14], v0
	v_cmp_eq_u32_e64 s[28:29], 0, v0
	v_cndmask_b32_e64 v0, 0, v10, s[28:29]
	buffer_store_dword v0, off, s[0:3], s33 offset:152 ; 4-byte Folded Spill
	buffer_store_dword v10, off, s[0:3], s33 offset:192 ; 4-byte Folded Spill
	s_nop 0
	buffer_store_dword v11, off, s[0:3], s33 offset:196 ; 4-byte Folded Spill
	buffer_store_dword v12, off, s[0:3], s33 offset:200 ; 4-byte Folded Spill
	s_waitcnt lgkmcnt(0)
	v_cmp_ne_u64_e32 vcc, 0, v[13:14]
	s_cbranch_vccz .LBB4_2951
; %bb.2940:                             ;   in Loop: Header=BB4_2871 Depth=2
	s_mov_b64 s[40:41], -1
	s_and_saveexec_b64 s[28:29], s[22:23]
	s_cbranch_execz .LBB4_2942
; %bb.2941:                             ;   in Loop: Header=BB4_2871 Depth=2
	ds_read_b32 v0, v0 offset:720
	s_waitcnt lgkmcnt(0)
	v_and_b32_e32 v0, 15, v0
	v_cmp_eq_u32_e32 vcc, 0, v0
	s_orn2_b64 s[40:41], vcc, exec
.LBB4_2942:                             ;   in Loop: Header=BB4_2871 Depth=2
	s_or_b64 exec, exec, s[28:29]
	s_and_saveexec_b64 s[28:29], s[22:23]
	s_cbranch_execz .LBB4_2944
; %bb.2943:                             ;   in Loop: Header=BB4_2871 Depth=2
	ds_read_b32 v0, v0 offset:784
	s_waitcnt lgkmcnt(0)
	v_and_b32_e32 v0, 15, v0
	v_cmp_eq_u32_e32 vcc, 0, v0
	s_and_b64 s[42:43], s[40:41], vcc
	s_andn2_b64 s[40:41], s[40:41], exec
	s_and_b64 s[42:43], s[42:43], exec
	s_or_b64 s[40:41], s[40:41], s[42:43]
.LBB4_2944:                             ;   in Loop: Header=BB4_2871 Depth=2
	s_or_b64 exec, exec, s[28:29]
	s_xor_b64 s[40:41], s[40:41], -1
	buffer_store_dword v40, off, s[0:3], s33 offset:216 ; 4-byte Folded Spill
	s_nop 0
	buffer_store_dword v41, off, s[0:3], s33 offset:220 ; 4-byte Folded Spill
	v_cndmask_b32_e64 v0, 0, 1, s[40:41]
	v_cmp_ne_u32_e32 vcc, 0, v0
	buffer_load_dword v41, off, s[0:3], s33 offset:152 ; 4-byte Folded Reload
	buffer_load_dword v3, off, s[0:3], s33 offset:148 ; 4-byte Folded Reload
	;; [unrolled: 1-line block ×3, first 2 shown]
	s_mov_b64 s[28:29], -1
	v_mov_b32_e32 v8, 0
	s_cbranch_vccz .LBB4_2952
; %bb.2945:                             ;   in Loop: Header=BB4_2871 Depth=2
	s_and_saveexec_b64 s[42:43], s[28:29]
	s_cbranch_execz .LBB4_5353
	s_branch .LBB4_4663
.LBB4_2946:                             ;   in Loop: Header=BB4_2871 Depth=2
	s_mov_b64 s[28:29], 0
	s_and_saveexec_b64 s[40:41], s[10:11]
	s_cbranch_execnz .LBB4_7759
.LBB4_2947:                             ;   in Loop: Header=BB4_2871 Depth=2
	s_or_b64 exec, exec, s[40:41]
                                        ; implicit-def: $vgpr0
	s_and_saveexec_b64 s[40:41], s[24:25]
	s_xor_b64 s[40:41], exec, s[40:41]
	s_cbranch_execz .LBB4_7777
.LBB4_2948:                             ;   in Loop: Header=BB4_2871 Depth=2
	v_and_b32_e32 v1, 16, v46
	v_cmp_ne_u32_e32 vcc, 0, v1
	v_and_b32_e32 v0, 16, v46
	s_and_b64 s[42:43], vcc, s[28:29]
	s_and_saveexec_b64 s[28:29], s[42:43]
	s_cbranch_execz .LBB4_2950
; %bb.2949:                             ;   in Loop: Header=BB4_2871 Depth=2
	v_mov_b32_e32 v0, 1
	s_waitcnt vmcnt(0) lgkmcnt(0)
	buffer_wbinvl1_vol
.LBB4_2950:                             ;   in Loop: Header=BB4_2871 Depth=2
	s_or_b64 exec, exec, s[28:29]
	s_andn2_saveexec_b64 s[28:29], s[40:41]
	s_cbranch_execz .LBB4_7796
	s_branch .LBB4_7778
.LBB4_2951:                             ;   in Loop: Header=BB4_2871 Depth=2
	s_cbranch_execnz .LBB4_5354
	s_branch .LBB4_7758
.LBB4_2952:                             ;   in Loop: Header=BB4_2871 Depth=2
	buffer_load_dword v1, off, s[0:3], s33 offset:152 ; 4-byte Folded Reload
	s_waitcnt vmcnt(0)
	v_ashrrev_i32_e32 v0, 31, v1
	v_lshrrev_b32_e32 v0, 21, v0
	v_add_u32_e32 v0, v1, v0
	v_ashrrev_i32_e32 v1, 11, v0
	buffer_load_dword v0, off, s[0:3], s33 offset:112 ; 4-byte Folded Reload
	s_waitcnt vmcnt(0)
	v_sub_u32_e32 v5, v1, v0
	v_cmp_lt_i32_e32 vcc, 0, v5
	s_and_saveexec_b64 s[40:41], vcc
	s_cbranch_execz .LBB4_4108
; %bb.2953:                             ;   in Loop: Header=BB4_2871 Depth=2
	buffer_store_dword v1, off, s[0:3], s33 offset:284 ; 4-byte Folded Spill
	buffer_load_dword v4, off, s[0:3], s33 offset:248 ; 4-byte Folded Reload
	s_nop 0
	buffer_load_dword v0, off, s[0:3], s33 offset:116 ; 4-byte Folded Reload
	buffer_load_dword v1, off, s[0:3], s33 offset:120 ; 4-byte Folded Reload
	;; [unrolled: 1-line block ×3, first 2 shown]
	s_mov_b64 s[42:43], 0
	s_waitcnt vmcnt(2)
	v_add_co_u32_e32 v0, vcc, v0, v4
	s_waitcnt vmcnt(0)
	v_addc_co_u32_e32 v1, vcc, v1, v6, vcc
	v_add_co_u32_e32 v26, vcc, v13, v4
	buffer_store_dword v13, off, s[0:3], s33 offset:276 ; 4-byte Folded Spill
	s_nop 0
	buffer_store_dword v14, off, s[0:3], s33 offset:280 ; 4-byte Folded Spill
	s_trap 2
	ds_read_b64 v[2:3], v0
	buffer_load_dword v7, off, s[0:3], s33 offset:184 ; 4-byte Folded Reload
	buffer_load_dword v8, off, s[0:3], s33 offset:188 ; 4-byte Folded Reload
	v_addc_co_u32_e32 v27, vcc, v14, v6, vcc
	s_waitcnt vmcnt(1)
	v_add_co_u32_e32 v28, vcc, v7, v4
	s_waitcnt vmcnt(0)
	v_addc_co_u32_e32 v29, vcc, v8, v6, vcc
	s_waitcnt lgkmcnt(0)
	v_add_co_u32_e32 v30, vcc, v2, v4
	v_addc_co_u32_e32 v31, vcc, v3, v6, vcc
	s_branch .LBB4_2956
.LBB4_2954:                             ;   in Loop: Header=BB4_2956 Depth=3
	s_or_b64 exec, exec, s[30:31]
.LBB4_2955:                             ;   in Loop: Header=BB4_2956 Depth=3
	s_or_b64 exec, exec, s[28:29]
	v_lshl_or_b32 v3, v36, 8, v35
	v_lshlrev_b32_e32 v4, 16, v37
	v_lshlrev_b32_e32 v6, 24, v16
	v_or3_b32 v15, v3, v4, v6
	v_lshl_or_b32 v3, v45, 8, v59
	v_lshlrev_b32_e32 v4, 16, v41
	v_lshlrev_b32_e32 v6, 24, v40
	v_or3_b32 v14, v3, v4, v6
	;; [unrolled: 4-line block ×3, first 2 shown]
	v_lshlrev_b32_e32 v3, 24, v18
	v_lshlrev_b32_e32 v4, 16, v51
	v_lshl_or_b32 v6, v50, 8, v39
	v_or3_b32 v17, v6, v4, v3
	v_lshl_or_b32 v3, v54, 8, v53
	v_lshlrev_b32_e32 v4, 16, v55
	v_lshlrev_b32_e32 v6, 24, v8
	v_or3_b32 v7, v3, v4, v6
	v_lshl_or_b32 v3, v22, 8, v19
	v_lshlrev_b32_e32 v4, 16, v23
	v_lshlrev_b32_e32 v6, 24, v52
	;; [unrolled: 4-line block ×3, first 2 shown]
	v_or3_b32 v8, v3, v4, v8
	v_lshlrev_b32_e32 v2, 24, v2
	v_lshlrev_b32_e32 v3, 16, v56
	v_lshl_or_b32 v4, v44, 8, v43
	v_or3_b32 v9, v4, v3, v2
	global_store_dwordx4 v[0:1], v[14:17], off glc slc
	global_store_dwordx4 v[0:1], v[6:9], off offset:1024 glc slc
	global_store_dwordx4 v[26:27], v[14:17], off glc slc
	global_store_dwordx4 v[26:27], v[6:9], off offset:1024 glc slc
	buffer_load_dword v2, off, s[0:3], s33 offset:76 ; 4-byte Folded Reload
	buffer_load_dword v21, off, s[0:3], s33 offset:64 ; 4-byte Folded Reload
	s_waitcnt vmcnt(1)
	v_add_co_u32_e32 v28, vcc, v28, v2
	v_addc_co_u32_e32 v29, vcc, 0, v29, vcc
	v_add_co_u32_e32 v30, vcc, v30, v2
	v_addc_co_u32_e32 v31, vcc, 0, v31, vcc
	;; [unrolled: 2-line block ×3, first 2 shown]
	s_waitcnt vmcnt(0)
	v_sub_u32_e32 v5, v5, v21
	v_cmp_gt_i32_e32 vcc, 1, v5
	s_or_b64 s[42:43], vcc, s[42:43]
	v_add_co_u32_e32 v26, vcc, v26, v2
	v_addc_co_u32_e32 v27, vcc, 0, v27, vcc
	s_andn2_b64 exec, exec, s[42:43]
	s_cbranch_execz .LBB4_4107
.LBB4_2956:                             ;   Parent Loop BB4_47 Depth=1
                                        ;     Parent Loop BB4_2871 Depth=2
                                        ; =>    This Inner Loop Header: Depth=3
	global_load_dwordx4 v[20:23], v[28:29], off glc slc
	global_load_dwordx4 v[12:15], v[28:29], off offset:1024 glc slc
	global_load_dwordx4 v[16:19], v[30:31], off glc slc
	global_load_dwordx4 v[8:11], v[30:31], off offset:1024 glc slc
	v_mov_b32_e32 v2, 0
	v_mov_b32_e32 v3, 0
	s_waitcnt vmcnt(3)
	v_cmp_ne_u16_sdwa vcc, v20, v61 src0_sel:BYTE_0 src1_sel:DWORD
	s_and_saveexec_b64 s[28:29], vcc
	s_cbranch_execz .LBB4_2964
; %bb.2957:                             ;   in Loop: Header=BB4_2956 Depth=3
	v_cmp_ne_u16_sdwa vcc, sext(v20), s70 src0_sel:BYTE_0 src1_sel:DWORD
	v_bfrev_b32_e32 v3, 1
	s_and_saveexec_b64 s[30:31], vcc
	s_cbranch_execz .LBB4_2963
; %bb.2958:                             ;   in Loop: Header=BB4_2956 Depth=3
	v_and_b32_e32 v3, 0x7c, v20
	v_and_b32_e32 v4, 3, v20
	v_cmp_ne_u32_e32 vcc, s71, v3
                                        ; implicit-def: $vgpr3
	s_and_saveexec_b64 s[34:35], vcc
	s_xor_b64 s[34:35], exec, s[34:35]
	s_cbranch_execz .LBB4_2960
; %bb.2959:                             ;   in Loop: Header=BB4_2956 Depth=3
	v_ffbh_u32_e32 v6, v4
	v_min_u32_e32 v24, 32, v6
	v_subrev_u32_e32 v6, 29, v24
	v_lshlrev_b64 v[6:7], v6, v[20:21]
	v_bfe_u32 v3, v20, 2, 5
	v_and_b32_e32 v6, 3, v6
	v_cmp_eq_u32_e32 vcc, 0, v3
	v_sub_u32_e32 v7, 30, v24
	v_cndmask_b32_e32 v4, v4, v6, vcc
	v_lshlrev_b32_e32 v6, 24, v20
	v_cndmask_b32_e32 v3, v3, v7, vcc
	v_and_b32_e32 v6, 0x80000000, v6
	v_lshl_add_u32 v3, v3, 23, v6
	v_lshl_or_b32 v3, v4, 21, v3
	v_add_u32_e32 v3, 0x38000000, v3
                                        ; implicit-def: $vgpr4
.LBB4_2960:                             ;   in Loop: Header=BB4_2956 Depth=3
	s_andn2_saveexec_b64 s[34:35], s[34:35]
; %bb.2961:                             ;   in Loop: Header=BB4_2956 Depth=3
	v_mov_b32_e32 v3, -1
	v_cmp_gt_i16_sdwa vcc, sext(v20), v3 src0_sel:BYTE_0 src1_sel:DWORD
	v_mov_b32_e32 v3, 0xff800000
	v_cndmask_b32_e32 v3, v3, v47, vcc
	v_cmp_eq_u32_e32 vcc, 0, v4
	v_mov_b32_e32 v4, 0x7f800001
	v_cndmask_b32_e32 v3, v4, v3, vcc
; %bb.2962:                             ;   in Loop: Header=BB4_2956 Depth=3
	s_or_b64 exec, exec, s[34:35]
.LBB4_2963:                             ;   in Loop: Header=BB4_2956 Depth=3
	s_or_b64 exec, exec, s[30:31]
.LBB4_2964:                             ;   in Loop: Header=BB4_2956 Depth=3
	s_or_b64 exec, exec, s[28:29]
	s_waitcnt vmcnt(1)
	v_cmp_ne_u16_sdwa vcc, v16, v61 src0_sel:BYTE_0 src1_sel:DWORD
	s_and_saveexec_b64 s[28:29], vcc
	s_cbranch_execz .LBB4_2972
; %bb.2965:                             ;   in Loop: Header=BB4_2956 Depth=3
	v_cmp_ne_u16_sdwa vcc, sext(v16), s70 src0_sel:BYTE_0 src1_sel:DWORD
	v_bfrev_b32_e32 v2, 1
	s_and_saveexec_b64 s[30:31], vcc
	s_cbranch_execz .LBB4_2971
; %bb.2966:                             ;   in Loop: Header=BB4_2956 Depth=3
	v_and_b32_e32 v2, 0x7c, v16
	v_and_b32_e32 v4, 3, v16
	v_cmp_ne_u32_e32 vcc, s71, v2
                                        ; implicit-def: $vgpr2
	s_and_saveexec_b64 s[34:35], vcc
	s_xor_b64 s[34:35], exec, s[34:35]
	s_cbranch_execz .LBB4_2968
; %bb.2967:                             ;   in Loop: Header=BB4_2956 Depth=3
	v_ffbh_u32_e32 v6, v4
	v_min_u32_e32 v24, 32, v6
	v_subrev_u32_e32 v6, 29, v24
	v_lshlrev_b64 v[6:7], v6, v[16:17]
	v_bfe_u32 v2, v16, 2, 5
	v_and_b32_e32 v6, 3, v6
	v_cmp_eq_u32_e32 vcc, 0, v2
	v_sub_u32_e32 v7, 30, v24
	v_cndmask_b32_e32 v4, v4, v6, vcc
	v_lshlrev_b32_e32 v6, 24, v16
	v_cndmask_b32_e32 v2, v2, v7, vcc
	v_and_b32_e32 v6, 0x80000000, v6
	v_lshl_add_u32 v2, v2, 23, v6
	v_lshl_or_b32 v2, v4, 21, v2
	v_add_u32_e32 v2, 0x38000000, v2
                                        ; implicit-def: $vgpr4
.LBB4_2968:                             ;   in Loop: Header=BB4_2956 Depth=3
	s_andn2_saveexec_b64 s[34:35], s[34:35]
; %bb.2969:                             ;   in Loop: Header=BB4_2956 Depth=3
	v_mov_b32_e32 v2, -1
	v_cmp_gt_i16_sdwa vcc, sext(v16), v2 src0_sel:BYTE_0 src1_sel:DWORD
	v_mov_b32_e32 v2, 0xff800000
	v_cndmask_b32_e32 v2, v2, v47, vcc
	v_cmp_eq_u32_e32 vcc, 0, v4
	v_mov_b32_e32 v4, 0x7f800001
	v_cndmask_b32_e32 v2, v4, v2, vcc
; %bb.2970:                             ;   in Loop: Header=BB4_2956 Depth=3
	s_or_b64 exec, exec, s[34:35]
.LBB4_2971:                             ;   in Loop: Header=BB4_2956 Depth=3
	s_or_b64 exec, exec, s[30:31]
.LBB4_2972:                             ;   in Loop: Header=BB4_2956 Depth=3
	s_or_b64 exec, exec, s[28:29]
	v_mul_f32_e32 v2, v3, v2
	v_and_b32_e32 v3, 0x7f800000, v2
	v_mov_b32_e32 v4, v61
	v_cmp_ne_u64_e32 vcc, s[62:63], v[3:4]
	v_and_b32_e32 v60, 0x7fffff, v2
                                        ; implicit-def: $vgpr59
	s_and_saveexec_b64 s[28:29], vcc
	s_xor_b64 s[30:31], exec, s[28:29]
	s_cbranch_execz .LBB4_2986
; %bb.2973:                             ;   in Loop: Header=BB4_2956 Depth=3
	v_and_b32_e32 v3, 0x7fffffff, v2
	v_mov_b32_e32 v4, v61
	v_cmp_gt_u64_e32 vcc, s[78:79], v[3:4]
	v_and_b32_sdwa v24, v2, s81 dst_sel:DWORD dst_unused:UNUSED_PAD src0_sel:BYTE_3 src1_sel:DWORD
                                        ; implicit-def: $vgpr59
	s_and_saveexec_b64 s[28:29], vcc
	s_xor_b64 s[34:35], exec, s[28:29]
	s_cbranch_execz .LBB4_2983
; %bb.2974:                             ;   in Loop: Header=BB4_2956 Depth=3
	v_mov_b32_e32 v59, 0
	v_cmp_ne_u32_e32 vcc, 0, v2
	s_and_saveexec_b64 s[36:37], vcc
	s_cbranch_execz .LBB4_2982
; %bb.2975:                             ;   in Loop: Header=BB4_2956 Depth=3
	v_bfe_u32 v7, v2, 23, 8
	v_cmp_gt_u32_e64 s[28:29], s47, v7
	v_sub_u32_e32 v2, 0x71, v7
	v_cmp_eq_u32_e32 vcc, 0, v7
	v_cndmask_b32_e64 v2, 0, v2, s[28:29]
	v_mov_b32_e32 v4, 0x70
	v_cndmask_b32_e32 v25, v2, v4, vcc
	v_add_u32_e32 v4, 21, v25
	v_or_b32_e32 v3, 0x800000, v60
	v_lshlrev_b64 v[34:35], v4, -1
	v_cndmask_b32_e32 v2, v3, v60, vcc
	v_mov_b32_e32 v3, v61
	v_add_u32_e32 v4, 20, v25
	v_bfi_b32 v34, v34, 0, v2
	v_lshlrev_b64 v[36:37], v4, 1
	v_lshrrev_b64 v[2:3], v25, v[2:3]
	v_bfi_b32 v35, v35, 0, 0
	v_cmp_eq_u64_e64 s[28:29], v[34:35], v[36:37]
	v_mov_b32_e32 v4, v3
	v_mov_b32_e32 v3, v2
	s_and_saveexec_b64 s[38:39], s[28:29]
; %bb.2976:                             ;   in Loop: Header=BB4_2956 Depth=3
	v_bfe_u32 v3, v2, 21, 1
	v_add_co_u32_e64 v3, s[28:29], v2, v3
	v_add_co_u32_e64 v3, s[28:29], -1, v3
; %bb.2977:                             ;   in Loop: Header=BB4_2956 Depth=3
	s_or_b64 exec, exec, s[38:39]
	v_add_u32_e32 v4, 0xffffff81, v7
	v_mov_b32_e32 v6, 0xffffff82
	v_cndmask_b32_e32 v4, v4, v6, vcc
	v_lshrrev_b32_e32 v6, 23, v2
	v_add3_u32 v7, v25, v4, v6
	v_add_u32_e32 v6, 14, v7
	v_and_b32_e32 v3, 0x1fffff, v3
	v_add_u32_e32 v60, v3, v2
	v_cmp_ne_u32_e32 vcc, 0, v6
                                        ; implicit-def: $vgpr2_vgpr3
                                        ; implicit-def: $vgpr4
	s_and_saveexec_b64 s[28:29], vcc
	s_xor_b64 s[28:29], exec, s[28:29]
; %bb.2978:                             ;   in Loop: Header=BB4_2956 Depth=3
	v_cmp_lt_u64_e32 vcc, s[88:89], v[60:61]
	v_add_u32_e32 v2, 15, v7
	v_cndmask_b32_e32 v4, v6, v2, vcc
	v_cndmask_b32_e64 v2, 0, 1, vcc
	v_lshrrev_b64 v[2:3], v2, v[60:61]
; %bb.2979:                             ;   in Loop: Header=BB4_2956 Depth=3
	s_andn2_saveexec_b64 s[28:29], s[28:29]
; %bb.2980:                             ;   in Loop: Header=BB4_2956 Depth=3
	v_mov_b32_e32 v2, v60
	v_mov_b32_e32 v3, v61
	v_bfe_u32 v4, v60, 23, 1
; %bb.2981:                             ;   in Loop: Header=BB4_2956 Depth=3
	s_or_b64 exec, exec, s[28:29]
	v_lshrrev_b64 v[2:3], 21, v[2:3]
	v_cmp_gt_i32_e32 vcc, 32, v4
	v_cndmask_b32_e32 v3, 0, v3, vcc
	v_cndmask_b32_e32 v2, 3, v2, vcc
	v_cmp_eq_u64_e64 s[28:29], 0, v[2:3]
	v_min_i32_e32 v3, 31, v4
	v_lshlrev_b32_e32 v3, 2, v3
	v_cmp_eq_u32_e32 vcc, 0, v4
	v_and_b32_e32 v3, 0xfc, v3
	v_and_or_b32 v2, v2, 3, v3
	s_and_b64 s[28:29], vcc, s[28:29]
	v_cndmask_b32_e64 v2, v2, 0, s[28:29]
	v_or_b32_e32 v59, v2, v24
.LBB4_2982:                             ;   in Loop: Header=BB4_2956 Depth=3
	s_or_b64 exec, exec, s[36:37]
                                        ; implicit-def: $vgpr24
.LBB4_2983:                             ;   in Loop: Header=BB4_2956 Depth=3
	s_andn2_saveexec_b64 s[28:29], s[34:35]
; %bb.2984:                             ;   in Loop: Header=BB4_2956 Depth=3
	v_or_b32_e32 v59, 0x7b, v24
; %bb.2985:                             ;   in Loop: Header=BB4_2956 Depth=3
	s_or_b64 exec, exec, s[28:29]
                                        ; implicit-def: $vgpr2
.LBB4_2986:                             ;   in Loop: Header=BB4_2956 Depth=3
	s_andn2_saveexec_b64 s[28:29], s[30:31]
	s_cbranch_execz .LBB4_2992
; %bb.2987:                             ;   in Loop: Header=BB4_2956 Depth=3
	v_cmp_ne_u64_e32 vcc, 0, v[60:61]
                                        ; implicit-def: $vgpr59
	s_and_saveexec_b64 s[30:31], vcc
	s_xor_b64 vcc, exec, s[30:31]
; %bb.2988:                             ;   in Loop: Header=BB4_2956 Depth=3
	v_or_b32_sdwa v59, v2, s44 dst_sel:DWORD dst_unused:UNUSED_PAD src0_sel:BYTE_3 src1_sel:DWORD
                                        ; implicit-def: $vgpr2
; %bb.2989:                             ;   in Loop: Header=BB4_2956 Depth=3
	s_andn2_saveexec_b64 s[30:31], vcc
; %bb.2990:                             ;   in Loop: Header=BB4_2956 Depth=3
	v_cmp_lt_i32_e32 vcc, -1, v2
	v_bfrev_b32_e32 v2, 0.5
	v_mov_b32_e32 v3, 0x7c
	v_cndmask_b32_e32 v59, v2, v3, vcc
; %bb.2991:                             ;   in Loop: Header=BB4_2956 Depth=3
	s_or_b64 exec, exec, s[30:31]
.LBB4_2992:                             ;   in Loop: Header=BB4_2956 Depth=3
	s_or_b64 exec, exec, s[28:29]
	v_lshrrev_b16_e32 v2, 8, v20
	v_cmp_ne_u16_e32 vcc, 0, v2
	v_mov_b32_e32 v4, 0
	v_mov_b32_e32 v24, 0
	s_and_saveexec_b64 s[28:29], vcc
	s_cbranch_execz .LBB4_3000
; %bb.2993:                             ;   in Loop: Header=BB4_2956 Depth=3
	v_cmp_ne_u16_e32 vcc, s81, v2
	v_bfrev_b32_e32 v24, 1
	s_and_saveexec_b64 s[30:31], vcc
	s_cbranch_execz .LBB4_2999
; %bb.2994:                             ;   in Loop: Header=BB4_2956 Depth=3
	v_and_b32_e32 v3, 0x7c, v2
	v_and_b32_e32 v6, 3, v2
	v_cmp_ne_u32_e32 vcc, s71, v3
                                        ; implicit-def: $vgpr24
	s_and_saveexec_b64 s[34:35], vcc
	s_xor_b64 s[34:35], exec, s[34:35]
	s_cbranch_execz .LBB4_2996
; %bb.2995:                             ;   in Loop: Header=BB4_2956 Depth=3
	v_ffbh_u32_e32 v24, v6
	v_min_u32_e32 v24, 32, v24
	v_mov_b32_e32 v3, v61
	v_subrev_u32_e32 v25, 29, v24
	v_bfe_u32 v7, v2, 2, 5
	v_lshlrev_b64 v[2:3], v25, v[2:3]
	v_cmp_eq_u32_e32 vcc, 0, v7
	v_and_b32_e32 v2, 3, v2
	v_sub_u32_e32 v3, 30, v24
	v_cndmask_b32_e32 v2, v6, v2, vcc
	v_lshlrev_b32_e32 v6, 16, v20
	v_cndmask_b32_e32 v3, v7, v3, vcc
	v_and_b32_e32 v6, 0x80000000, v6
	v_lshl_add_u32 v3, v3, 23, v6
	v_lshl_or_b32 v2, v2, 21, v3
	v_add_u32_e32 v24, 0x38000000, v2
                                        ; implicit-def: $vgpr6
.LBB4_2996:                             ;   in Loop: Header=BB4_2956 Depth=3
	s_andn2_saveexec_b64 s[34:35], s[34:35]
; %bb.2997:                             ;   in Loop: Header=BB4_2956 Depth=3
	v_cmp_lt_i16_e32 vcc, -1, v20
	v_mov_b32_e32 v2, 0xff800000
	v_cndmask_b32_e32 v2, v2, v47, vcc
	v_cmp_eq_u32_e32 vcc, 0, v6
	v_mov_b32_e32 v3, 0x7f800001
	v_cndmask_b32_e32 v24, v3, v2, vcc
; %bb.2998:                             ;   in Loop: Header=BB4_2956 Depth=3
	s_or_b64 exec, exec, s[34:35]
.LBB4_2999:                             ;   in Loop: Header=BB4_2956 Depth=3
	s_or_b64 exec, exec, s[30:31]
.LBB4_3000:                             ;   in Loop: Header=BB4_2956 Depth=3
	s_or_b64 exec, exec, s[28:29]
	v_lshrrev_b16_e32 v2, 8, v16
	v_cmp_ne_u16_e32 vcc, 0, v2
	s_and_saveexec_b64 s[28:29], vcc
	s_cbranch_execz .LBB4_3008
; %bb.3001:                             ;   in Loop: Header=BB4_2956 Depth=3
	v_cmp_ne_u16_e32 vcc, s81, v2
	v_bfrev_b32_e32 v4, 1
	s_and_saveexec_b64 s[30:31], vcc
	s_cbranch_execz .LBB4_3007
; %bb.3002:                             ;   in Loop: Header=BB4_2956 Depth=3
	v_and_b32_e32 v3, 0x7c, v2
	v_and_b32_e32 v6, 3, v2
	v_cmp_ne_u32_e32 vcc, s71, v3
                                        ; implicit-def: $vgpr4
	s_and_saveexec_b64 s[34:35], vcc
	s_xor_b64 s[34:35], exec, s[34:35]
	s_cbranch_execz .LBB4_3004
; %bb.3003:                             ;   in Loop: Header=BB4_2956 Depth=3
	v_ffbh_u32_e32 v7, v6
	v_min_u32_e32 v7, 32, v7
	v_mov_b32_e32 v3, v61
	v_subrev_u32_e32 v25, 29, v7
	v_bfe_u32 v4, v2, 2, 5
	v_lshlrev_b64 v[2:3], v25, v[2:3]
	v_sub_u32_e32 v3, 30, v7
	v_cmp_eq_u32_e32 vcc, 0, v4
	v_cndmask_b32_e32 v3, v4, v3, vcc
	v_lshlrev_b32_e32 v4, 16, v16
	v_and_b32_e32 v2, 3, v2
	v_and_b32_e32 v4, 0x80000000, v4
	v_cndmask_b32_e32 v2, v6, v2, vcc
	v_lshl_add_u32 v3, v3, 23, v4
	v_lshl_or_b32 v2, v2, 21, v3
	v_add_u32_e32 v4, 0x38000000, v2
                                        ; implicit-def: $vgpr6
.LBB4_3004:                             ;   in Loop: Header=BB4_2956 Depth=3
	s_andn2_saveexec_b64 s[34:35], s[34:35]
; %bb.3005:                             ;   in Loop: Header=BB4_2956 Depth=3
	v_cmp_lt_i16_e32 vcc, -1, v16
	v_mov_b32_e32 v2, 0xff800000
	v_cndmask_b32_e32 v2, v2, v47, vcc
	v_cmp_eq_u32_e32 vcc, 0, v6
	v_mov_b32_e32 v3, 0x7f800001
	v_cndmask_b32_e32 v4, v3, v2, vcc
; %bb.3006:                             ;   in Loop: Header=BB4_2956 Depth=3
	s_or_b64 exec, exec, s[34:35]
.LBB4_3007:                             ;   in Loop: Header=BB4_2956 Depth=3
	s_or_b64 exec, exec, s[30:31]
.LBB4_3008:                             ;   in Loop: Header=BB4_2956 Depth=3
	s_or_b64 exec, exec, s[28:29]
	v_mul_f32_e32 v2, v24, v4
	v_and_b32_e32 v3, 0x7f800000, v2
	v_mov_b32_e32 v4, v61
	v_cmp_ne_u64_e32 vcc, s[62:63], v[3:4]
	v_and_b32_e32 v60, 0x7fffff, v2
                                        ; implicit-def: $vgpr45
	s_and_saveexec_b64 s[28:29], vcc
	s_xor_b64 s[30:31], exec, s[28:29]
	s_cbranch_execz .LBB4_3022
; %bb.3009:                             ;   in Loop: Header=BB4_2956 Depth=3
	v_and_b32_e32 v3, 0x7fffffff, v2
	v_mov_b32_e32 v4, v61
	v_cmp_gt_u64_e32 vcc, s[78:79], v[3:4]
	v_and_b32_sdwa v25, v2, s81 dst_sel:DWORD dst_unused:UNUSED_PAD src0_sel:BYTE_3 src1_sel:DWORD
                                        ; implicit-def: $vgpr45
	s_and_saveexec_b64 s[28:29], vcc
	s_xor_b64 s[34:35], exec, s[28:29]
	s_cbranch_execz .LBB4_3019
; %bb.3010:                             ;   in Loop: Header=BB4_2956 Depth=3
	v_mov_b32_e32 v45, 0
	v_cmp_ne_u32_e32 vcc, 0, v2
	s_and_saveexec_b64 s[36:37], vcc
	s_cbranch_execz .LBB4_3018
; %bb.3011:                             ;   in Loop: Header=BB4_2956 Depth=3
	v_bfe_u32 v24, v2, 23, 8
	v_cmp_gt_u32_e64 s[28:29], s47, v24
	v_sub_u32_e32 v2, 0x71, v24
	v_cmp_eq_u32_e32 vcc, 0, v24
	v_cndmask_b32_e64 v2, 0, v2, s[28:29]
	v_mov_b32_e32 v4, 0x70
	v_cndmask_b32_e32 v34, v2, v4, vcc
	v_add_u32_e32 v4, 21, v34
	v_or_b32_e32 v3, 0x800000, v60
	v_lshlrev_b64 v[35:36], v4, -1
	v_cndmask_b32_e32 v2, v3, v60, vcc
	v_mov_b32_e32 v3, v61
	v_add_u32_e32 v4, 20, v34
	v_bfi_b32 v35, v35, 0, v2
	v_lshlrev_b64 v[37:38], v4, 1
	v_lshrrev_b64 v[2:3], v34, v[2:3]
	v_bfi_b32 v36, v36, 0, 0
	v_cmp_eq_u64_e64 s[28:29], v[35:36], v[37:38]
	v_mov_b32_e32 v4, v3
	v_mov_b32_e32 v3, v2
	s_and_saveexec_b64 s[38:39], s[28:29]
; %bb.3012:                             ;   in Loop: Header=BB4_2956 Depth=3
	v_bfe_u32 v3, v2, 21, 1
	v_add_co_u32_e64 v3, s[28:29], v2, v3
	v_add_co_u32_e64 v3, s[28:29], -1, v3
; %bb.3013:                             ;   in Loop: Header=BB4_2956 Depth=3
	s_or_b64 exec, exec, s[38:39]
	v_add_u32_e32 v4, 0xffffff81, v24
	v_mov_b32_e32 v6, 0xffffff82
	v_cndmask_b32_e32 v4, v4, v6, vcc
	v_lshrrev_b32_e32 v6, 23, v2
	v_add3_u32 v24, v34, v4, v6
	v_add_u32_e32 v6, 14, v24
	v_and_b32_e32 v3, 0x1fffff, v3
	v_add_u32_e32 v60, v3, v2
	v_cmp_ne_u32_e32 vcc, 0, v6
                                        ; implicit-def: $vgpr2_vgpr3
                                        ; implicit-def: $vgpr4
	s_and_saveexec_b64 s[28:29], vcc
	s_xor_b64 s[28:29], exec, s[28:29]
; %bb.3014:                             ;   in Loop: Header=BB4_2956 Depth=3
	v_cmp_lt_u64_e32 vcc, s[88:89], v[60:61]
	v_add_u32_e32 v2, 15, v24
	v_cndmask_b32_e32 v4, v6, v2, vcc
	v_cndmask_b32_e64 v2, 0, 1, vcc
	v_lshrrev_b64 v[2:3], v2, v[60:61]
; %bb.3015:                             ;   in Loop: Header=BB4_2956 Depth=3
	s_andn2_saveexec_b64 s[28:29], s[28:29]
; %bb.3016:                             ;   in Loop: Header=BB4_2956 Depth=3
	v_mov_b32_e32 v2, v60
	v_mov_b32_e32 v3, v61
	v_bfe_u32 v4, v60, 23, 1
; %bb.3017:                             ;   in Loop: Header=BB4_2956 Depth=3
	s_or_b64 exec, exec, s[28:29]
	v_lshrrev_b64 v[2:3], 21, v[2:3]
	v_cmp_gt_i32_e32 vcc, 32, v4
	v_cndmask_b32_e32 v3, 0, v3, vcc
	v_cndmask_b32_e32 v2, 3, v2, vcc
	v_cmp_eq_u64_e64 s[28:29], 0, v[2:3]
	v_min_i32_e32 v3, 31, v4
	v_lshlrev_b32_e32 v3, 2, v3
	v_cmp_eq_u32_e32 vcc, 0, v4
	v_and_b32_e32 v3, 0xfc, v3
	v_and_or_b32 v2, v2, 3, v3
	s_and_b64 s[28:29], vcc, s[28:29]
	v_cndmask_b32_e64 v2, v2, 0, s[28:29]
	v_or_b32_e32 v45, v2, v25
.LBB4_3018:                             ;   in Loop: Header=BB4_2956 Depth=3
	s_or_b64 exec, exec, s[36:37]
                                        ; implicit-def: $vgpr25
.LBB4_3019:                             ;   in Loop: Header=BB4_2956 Depth=3
	s_andn2_saveexec_b64 s[28:29], s[34:35]
; %bb.3020:                             ;   in Loop: Header=BB4_2956 Depth=3
	v_or_b32_e32 v45, 0x7b, v25
; %bb.3021:                             ;   in Loop: Header=BB4_2956 Depth=3
	s_or_b64 exec, exec, s[28:29]
                                        ; implicit-def: $vgpr2
.LBB4_3022:                             ;   in Loop: Header=BB4_2956 Depth=3
	s_andn2_saveexec_b64 s[28:29], s[30:31]
	s_cbranch_execz .LBB4_3028
; %bb.3023:                             ;   in Loop: Header=BB4_2956 Depth=3
	v_cmp_ne_u64_e32 vcc, 0, v[60:61]
                                        ; implicit-def: $vgpr45
	s_and_saveexec_b64 s[30:31], vcc
	s_xor_b64 vcc, exec, s[30:31]
; %bb.3024:                             ;   in Loop: Header=BB4_2956 Depth=3
	v_or_b32_sdwa v45, v2, s44 dst_sel:DWORD dst_unused:UNUSED_PAD src0_sel:BYTE_3 src1_sel:DWORD
                                        ; implicit-def: $vgpr2
; %bb.3025:                             ;   in Loop: Header=BB4_2956 Depth=3
	s_andn2_saveexec_b64 s[30:31], vcc
; %bb.3026:                             ;   in Loop: Header=BB4_2956 Depth=3
	v_cmp_lt_i32_e32 vcc, -1, v2
	v_bfrev_b32_e32 v2, 0.5
	v_mov_b32_e32 v3, 0x7c
	v_cndmask_b32_e32 v45, v2, v3, vcc
; %bb.3027:                             ;   in Loop: Header=BB4_2956 Depth=3
	s_or_b64 exec, exec, s[30:31]
.LBB4_3028:                             ;   in Loop: Header=BB4_2956 Depth=3
	s_or_b64 exec, exec, s[28:29]
	v_lshrrev_b32_e32 v2, 16, v20
	v_cmp_ne_u16_sdwa vcc, v2, v61 src0_sel:BYTE_0 src1_sel:DWORD
	v_mov_b32_e32 v3, 0
	v_mov_b32_e32 v4, 0
	s_and_saveexec_b64 s[28:29], vcc
	s_cbranch_execz .LBB4_3036
; %bb.3029:                             ;   in Loop: Header=BB4_2956 Depth=3
	v_cmp_ne_u16_sdwa vcc, v2, s81 src0_sel:BYTE_0 src1_sel:DWORD
	v_bfrev_b32_e32 v4, 1
	s_and_saveexec_b64 s[30:31], vcc
	s_cbranch_execz .LBB4_3035
; %bb.3030:                             ;   in Loop: Header=BB4_2956 Depth=3
	v_and_b32_e32 v4, 0x7c0000, v20
	v_bfe_u32 v6, v20, 16, 2
	v_cmp_ne_u32_e32 vcc, s45, v4
                                        ; implicit-def: $vgpr4
	s_and_saveexec_b64 s[34:35], vcc
	s_xor_b64 s[34:35], exec, s[34:35]
	s_cbranch_execz .LBB4_3032
; %bb.3031:                             ;   in Loop: Header=BB4_2956 Depth=3
	v_ffbh_u32_e32 v7, v6
	v_min_u32_e32 v7, 32, v7
	v_subrev_u32_e32 v24, 29, v7
	v_lshlrev_b64 v[34:35], v24, v[2:3]
	v_bfe_u32 v4, v20, 18, 5
	v_sub_u32_e32 v2, 30, v7
	v_and_b32_e32 v7, 3, v34
	v_cmp_eq_u32_e32 vcc, 0, v4
	v_cndmask_b32_e32 v2, v4, v2, vcc
	v_cndmask_b32_e32 v4, v6, v7, vcc
	v_lshlrev_b32_e32 v6, 8, v20
	v_and_b32_e32 v6, 0x80000000, v6
	v_lshl_add_u32 v2, v2, 23, v6
	v_lshl_or_b32 v2, v4, 21, v2
	v_add_u32_e32 v4, 0x38000000, v2
                                        ; implicit-def: $vgpr6
                                        ; implicit-def: $vgpr2
.LBB4_3032:                             ;   in Loop: Header=BB4_2956 Depth=3
	s_andn2_saveexec_b64 s[34:35], s[34:35]
; %bb.3033:                             ;   in Loop: Header=BB4_2956 Depth=3
	v_mov_b32_e32 v4, -1
	v_cmp_gt_i16_sdwa vcc, sext(v2), v4 src0_sel:BYTE_0 src1_sel:DWORD
	v_mov_b32_e32 v2, 0xff800000
	v_cndmask_b32_e32 v2, v2, v47, vcc
	v_cmp_eq_u32_e32 vcc, 0, v6
	v_mov_b32_e32 v4, 0x7f800001
	v_cndmask_b32_e32 v4, v4, v2, vcc
; %bb.3034:                             ;   in Loop: Header=BB4_2956 Depth=3
	s_or_b64 exec, exec, s[34:35]
.LBB4_3035:                             ;   in Loop: Header=BB4_2956 Depth=3
	s_or_b64 exec, exec, s[30:31]
.LBB4_3036:                             ;   in Loop: Header=BB4_2956 Depth=3
	s_or_b64 exec, exec, s[28:29]
	v_lshrrev_b32_e32 v2, 16, v16
	v_cmp_ne_u16_sdwa vcc, v2, v61 src0_sel:BYTE_0 src1_sel:DWORD
	s_and_saveexec_b64 s[28:29], vcc
	s_cbranch_execz .LBB4_3044
; %bb.3037:                             ;   in Loop: Header=BB4_2956 Depth=3
	v_cmp_ne_u16_sdwa vcc, v2, s81 src0_sel:BYTE_0 src1_sel:DWORD
	v_bfrev_b32_e32 v3, 1
	s_and_saveexec_b64 s[30:31], vcc
	s_cbranch_execz .LBB4_3043
; %bb.3038:                             ;   in Loop: Header=BB4_2956 Depth=3
	v_and_b32_e32 v3, 0x7c0000, v16
	v_bfe_u32 v6, v16, 16, 2
	v_cmp_ne_u32_e32 vcc, s45, v3
                                        ; implicit-def: $vgpr3
	s_and_saveexec_b64 s[34:35], vcc
	s_xor_b64 s[34:35], exec, s[34:35]
	s_cbranch_execz .LBB4_3040
; %bb.3039:                             ;   in Loop: Header=BB4_2956 Depth=3
	v_ffbh_u32_e32 v3, v6
	v_min_u32_e32 v24, 32, v3
	v_subrev_u32_e32 v3, 29, v24
	v_lshlrev_b64 v[2:3], v3, v[2:3]
	v_bfe_u32 v7, v16, 18, 5
	v_and_b32_e32 v2, 3, v2
	v_cmp_eq_u32_e32 vcc, 0, v7
	v_sub_u32_e32 v3, 30, v24
	v_cndmask_b32_e32 v2, v6, v2, vcc
	v_lshlrev_b32_e32 v6, 8, v16
	v_cndmask_b32_e32 v3, v7, v3, vcc
	v_and_b32_e32 v6, 0x80000000, v6
	v_lshl_add_u32 v3, v3, 23, v6
	v_lshl_or_b32 v2, v2, 21, v3
	v_add_u32_e32 v3, 0x38000000, v2
                                        ; implicit-def: $vgpr6
                                        ; implicit-def: $vgpr2
.LBB4_3040:                             ;   in Loop: Header=BB4_2956 Depth=3
	s_andn2_saveexec_b64 s[34:35], s[34:35]
; %bb.3041:                             ;   in Loop: Header=BB4_2956 Depth=3
	v_mov_b32_e32 v3, -1
	v_cmp_gt_i16_sdwa vcc, sext(v2), v3 src0_sel:BYTE_0 src1_sel:DWORD
	v_mov_b32_e32 v2, 0xff800000
	v_cndmask_b32_e32 v2, v2, v47, vcc
	v_cmp_eq_u32_e32 vcc, 0, v6
	v_mov_b32_e32 v3, 0x7f800001
	v_cndmask_b32_e32 v3, v3, v2, vcc
; %bb.3042:                             ;   in Loop: Header=BB4_2956 Depth=3
	s_or_b64 exec, exec, s[34:35]
.LBB4_3043:                             ;   in Loop: Header=BB4_2956 Depth=3
	s_or_b64 exec, exec, s[30:31]
.LBB4_3044:                             ;   in Loop: Header=BB4_2956 Depth=3
	s_or_b64 exec, exec, s[28:29]
	v_mul_f32_e32 v2, v4, v3
	v_and_b32_e32 v3, 0x7f800000, v2
	v_mov_b32_e32 v4, v61
	v_cmp_ne_u64_e32 vcc, s[62:63], v[3:4]
	v_and_b32_e32 v60, 0x7fffff, v2
                                        ; implicit-def: $vgpr41
	s_and_saveexec_b64 s[28:29], vcc
	s_xor_b64 s[30:31], exec, s[28:29]
	s_cbranch_execz .LBB4_3058
; %bb.3045:                             ;   in Loop: Header=BB4_2956 Depth=3
	v_and_b32_e32 v3, 0x7fffffff, v2
	v_mov_b32_e32 v4, v61
	v_cmp_gt_u64_e32 vcc, s[78:79], v[3:4]
	v_and_b32_sdwa v34, v2, s81 dst_sel:DWORD dst_unused:UNUSED_PAD src0_sel:BYTE_3 src1_sel:DWORD
                                        ; implicit-def: $vgpr41
	s_and_saveexec_b64 s[28:29], vcc
	s_xor_b64 s[34:35], exec, s[28:29]
	s_cbranch_execz .LBB4_3055
; %bb.3046:                             ;   in Loop: Header=BB4_2956 Depth=3
	v_mov_b32_e32 v41, 0
	v_cmp_ne_u32_e32 vcc, 0, v2
	s_and_saveexec_b64 s[36:37], vcc
	s_cbranch_execz .LBB4_3054
; %bb.3047:                             ;   in Loop: Header=BB4_2956 Depth=3
	v_bfe_u32 v25, v2, 23, 8
	v_cmp_gt_u32_e64 s[28:29], s47, v25
	v_sub_u32_e32 v2, 0x71, v25
	v_cmp_eq_u32_e32 vcc, 0, v25
	v_cndmask_b32_e64 v2, 0, v2, s[28:29]
	v_mov_b32_e32 v4, 0x70
	v_cndmask_b32_e32 v35, v2, v4, vcc
	v_add_u32_e32 v4, 21, v35
	v_or_b32_e32 v3, 0x800000, v60
	v_lshlrev_b64 v[36:37], v4, -1
	v_cndmask_b32_e32 v2, v3, v60, vcc
	v_mov_b32_e32 v3, v61
	v_add_u32_e32 v4, 20, v35
	v_bfi_b32 v36, v36, 0, v2
	v_lshlrev_b64 v[38:39], v4, 1
	v_lshrrev_b64 v[2:3], v35, v[2:3]
	v_bfi_b32 v37, v37, 0, 0
	v_cmp_eq_u64_e64 s[28:29], v[36:37], v[38:39]
	v_mov_b32_e32 v4, v3
	v_mov_b32_e32 v3, v2
	s_and_saveexec_b64 s[38:39], s[28:29]
; %bb.3048:                             ;   in Loop: Header=BB4_2956 Depth=3
	v_bfe_u32 v3, v2, 21, 1
	v_add_co_u32_e64 v3, s[28:29], v2, v3
	v_add_co_u32_e64 v3, s[28:29], -1, v3
; %bb.3049:                             ;   in Loop: Header=BB4_2956 Depth=3
	s_or_b64 exec, exec, s[38:39]
	v_add_u32_e32 v4, 0xffffff81, v25
	v_mov_b32_e32 v6, 0xffffff82
	v_cndmask_b32_e32 v4, v4, v6, vcc
	v_lshrrev_b32_e32 v6, 23, v2
	v_add3_u32 v25, v35, v4, v6
	v_add_u32_e32 v6, 14, v25
	v_and_b32_e32 v3, 0x1fffff, v3
	v_add_u32_e32 v60, v3, v2
	v_cmp_ne_u32_e32 vcc, 0, v6
                                        ; implicit-def: $vgpr2_vgpr3
                                        ; implicit-def: $vgpr4
	s_and_saveexec_b64 s[28:29], vcc
	s_xor_b64 s[28:29], exec, s[28:29]
; %bb.3050:                             ;   in Loop: Header=BB4_2956 Depth=3
	v_cmp_lt_u64_e32 vcc, s[88:89], v[60:61]
	v_add_u32_e32 v2, 15, v25
	v_cndmask_b32_e32 v4, v6, v2, vcc
	v_cndmask_b32_e64 v2, 0, 1, vcc
	v_lshrrev_b64 v[2:3], v2, v[60:61]
; %bb.3051:                             ;   in Loop: Header=BB4_2956 Depth=3
	s_andn2_saveexec_b64 s[28:29], s[28:29]
; %bb.3052:                             ;   in Loop: Header=BB4_2956 Depth=3
	v_mov_b32_e32 v2, v60
	v_mov_b32_e32 v3, v61
	v_bfe_u32 v4, v60, 23, 1
; %bb.3053:                             ;   in Loop: Header=BB4_2956 Depth=3
	s_or_b64 exec, exec, s[28:29]
	v_lshrrev_b64 v[2:3], 21, v[2:3]
	v_cmp_gt_i32_e32 vcc, 32, v4
	v_cndmask_b32_e32 v3, 0, v3, vcc
	v_cndmask_b32_e32 v2, 3, v2, vcc
	v_cmp_eq_u64_e64 s[28:29], 0, v[2:3]
	v_min_i32_e32 v3, 31, v4
	v_lshlrev_b32_e32 v3, 2, v3
	v_cmp_eq_u32_e32 vcc, 0, v4
	v_and_b32_e32 v3, 0xfc, v3
	v_and_or_b32 v2, v2, 3, v3
	s_and_b64 s[28:29], vcc, s[28:29]
	v_cndmask_b32_e64 v2, v2, 0, s[28:29]
	v_or_b32_e32 v41, v2, v34
.LBB4_3054:                             ;   in Loop: Header=BB4_2956 Depth=3
	s_or_b64 exec, exec, s[36:37]
                                        ; implicit-def: $vgpr34
.LBB4_3055:                             ;   in Loop: Header=BB4_2956 Depth=3
	s_andn2_saveexec_b64 s[28:29], s[34:35]
; %bb.3056:                             ;   in Loop: Header=BB4_2956 Depth=3
	v_or_b32_e32 v41, 0x7b, v34
; %bb.3057:                             ;   in Loop: Header=BB4_2956 Depth=3
	s_or_b64 exec, exec, s[28:29]
                                        ; implicit-def: $vgpr2
.LBB4_3058:                             ;   in Loop: Header=BB4_2956 Depth=3
	s_andn2_saveexec_b64 s[28:29], s[30:31]
	s_cbranch_execz .LBB4_3064
; %bb.3059:                             ;   in Loop: Header=BB4_2956 Depth=3
	v_cmp_ne_u64_e32 vcc, 0, v[60:61]
                                        ; implicit-def: $vgpr41
	s_and_saveexec_b64 s[30:31], vcc
	s_xor_b64 vcc, exec, s[30:31]
; %bb.3060:                             ;   in Loop: Header=BB4_2956 Depth=3
	v_or_b32_sdwa v41, v2, s44 dst_sel:DWORD dst_unused:UNUSED_PAD src0_sel:BYTE_3 src1_sel:DWORD
                                        ; implicit-def: $vgpr2
; %bb.3061:                             ;   in Loop: Header=BB4_2956 Depth=3
	s_andn2_saveexec_b64 s[30:31], vcc
; %bb.3062:                             ;   in Loop: Header=BB4_2956 Depth=3
	v_cmp_lt_i32_e32 vcc, -1, v2
	v_bfrev_b32_e32 v2, 0.5
	v_mov_b32_e32 v3, 0x7c
	v_cndmask_b32_e32 v41, v2, v3, vcc
; %bb.3063:                             ;   in Loop: Header=BB4_2956 Depth=3
	s_or_b64 exec, exec, s[30:31]
.LBB4_3064:                             ;   in Loop: Header=BB4_2956 Depth=3
	s_or_b64 exec, exec, s[28:29]
	v_cmp_lt_u32_e32 vcc, s57, v20
	v_mov_b32_e32 v3, 0
	v_mov_b32_e32 v4, 0
	s_and_saveexec_b64 s[28:29], vcc
	s_cbranch_execz .LBB4_3072
; %bb.3065:                             ;   in Loop: Header=BB4_2956 Depth=3
	v_lshrrev_b32_e32 v2, 24, v20
	v_cmp_ne_u32_e32 vcc, s81, v2
	v_bfrev_b32_e32 v4, 1
	s_and_saveexec_b64 s[30:31], vcc
	s_cbranch_execz .LBB4_3071
; %bb.3066:                             ;   in Loop: Header=BB4_2956 Depth=3
	v_and_b32_e32 v4, 0x7c000000, v20
	v_bfe_u32 v6, v20, 24, 2
	v_cmp_ne_u32_e32 vcc, s82, v4
                                        ; implicit-def: $vgpr4
	s_and_saveexec_b64 s[34:35], vcc
	s_xor_b64 s[34:35], exec, s[34:35]
	s_cbranch_execz .LBB4_3068
; %bb.3067:                             ;   in Loop: Header=BB4_2956 Depth=3
	v_ffbh_u32_e32 v7, v6
	v_min_u32_e32 v7, 32, v7
	v_subrev_u32_e32 v24, 29, v7
	v_lshlrev_b64 v[34:35], v24, v[2:3]
	v_bfe_u32 v4, v20, 26, 5
	v_sub_u32_e32 v2, 30, v7
	v_and_b32_e32 v7, 3, v34
	v_cmp_eq_u32_e32 vcc, 0, v4
	v_cndmask_b32_e32 v2, v4, v2, vcc
	v_cndmask_b32_e32 v4, v6, v7, vcc
	v_and_b32_e32 v6, 0x80000000, v20
	v_lshl_add_u32 v2, v2, 23, v6
	v_lshl_or_b32 v2, v4, 21, v2
	v_add_u32_e32 v4, 0x38000000, v2
                                        ; implicit-def: $vgpr6
.LBB4_3068:                             ;   in Loop: Header=BB4_2956 Depth=3
	s_andn2_saveexec_b64 s[34:35], s[34:35]
; %bb.3069:                             ;   in Loop: Header=BB4_2956 Depth=3
	v_cmp_lt_i32_e32 vcc, -1, v20
	v_mov_b32_e32 v2, 0xff800000
	v_cndmask_b32_e32 v2, v2, v47, vcc
	v_cmp_eq_u32_e32 vcc, 0, v6
	v_mov_b32_e32 v4, 0x7f800001
	v_cndmask_b32_e32 v4, v4, v2, vcc
; %bb.3070:                             ;   in Loop: Header=BB4_2956 Depth=3
	s_or_b64 exec, exec, s[34:35]
.LBB4_3071:                             ;   in Loop: Header=BB4_2956 Depth=3
	s_or_b64 exec, exec, s[30:31]
.LBB4_3072:                             ;   in Loop: Header=BB4_2956 Depth=3
	s_or_b64 exec, exec, s[28:29]
	v_cmp_lt_u32_e32 vcc, s57, v16
	s_and_saveexec_b64 s[28:29], vcc
	s_cbranch_execz .LBB4_3080
; %bb.3073:                             ;   in Loop: Header=BB4_2956 Depth=3
	v_lshrrev_b32_e32 v2, 24, v16
	v_cmp_ne_u32_e32 vcc, s81, v2
	v_bfrev_b32_e32 v3, 1
	s_and_saveexec_b64 s[30:31], vcc
	s_cbranch_execz .LBB4_3079
; %bb.3074:                             ;   in Loop: Header=BB4_2956 Depth=3
	v_and_b32_e32 v3, 0x7c000000, v16
	v_bfe_u32 v6, v16, 24, 2
	v_cmp_ne_u32_e32 vcc, s82, v3
                                        ; implicit-def: $vgpr3
	s_and_saveexec_b64 s[34:35], vcc
	s_xor_b64 s[34:35], exec, s[34:35]
	s_cbranch_execz .LBB4_3076
; %bb.3075:                             ;   in Loop: Header=BB4_2956 Depth=3
	v_ffbh_u32_e32 v3, v6
	v_min_u32_e32 v24, 32, v3
	v_subrev_u32_e32 v3, 29, v24
	v_lshlrev_b64 v[2:3], v3, v[2:3]
	v_bfe_u32 v7, v16, 26, 5
	v_sub_u32_e32 v3, 30, v24
	v_and_b32_e32 v2, 3, v2
	v_cmp_eq_u32_e32 vcc, 0, v7
	v_cndmask_b32_e32 v3, v7, v3, vcc
	v_cndmask_b32_e32 v2, v6, v2, vcc
	v_and_b32_e32 v6, 0x80000000, v16
	v_lshl_add_u32 v3, v3, 23, v6
	v_lshl_or_b32 v2, v2, 21, v3
	v_add_u32_e32 v3, 0x38000000, v2
                                        ; implicit-def: $vgpr6
.LBB4_3076:                             ;   in Loop: Header=BB4_2956 Depth=3
	s_andn2_saveexec_b64 s[34:35], s[34:35]
; %bb.3077:                             ;   in Loop: Header=BB4_2956 Depth=3
	v_cmp_lt_i32_e32 vcc, -1, v16
	v_mov_b32_e32 v2, 0xff800000
	v_cndmask_b32_e32 v2, v2, v47, vcc
	v_cmp_eq_u32_e32 vcc, 0, v6
	v_mov_b32_e32 v3, 0x7f800001
	v_cndmask_b32_e32 v3, v3, v2, vcc
; %bb.3078:                             ;   in Loop: Header=BB4_2956 Depth=3
	s_or_b64 exec, exec, s[34:35]
.LBB4_3079:                             ;   in Loop: Header=BB4_2956 Depth=3
	s_or_b64 exec, exec, s[30:31]
.LBB4_3080:                             ;   in Loop: Header=BB4_2956 Depth=3
	s_or_b64 exec, exec, s[28:29]
	v_mul_f32_e32 v2, v4, v3
	v_and_b32_e32 v3, 0x7f800000, v2
	v_mov_b32_e32 v4, v61
	v_cmp_ne_u64_e32 vcc, s[62:63], v[3:4]
	v_and_b32_e32 v60, 0x7fffff, v2
                                        ; implicit-def: $vgpr40
	s_and_saveexec_b64 s[28:29], vcc
	s_xor_b64 s[30:31], exec, s[28:29]
	s_cbranch_execz .LBB4_3094
; %bb.3081:                             ;   in Loop: Header=BB4_2956 Depth=3
	v_and_b32_e32 v3, 0x7fffffff, v2
	v_mov_b32_e32 v4, v61
	v_cmp_gt_u64_e32 vcc, s[78:79], v[3:4]
	v_and_b32_sdwa v35, v2, s81 dst_sel:DWORD dst_unused:UNUSED_PAD src0_sel:BYTE_3 src1_sel:DWORD
                                        ; implicit-def: $vgpr40
	s_and_saveexec_b64 s[28:29], vcc
	s_xor_b64 s[34:35], exec, s[28:29]
	s_cbranch_execz .LBB4_3091
; %bb.3082:                             ;   in Loop: Header=BB4_2956 Depth=3
	v_mov_b32_e32 v40, 0
	v_cmp_ne_u32_e32 vcc, 0, v2
	s_and_saveexec_b64 s[36:37], vcc
	s_cbranch_execz .LBB4_3090
; %bb.3083:                             ;   in Loop: Header=BB4_2956 Depth=3
	v_bfe_u32 v34, v2, 23, 8
	v_cmp_gt_u32_e64 s[28:29], s47, v34
	v_sub_u32_e32 v2, 0x71, v34
	v_cmp_eq_u32_e32 vcc, 0, v34
	v_cndmask_b32_e64 v2, 0, v2, s[28:29]
	v_mov_b32_e32 v4, 0x70
	v_cndmask_b32_e32 v36, v2, v4, vcc
	v_add_u32_e32 v4, 21, v36
	v_or_b32_e32 v3, 0x800000, v60
	v_lshlrev_b64 v[37:38], v4, -1
	v_cndmask_b32_e32 v2, v3, v60, vcc
	v_mov_b32_e32 v3, v61
	v_add_u32_e32 v4, 20, v36
	v_bfi_b32 v37, v37, 0, v2
	v_lshlrev_b64 v[50:51], v4, 1
	v_lshrrev_b64 v[2:3], v36, v[2:3]
	v_bfi_b32 v38, v38, 0, 0
	v_cmp_eq_u64_e64 s[28:29], v[37:38], v[50:51]
	v_mov_b32_e32 v4, v3
	v_mov_b32_e32 v3, v2
	s_and_saveexec_b64 s[38:39], s[28:29]
; %bb.3084:                             ;   in Loop: Header=BB4_2956 Depth=3
	v_bfe_u32 v3, v2, 21, 1
	v_add_co_u32_e64 v3, s[28:29], v2, v3
	v_add_co_u32_e64 v3, s[28:29], -1, v3
; %bb.3085:                             ;   in Loop: Header=BB4_2956 Depth=3
	s_or_b64 exec, exec, s[38:39]
	v_add_u32_e32 v4, 0xffffff81, v34
	v_mov_b32_e32 v6, 0xffffff82
	v_cndmask_b32_e32 v4, v4, v6, vcc
	v_lshrrev_b32_e32 v6, 23, v2
	v_add3_u32 v34, v36, v4, v6
	v_add_u32_e32 v6, 14, v34
	v_and_b32_e32 v3, 0x1fffff, v3
	v_add_u32_e32 v60, v3, v2
	v_cmp_ne_u32_e32 vcc, 0, v6
                                        ; implicit-def: $vgpr2_vgpr3
                                        ; implicit-def: $vgpr4
	s_and_saveexec_b64 s[28:29], vcc
	s_xor_b64 s[28:29], exec, s[28:29]
; %bb.3086:                             ;   in Loop: Header=BB4_2956 Depth=3
	v_cmp_lt_u64_e32 vcc, s[88:89], v[60:61]
	v_add_u32_e32 v2, 15, v34
	v_cndmask_b32_e32 v4, v6, v2, vcc
	v_cndmask_b32_e64 v2, 0, 1, vcc
	v_lshrrev_b64 v[2:3], v2, v[60:61]
; %bb.3087:                             ;   in Loop: Header=BB4_2956 Depth=3
	s_andn2_saveexec_b64 s[28:29], s[28:29]
; %bb.3088:                             ;   in Loop: Header=BB4_2956 Depth=3
	v_mov_b32_e32 v2, v60
	v_mov_b32_e32 v3, v61
	v_bfe_u32 v4, v60, 23, 1
; %bb.3089:                             ;   in Loop: Header=BB4_2956 Depth=3
	s_or_b64 exec, exec, s[28:29]
	v_lshrrev_b64 v[2:3], 21, v[2:3]
	v_cmp_gt_i32_e32 vcc, 32, v4
	v_cndmask_b32_e32 v3, 0, v3, vcc
	v_cndmask_b32_e32 v2, 3, v2, vcc
	v_cmp_eq_u64_e64 s[28:29], 0, v[2:3]
	v_min_i32_e32 v3, 31, v4
	v_lshlrev_b32_e32 v3, 2, v3
	v_cmp_eq_u32_e32 vcc, 0, v4
	v_and_b32_e32 v3, 0xfc, v3
	v_and_or_b32 v2, v2, 3, v3
	s_and_b64 s[28:29], vcc, s[28:29]
	v_cndmask_b32_e64 v2, v2, 0, s[28:29]
	v_or_b32_e32 v40, v2, v35
.LBB4_3090:                             ;   in Loop: Header=BB4_2956 Depth=3
	s_or_b64 exec, exec, s[36:37]
                                        ; implicit-def: $vgpr35
.LBB4_3091:                             ;   in Loop: Header=BB4_2956 Depth=3
	s_andn2_saveexec_b64 s[28:29], s[34:35]
; %bb.3092:                             ;   in Loop: Header=BB4_2956 Depth=3
	v_or_b32_e32 v40, 0x7b, v35
; %bb.3093:                             ;   in Loop: Header=BB4_2956 Depth=3
	s_or_b64 exec, exec, s[28:29]
                                        ; implicit-def: $vgpr2
.LBB4_3094:                             ;   in Loop: Header=BB4_2956 Depth=3
	s_andn2_saveexec_b64 s[28:29], s[30:31]
	s_cbranch_execz .LBB4_3100
; %bb.3095:                             ;   in Loop: Header=BB4_2956 Depth=3
	v_cmp_ne_u64_e32 vcc, 0, v[60:61]
                                        ; implicit-def: $vgpr40
	s_and_saveexec_b64 s[30:31], vcc
	s_xor_b64 vcc, exec, s[30:31]
; %bb.3096:                             ;   in Loop: Header=BB4_2956 Depth=3
	v_or_b32_sdwa v40, v2, s44 dst_sel:DWORD dst_unused:UNUSED_PAD src0_sel:BYTE_3 src1_sel:DWORD
                                        ; implicit-def: $vgpr2
; %bb.3097:                             ;   in Loop: Header=BB4_2956 Depth=3
	s_andn2_saveexec_b64 s[30:31], vcc
; %bb.3098:                             ;   in Loop: Header=BB4_2956 Depth=3
	v_cmp_lt_i32_e32 vcc, -1, v2
	v_bfrev_b32_e32 v2, 0.5
	v_mov_b32_e32 v3, 0x7c
	v_cndmask_b32_e32 v40, v2, v3, vcc
; %bb.3099:                             ;   in Loop: Header=BB4_2956 Depth=3
	s_or_b64 exec, exec, s[30:31]
.LBB4_3100:                             ;   in Loop: Header=BB4_2956 Depth=3
	s_or_b64 exec, exec, s[28:29]
	v_mov_b32_e32 v60, v21
	v_cmp_ne_u16_sdwa vcc, v21, v61 src0_sel:BYTE_0 src1_sel:DWORD
	v_mov_b32_e32 v3, 0
	v_mov_b32_e32 v2, 0
	s_and_saveexec_b64 s[28:29], vcc
	s_cbranch_execz .LBB4_3108
; %bb.3101:                             ;   in Loop: Header=BB4_2956 Depth=3
	v_cmp_ne_u16_sdwa vcc, v21, s81 src0_sel:BYTE_0 src1_sel:DWORD
	v_bfrev_b32_e32 v2, 1
	s_and_saveexec_b64 s[30:31], vcc
	s_cbranch_execz .LBB4_3107
; %bb.3102:                             ;   in Loop: Header=BB4_2956 Depth=3
	v_and_b32_e32 v2, 0x7c, v21
	v_and_b32_e32 v4, 3, v21
	v_cmp_ne_u32_e32 vcc, s71, v2
                                        ; implicit-def: $vgpr2
	s_and_saveexec_b64 s[34:35], vcc
	s_xor_b64 s[34:35], exec, s[34:35]
	s_cbranch_execz .LBB4_3104
; %bb.3103:                             ;   in Loop: Header=BB4_2956 Depth=3
	v_ffbh_u32_e32 v6, v4
	v_min_u32_e32 v6, 32, v6
	v_bfe_u32 v2, v21, 2, 5
	v_subrev_u32_e32 v7, 29, v6
	v_lshlrev_b64 v[35:36], v7, v[60:61]
	v_sub_u32_e32 v6, 30, v6
	v_cmp_eq_u32_e32 vcc, 0, v2
	v_cndmask_b32_e32 v2, v2, v6, vcc
	v_lshlrev_b32_e32 v6, 24, v21
	v_and_b32_e32 v7, 3, v35
	v_and_b32_e32 v6, 0x80000000, v6
	v_cndmask_b32_e32 v4, v4, v7, vcc
	v_lshl_add_u32 v2, v2, 23, v6
	v_lshl_or_b32 v2, v4, 21, v2
	v_add_u32_e32 v2, 0x38000000, v2
                                        ; implicit-def: $vgpr4
.LBB4_3104:                             ;   in Loop: Header=BB4_2956 Depth=3
	s_andn2_saveexec_b64 s[34:35], s[34:35]
; %bb.3105:                             ;   in Loop: Header=BB4_2956 Depth=3
	v_mov_b32_e32 v2, -1
	v_cmp_gt_i16_sdwa vcc, sext(v21), v2 src0_sel:BYTE_0 src1_sel:DWORD
	v_mov_b32_e32 v2, 0xff800000
	v_cndmask_b32_e32 v2, v2, v47, vcc
	v_cmp_eq_u32_e32 vcc, 0, v4
	v_mov_b32_e32 v4, 0x7f800001
	v_cndmask_b32_e32 v2, v4, v2, vcc
; %bb.3106:                             ;   in Loop: Header=BB4_2956 Depth=3
	s_or_b64 exec, exec, s[34:35]
.LBB4_3107:                             ;   in Loop: Header=BB4_2956 Depth=3
	s_or_b64 exec, exec, s[30:31]
.LBB4_3108:                             ;   in Loop: Header=BB4_2956 Depth=3
	s_or_b64 exec, exec, s[28:29]
	v_cmp_ne_u16_sdwa vcc, v17, v61 src0_sel:BYTE_0 src1_sel:DWORD
	s_and_saveexec_b64 s[28:29], vcc
	s_cbranch_execz .LBB4_3116
; %bb.3109:                             ;   in Loop: Header=BB4_2956 Depth=3
	v_cmp_ne_u16_sdwa vcc, v17, s81 src0_sel:BYTE_0 src1_sel:DWORD
	v_bfrev_b32_e32 v3, 1
	s_and_saveexec_b64 s[30:31], vcc
	s_cbranch_execz .LBB4_3115
; %bb.3110:                             ;   in Loop: Header=BB4_2956 Depth=3
	v_and_b32_e32 v3, 0x7c, v17
	v_and_b32_e32 v4, 3, v17
	v_cmp_ne_u32_e32 vcc, s71, v3
                                        ; implicit-def: $vgpr3
	s_and_saveexec_b64 s[34:35], vcc
	s_xor_b64 s[34:35], exec, s[34:35]
	s_cbranch_execz .LBB4_3112
; %bb.3111:                             ;   in Loop: Header=BB4_2956 Depth=3
	v_ffbh_u32_e32 v6, v4
	v_min_u32_e32 v6, 32, v6
	v_mov_b32_e32 v35, v17
	v_mov_b32_e32 v36, v61
	v_bfe_u32 v3, v17, 2, 5
	v_subrev_u32_e32 v7, 29, v6
	v_lshlrev_b64 v[35:36], v7, v[35:36]
	v_sub_u32_e32 v6, 30, v6
	v_cmp_eq_u32_e32 vcc, 0, v3
	v_cndmask_b32_e32 v3, v3, v6, vcc
	v_lshlrev_b32_e32 v6, 24, v17
	v_and_b32_e32 v7, 3, v35
	v_and_b32_e32 v6, 0x80000000, v6
	v_cndmask_b32_e32 v4, v4, v7, vcc
	v_lshl_add_u32 v3, v3, 23, v6
	v_lshl_or_b32 v3, v4, 21, v3
	v_add_u32_e32 v3, 0x38000000, v3
                                        ; implicit-def: $vgpr4
.LBB4_3112:                             ;   in Loop: Header=BB4_2956 Depth=3
	s_andn2_saveexec_b64 s[34:35], s[34:35]
; %bb.3113:                             ;   in Loop: Header=BB4_2956 Depth=3
	v_mov_b32_e32 v3, -1
	v_cmp_gt_i16_sdwa vcc, sext(v17), v3 src0_sel:BYTE_0 src1_sel:DWORD
	v_mov_b32_e32 v3, 0xff800000
	v_cndmask_b32_e32 v3, v3, v47, vcc
	v_cmp_eq_u32_e32 vcc, 0, v4
	v_mov_b32_e32 v4, 0x7f800001
	v_cndmask_b32_e32 v3, v4, v3, vcc
; %bb.3114:                             ;   in Loop: Header=BB4_2956 Depth=3
	s_or_b64 exec, exec, s[34:35]
.LBB4_3115:                             ;   in Loop: Header=BB4_2956 Depth=3
	s_or_b64 exec, exec, s[30:31]
.LBB4_3116:                             ;   in Loop: Header=BB4_2956 Depth=3
	s_or_b64 exec, exec, s[28:29]
	v_mul_f32_e32 v4, v2, v3
	v_and_b32_e32 v35, 0x7f800000, v4
	v_mov_b32_e32 v36, v61
	v_cmp_ne_u64_e32 vcc, s[62:63], v[35:36]
	v_and_b32_e32 v2, 0x7fffff, v4
	v_mov_b32_e32 v3, v61
                                        ; implicit-def: $vgpr35
	s_and_saveexec_b64 s[28:29], vcc
	s_xor_b64 s[30:31], exec, s[28:29]
	s_cbranch_execz .LBB4_3130
; %bb.3117:                             ;   in Loop: Header=BB4_2956 Depth=3
	v_and_b32_e32 v35, 0x7fffffff, v4
	v_mov_b32_e32 v36, v61
	v_cmp_gt_u64_e32 vcc, s[78:79], v[35:36]
	v_and_b32_sdwa v36, v4, s81 dst_sel:DWORD dst_unused:UNUSED_PAD src0_sel:BYTE_3 src1_sel:DWORD
                                        ; implicit-def: $vgpr35
	s_and_saveexec_b64 s[28:29], vcc
	s_xor_b64 s[34:35], exec, s[28:29]
	s_cbranch_execz .LBB4_3127
; %bb.3118:                             ;   in Loop: Header=BB4_2956 Depth=3
	v_mov_b32_e32 v35, 0
	v_cmp_ne_u32_e32 vcc, 0, v4
	s_and_saveexec_b64 s[36:37], vcc
	s_cbranch_execz .LBB4_3126
; %bb.3119:                             ;   in Loop: Header=BB4_2956 Depth=3
	v_bfe_u32 v35, v4, 23, 8
	v_cmp_gt_u32_e64 s[28:29], s47, v35
	v_sub_u32_e32 v4, 0x71, v35
	v_cmp_eq_u32_e32 vcc, 0, v35
	v_cndmask_b32_e64 v4, 0, v4, s[28:29]
	v_mov_b32_e32 v7, 0x70
	v_cndmask_b32_e32 v37, v4, v7, vcc
	v_add_u32_e32 v4, 21, v37
	v_or_b32_e32 v6, 0x800000, v2
	v_lshlrev_b64 v[38:39], v4, -1
	v_cndmask_b32_e32 v2, v6, v2, vcc
	v_add_u32_e32 v4, 20, v37
	v_bfi_b32 v38, v38, 0, v2
	v_lshlrev_b64 v[50:51], v4, 1
	v_lshrrev_b64 v[2:3], v37, v[2:3]
	v_bfi_b32 v39, v39, 0, 0
	v_cmp_eq_u64_e64 s[28:29], v[38:39], v[50:51]
	v_mov_b32_e32 v4, v3
	v_mov_b32_e32 v3, v2
	s_and_saveexec_b64 s[38:39], s[28:29]
; %bb.3120:                             ;   in Loop: Header=BB4_2956 Depth=3
	v_bfe_u32 v3, v2, 21, 1
	v_add_co_u32_e64 v3, s[28:29], v2, v3
	v_add_co_u32_e64 v3, s[28:29], -1, v3
; %bb.3121:                             ;   in Loop: Header=BB4_2956 Depth=3
	s_or_b64 exec, exec, s[38:39]
	v_add_u32_e32 v4, 0xffffff81, v35
	v_mov_b32_e32 v6, 0xffffff82
	v_cndmask_b32_e32 v4, v4, v6, vcc
	v_lshrrev_b32_e32 v6, 23, v2
	v_add3_u32 v35, v37, v4, v6
	v_add_u32_e32 v6, 14, v35
	v_and_b32_e32 v3, 0x1fffff, v3
	v_add_u32_e32 v2, v3, v2
	v_mov_b32_e32 v3, v61
	v_cmp_ne_u32_e32 vcc, 0, v6
                                        ; implicit-def: $vgpr4
	s_and_saveexec_b64 s[28:29], vcc
	s_xor_b64 s[28:29], exec, s[28:29]
; %bb.3122:                             ;   in Loop: Header=BB4_2956 Depth=3
	v_cmp_lt_u64_e32 vcc, s[88:89], v[2:3]
	v_add_u32_e32 v4, 15, v35
	v_cndmask_b32_e32 v4, v6, v4, vcc
	v_cndmask_b32_e64 v6, 0, 1, vcc
	v_lshrrev_b64 v[2:3], v6, v[2:3]
; %bb.3123:                             ;   in Loop: Header=BB4_2956 Depth=3
	s_andn2_saveexec_b64 s[28:29], s[28:29]
; %bb.3124:                             ;   in Loop: Header=BB4_2956 Depth=3
	v_bfe_u32 v4, v2, 23, 1
; %bb.3125:                             ;   in Loop: Header=BB4_2956 Depth=3
	s_or_b64 exec, exec, s[28:29]
	v_lshrrev_b64 v[2:3], 21, v[2:3]
	v_cmp_gt_i32_e32 vcc, 32, v4
	v_cndmask_b32_e32 v3, 0, v3, vcc
	v_cndmask_b32_e32 v2, 3, v2, vcc
	v_cmp_eq_u64_e64 s[28:29], 0, v[2:3]
	v_min_i32_e32 v3, 31, v4
	v_lshlrev_b32_e32 v3, 2, v3
	v_cmp_eq_u32_e32 vcc, 0, v4
	v_and_b32_e32 v3, 0xfc, v3
	v_and_or_b32 v2, v2, 3, v3
	s_and_b64 s[28:29], vcc, s[28:29]
	v_cndmask_b32_e64 v2, v2, 0, s[28:29]
	v_or_b32_e32 v35, v2, v36
.LBB4_3126:                             ;   in Loop: Header=BB4_2956 Depth=3
	s_or_b64 exec, exec, s[36:37]
                                        ; implicit-def: $vgpr36
.LBB4_3127:                             ;   in Loop: Header=BB4_2956 Depth=3
	s_andn2_saveexec_b64 s[28:29], s[34:35]
; %bb.3128:                             ;   in Loop: Header=BB4_2956 Depth=3
	v_or_b32_e32 v35, 0x7b, v36
; %bb.3129:                             ;   in Loop: Header=BB4_2956 Depth=3
	s_or_b64 exec, exec, s[28:29]
                                        ; implicit-def: $vgpr4
                                        ; implicit-def: $vgpr2_vgpr3
.LBB4_3130:                             ;   in Loop: Header=BB4_2956 Depth=3
	s_andn2_saveexec_b64 s[28:29], s[30:31]
	s_cbranch_execz .LBB4_3136
; %bb.3131:                             ;   in Loop: Header=BB4_2956 Depth=3
	v_cmp_ne_u64_e32 vcc, 0, v[2:3]
                                        ; implicit-def: $vgpr35
	s_and_saveexec_b64 s[30:31], vcc
	s_xor_b64 vcc, exec, s[30:31]
; %bb.3132:                             ;   in Loop: Header=BB4_2956 Depth=3
	v_or_b32_sdwa v35, v4, s44 dst_sel:DWORD dst_unused:UNUSED_PAD src0_sel:BYTE_3 src1_sel:DWORD
                                        ; implicit-def: $vgpr4
; %bb.3133:                             ;   in Loop: Header=BB4_2956 Depth=3
	s_andn2_saveexec_b64 s[30:31], vcc
; %bb.3134:                             ;   in Loop: Header=BB4_2956 Depth=3
	v_cmp_lt_i32_e32 vcc, -1, v4
	v_bfrev_b32_e32 v2, 0.5
	v_mov_b32_e32 v3, 0x7c
	v_cndmask_b32_e32 v35, v2, v3, vcc
; %bb.3135:                             ;   in Loop: Header=BB4_2956 Depth=3
	s_or_b64 exec, exec, s[30:31]
.LBB4_3136:                             ;   in Loop: Header=BB4_2956 Depth=3
	s_or_b64 exec, exec, s[28:29]
	v_lshrrev_b16_e32 v2, 8, v60
	v_cmp_ne_u16_e32 vcc, 0, v2
	v_mov_b32_e32 v4, 0
	v_mov_b32_e32 v36, 0
	s_and_saveexec_b64 s[28:29], vcc
	s_cbranch_execz .LBB4_3144
; %bb.3137:                             ;   in Loop: Header=BB4_2956 Depth=3
	v_cmp_ne_u16_e32 vcc, s81, v2
	v_bfrev_b32_e32 v36, 1
	s_and_saveexec_b64 s[30:31], vcc
	s_cbranch_execz .LBB4_3143
; %bb.3138:                             ;   in Loop: Header=BB4_2956 Depth=3
	v_and_b32_e32 v3, 0x7c, v2
	v_and_b32_e32 v6, 3, v2
	v_cmp_ne_u32_e32 vcc, s71, v3
                                        ; implicit-def: $vgpr36
	s_and_saveexec_b64 s[34:35], vcc
	s_xor_b64 s[34:35], exec, s[34:35]
	s_cbranch_execz .LBB4_3140
; %bb.3139:                             ;   in Loop: Header=BB4_2956 Depth=3
	v_ffbh_u32_e32 v24, v6
	v_min_u32_e32 v24, 32, v24
	v_mov_b32_e32 v3, v61
	v_subrev_u32_e32 v25, 29, v24
	v_bfe_u32 v7, v2, 2, 5
	v_lshlrev_b64 v[2:3], v25, v[2:3]
	v_cmp_eq_u32_e32 vcc, 0, v7
	v_and_b32_e32 v2, 3, v2
	v_sub_u32_e32 v3, 30, v24
	v_cndmask_b32_e32 v2, v6, v2, vcc
	v_lshlrev_b32_e32 v6, 16, v60
	v_cndmask_b32_e32 v3, v7, v3, vcc
	v_and_b32_e32 v6, 0x80000000, v6
	v_lshl_add_u32 v3, v3, 23, v6
	v_lshl_or_b32 v2, v2, 21, v3
	v_add_u32_e32 v36, 0x38000000, v2
                                        ; implicit-def: $vgpr6
.LBB4_3140:                             ;   in Loop: Header=BB4_2956 Depth=3
	s_andn2_saveexec_b64 s[34:35], s[34:35]
; %bb.3141:                             ;   in Loop: Header=BB4_2956 Depth=3
	v_cmp_lt_i16_e32 vcc, -1, v60
	v_mov_b32_e32 v2, 0xff800000
	v_cndmask_b32_e32 v2, v2, v47, vcc
	v_cmp_eq_u32_e32 vcc, 0, v6
	v_mov_b32_e32 v3, 0x7f800001
	v_cndmask_b32_e32 v36, v3, v2, vcc
; %bb.3142:                             ;   in Loop: Header=BB4_2956 Depth=3
	s_or_b64 exec, exec, s[34:35]
.LBB4_3143:                             ;   in Loop: Header=BB4_2956 Depth=3
	s_or_b64 exec, exec, s[30:31]
.LBB4_3144:                             ;   in Loop: Header=BB4_2956 Depth=3
	s_or_b64 exec, exec, s[28:29]
	v_lshrrev_b16_e32 v2, 8, v17
	v_cmp_ne_u16_e32 vcc, 0, v2
	s_and_saveexec_b64 s[28:29], vcc
	s_cbranch_execz .LBB4_3152
; %bb.3145:                             ;   in Loop: Header=BB4_2956 Depth=3
	v_cmp_ne_u16_e32 vcc, s81, v2
	v_bfrev_b32_e32 v4, 1
	s_and_saveexec_b64 s[30:31], vcc
	s_cbranch_execz .LBB4_3151
; %bb.3146:                             ;   in Loop: Header=BB4_2956 Depth=3
	v_and_b32_e32 v3, 0x7c, v2
	v_and_b32_e32 v6, 3, v2
	v_cmp_ne_u32_e32 vcc, s71, v3
                                        ; implicit-def: $vgpr4
	s_and_saveexec_b64 s[34:35], vcc
	s_xor_b64 s[34:35], exec, s[34:35]
	s_cbranch_execz .LBB4_3148
; %bb.3147:                             ;   in Loop: Header=BB4_2956 Depth=3
	v_ffbh_u32_e32 v7, v6
	v_min_u32_e32 v7, 32, v7
	v_mov_b32_e32 v3, v61
	v_subrev_u32_e32 v24, 29, v7
	v_bfe_u32 v4, v2, 2, 5
	v_lshlrev_b64 v[2:3], v24, v[2:3]
	v_sub_u32_e32 v3, 30, v7
	v_cmp_eq_u32_e32 vcc, 0, v4
	v_cndmask_b32_e32 v3, v4, v3, vcc
	v_lshlrev_b32_e32 v4, 16, v17
	v_and_b32_e32 v2, 3, v2
	v_and_b32_e32 v4, 0x80000000, v4
	v_cndmask_b32_e32 v2, v6, v2, vcc
	v_lshl_add_u32 v3, v3, 23, v4
	v_lshl_or_b32 v2, v2, 21, v3
	v_add_u32_e32 v4, 0x38000000, v2
                                        ; implicit-def: $vgpr6
.LBB4_3148:                             ;   in Loop: Header=BB4_2956 Depth=3
	s_andn2_saveexec_b64 s[34:35], s[34:35]
; %bb.3149:                             ;   in Loop: Header=BB4_2956 Depth=3
	v_cmp_lt_i16_e32 vcc, -1, v17
	v_mov_b32_e32 v2, 0xff800000
	v_cndmask_b32_e32 v2, v2, v47, vcc
	v_cmp_eq_u32_e32 vcc, 0, v6
	v_mov_b32_e32 v3, 0x7f800001
	v_cndmask_b32_e32 v4, v3, v2, vcc
; %bb.3150:                             ;   in Loop: Header=BB4_2956 Depth=3
	s_or_b64 exec, exec, s[34:35]
.LBB4_3151:                             ;   in Loop: Header=BB4_2956 Depth=3
	s_or_b64 exec, exec, s[30:31]
.LBB4_3152:                             ;   in Loop: Header=BB4_2956 Depth=3
	s_or_b64 exec, exec, s[28:29]
	v_mul_f32_e32 v2, v36, v4
	v_and_b32_e32 v3, 0x7f800000, v2
	v_mov_b32_e32 v4, v61
	v_cmp_ne_u64_e32 vcc, s[62:63], v[3:4]
	v_and_b32_e32 v60, 0x7fffff, v2
                                        ; implicit-def: $vgpr36
	s_and_saveexec_b64 s[28:29], vcc
	s_xor_b64 s[30:31], exec, s[28:29]
	s_cbranch_execz .LBB4_3166
; %bb.3153:                             ;   in Loop: Header=BB4_2956 Depth=3
	v_and_b32_e32 v3, 0x7fffffff, v2
	v_mov_b32_e32 v4, v61
	v_cmp_gt_u64_e32 vcc, s[78:79], v[3:4]
	v_and_b32_sdwa v37, v2, s81 dst_sel:DWORD dst_unused:UNUSED_PAD src0_sel:BYTE_3 src1_sel:DWORD
                                        ; implicit-def: $vgpr36
	s_and_saveexec_b64 s[28:29], vcc
	s_xor_b64 s[34:35], exec, s[28:29]
	s_cbranch_execz .LBB4_3163
; %bb.3154:                             ;   in Loop: Header=BB4_2956 Depth=3
	v_mov_b32_e32 v36, 0
	v_cmp_ne_u32_e32 vcc, 0, v2
	s_and_saveexec_b64 s[36:37], vcc
	s_cbranch_execz .LBB4_3162
; %bb.3155:                             ;   in Loop: Header=BB4_2956 Depth=3
	v_bfe_u32 v36, v2, 23, 8
	v_cmp_gt_u32_e64 s[28:29], s47, v36
	v_sub_u32_e32 v2, 0x71, v36
	v_cmp_eq_u32_e32 vcc, 0, v36
	v_cndmask_b32_e64 v2, 0, v2, s[28:29]
	v_mov_b32_e32 v4, 0x70
	v_cndmask_b32_e32 v38, v2, v4, vcc
	v_add_u32_e32 v4, 21, v38
	v_or_b32_e32 v3, 0x800000, v60
	v_lshlrev_b64 v[50:51], v4, -1
	v_cndmask_b32_e32 v2, v3, v60, vcc
	v_mov_b32_e32 v3, v61
	v_add_u32_e32 v4, 20, v38
	v_bfi_b32 v50, v50, 0, v2
	v_lshlrev_b64 v[52:53], v4, 1
	v_lshrrev_b64 v[2:3], v38, v[2:3]
	v_bfi_b32 v51, v51, 0, 0
	v_cmp_eq_u64_e64 s[28:29], v[50:51], v[52:53]
	v_mov_b32_e32 v4, v3
	v_mov_b32_e32 v3, v2
	s_and_saveexec_b64 s[38:39], s[28:29]
; %bb.3156:                             ;   in Loop: Header=BB4_2956 Depth=3
	v_bfe_u32 v3, v2, 21, 1
	v_add_co_u32_e64 v3, s[28:29], v2, v3
	v_add_co_u32_e64 v3, s[28:29], -1, v3
; %bb.3157:                             ;   in Loop: Header=BB4_2956 Depth=3
	s_or_b64 exec, exec, s[38:39]
	v_add_u32_e32 v4, 0xffffff81, v36
	v_mov_b32_e32 v6, 0xffffff82
	v_cndmask_b32_e32 v4, v4, v6, vcc
	v_lshrrev_b32_e32 v6, 23, v2
	v_add3_u32 v36, v38, v4, v6
	v_add_u32_e32 v6, 14, v36
	v_and_b32_e32 v3, 0x1fffff, v3
	v_add_u32_e32 v60, v3, v2
	v_cmp_ne_u32_e32 vcc, 0, v6
                                        ; implicit-def: $vgpr2_vgpr3
                                        ; implicit-def: $vgpr4
	s_and_saveexec_b64 s[28:29], vcc
	s_xor_b64 s[28:29], exec, s[28:29]
; %bb.3158:                             ;   in Loop: Header=BB4_2956 Depth=3
	v_cmp_lt_u64_e32 vcc, s[88:89], v[60:61]
	v_add_u32_e32 v2, 15, v36
	v_cndmask_b32_e32 v4, v6, v2, vcc
	v_cndmask_b32_e64 v2, 0, 1, vcc
	v_lshrrev_b64 v[2:3], v2, v[60:61]
; %bb.3159:                             ;   in Loop: Header=BB4_2956 Depth=3
	s_andn2_saveexec_b64 s[28:29], s[28:29]
; %bb.3160:                             ;   in Loop: Header=BB4_2956 Depth=3
	v_mov_b32_e32 v2, v60
	v_mov_b32_e32 v3, v61
	v_bfe_u32 v4, v60, 23, 1
; %bb.3161:                             ;   in Loop: Header=BB4_2956 Depth=3
	s_or_b64 exec, exec, s[28:29]
	v_lshrrev_b64 v[2:3], 21, v[2:3]
	v_cmp_gt_i32_e32 vcc, 32, v4
	v_cndmask_b32_e32 v3, 0, v3, vcc
	v_cndmask_b32_e32 v2, 3, v2, vcc
	v_cmp_eq_u64_e64 s[28:29], 0, v[2:3]
	v_min_i32_e32 v3, 31, v4
	v_lshlrev_b32_e32 v3, 2, v3
	v_cmp_eq_u32_e32 vcc, 0, v4
	v_and_b32_e32 v3, 0xfc, v3
	v_and_or_b32 v2, v2, 3, v3
	s_and_b64 s[28:29], vcc, s[28:29]
	v_cndmask_b32_e64 v2, v2, 0, s[28:29]
	v_or_b32_e32 v36, v2, v37
.LBB4_3162:                             ;   in Loop: Header=BB4_2956 Depth=3
	s_or_b64 exec, exec, s[36:37]
                                        ; implicit-def: $vgpr37
.LBB4_3163:                             ;   in Loop: Header=BB4_2956 Depth=3
	s_andn2_saveexec_b64 s[28:29], s[34:35]
; %bb.3164:                             ;   in Loop: Header=BB4_2956 Depth=3
	v_or_b32_e32 v36, 0x7b, v37
; %bb.3165:                             ;   in Loop: Header=BB4_2956 Depth=3
	s_or_b64 exec, exec, s[28:29]
                                        ; implicit-def: $vgpr2
.LBB4_3166:                             ;   in Loop: Header=BB4_2956 Depth=3
	s_andn2_saveexec_b64 s[28:29], s[30:31]
	s_cbranch_execz .LBB4_3172
; %bb.3167:                             ;   in Loop: Header=BB4_2956 Depth=3
	v_cmp_ne_u64_e32 vcc, 0, v[60:61]
                                        ; implicit-def: $vgpr36
	s_and_saveexec_b64 s[30:31], vcc
	s_xor_b64 vcc, exec, s[30:31]
; %bb.3168:                             ;   in Loop: Header=BB4_2956 Depth=3
	v_or_b32_sdwa v36, v2, s44 dst_sel:DWORD dst_unused:UNUSED_PAD src0_sel:BYTE_3 src1_sel:DWORD
                                        ; implicit-def: $vgpr2
; %bb.3169:                             ;   in Loop: Header=BB4_2956 Depth=3
	s_andn2_saveexec_b64 s[30:31], vcc
; %bb.3170:                             ;   in Loop: Header=BB4_2956 Depth=3
	v_cmp_lt_i32_e32 vcc, -1, v2
	v_bfrev_b32_e32 v2, 0.5
	v_mov_b32_e32 v3, 0x7c
	v_cndmask_b32_e32 v36, v2, v3, vcc
; %bb.3171:                             ;   in Loop: Header=BB4_2956 Depth=3
	s_or_b64 exec, exec, s[30:31]
.LBB4_3172:                             ;   in Loop: Header=BB4_2956 Depth=3
	s_or_b64 exec, exec, s[28:29]
	v_lshrrev_b32_e32 v2, 16, v21
	v_cmp_ne_u16_sdwa vcc, v2, v61 src0_sel:BYTE_0 src1_sel:DWORD
	v_mov_b32_e32 v3, 0
	v_mov_b32_e32 v4, 0
	s_and_saveexec_b64 s[28:29], vcc
	s_cbranch_execz .LBB4_3180
; %bb.3173:                             ;   in Loop: Header=BB4_2956 Depth=3
	v_cmp_ne_u16_sdwa vcc, v2, s81 src0_sel:BYTE_0 src1_sel:DWORD
	v_bfrev_b32_e32 v4, 1
	s_and_saveexec_b64 s[30:31], vcc
	s_cbranch_execz .LBB4_3179
; %bb.3174:                             ;   in Loop: Header=BB4_2956 Depth=3
	v_and_b32_e32 v4, 0x7c0000, v21
	v_bfe_u32 v6, v21, 16, 2
	v_cmp_ne_u32_e32 vcc, s45, v4
                                        ; implicit-def: $vgpr4
	s_and_saveexec_b64 s[34:35], vcc
	s_xor_b64 s[34:35], exec, s[34:35]
	s_cbranch_execz .LBB4_3176
; %bb.3175:                             ;   in Loop: Header=BB4_2956 Depth=3
	v_ffbh_u32_e32 v7, v6
	v_min_u32_e32 v7, 32, v7
	v_subrev_u32_e32 v24, 29, v7
	v_lshlrev_b64 v[37:38], v24, v[2:3]
	v_bfe_u32 v4, v21, 18, 5
	v_sub_u32_e32 v2, 30, v7
	v_and_b32_e32 v7, 3, v37
	v_cmp_eq_u32_e32 vcc, 0, v4
	v_cndmask_b32_e32 v2, v4, v2, vcc
	v_cndmask_b32_e32 v4, v6, v7, vcc
	v_lshlrev_b32_e32 v6, 8, v21
	v_and_b32_e32 v6, 0x80000000, v6
	v_lshl_add_u32 v2, v2, 23, v6
	v_lshl_or_b32 v2, v4, 21, v2
	v_add_u32_e32 v4, 0x38000000, v2
                                        ; implicit-def: $vgpr6
                                        ; implicit-def: $vgpr2
.LBB4_3176:                             ;   in Loop: Header=BB4_2956 Depth=3
	s_andn2_saveexec_b64 s[34:35], s[34:35]
; %bb.3177:                             ;   in Loop: Header=BB4_2956 Depth=3
	v_mov_b32_e32 v4, -1
	v_cmp_gt_i16_sdwa vcc, sext(v2), v4 src0_sel:BYTE_0 src1_sel:DWORD
	v_mov_b32_e32 v2, 0xff800000
	v_cndmask_b32_e32 v2, v2, v47, vcc
	v_cmp_eq_u32_e32 vcc, 0, v6
	v_mov_b32_e32 v4, 0x7f800001
	v_cndmask_b32_e32 v4, v4, v2, vcc
; %bb.3178:                             ;   in Loop: Header=BB4_2956 Depth=3
	s_or_b64 exec, exec, s[34:35]
.LBB4_3179:                             ;   in Loop: Header=BB4_2956 Depth=3
	s_or_b64 exec, exec, s[30:31]
.LBB4_3180:                             ;   in Loop: Header=BB4_2956 Depth=3
	s_or_b64 exec, exec, s[28:29]
	v_lshrrev_b32_e32 v2, 16, v17
	v_cmp_ne_u16_sdwa vcc, v2, v61 src0_sel:BYTE_0 src1_sel:DWORD
	s_and_saveexec_b64 s[28:29], vcc
	s_cbranch_execz .LBB4_3188
; %bb.3181:                             ;   in Loop: Header=BB4_2956 Depth=3
	v_cmp_ne_u16_sdwa vcc, v2, s81 src0_sel:BYTE_0 src1_sel:DWORD
	v_bfrev_b32_e32 v3, 1
	s_and_saveexec_b64 s[30:31], vcc
	s_cbranch_execz .LBB4_3187
; %bb.3182:                             ;   in Loop: Header=BB4_2956 Depth=3
	v_and_b32_e32 v3, 0x7c0000, v17
	v_bfe_u32 v6, v17, 16, 2
	v_cmp_ne_u32_e32 vcc, s45, v3
                                        ; implicit-def: $vgpr3
	s_and_saveexec_b64 s[34:35], vcc
	s_xor_b64 s[34:35], exec, s[34:35]
	s_cbranch_execz .LBB4_3184
; %bb.3183:                             ;   in Loop: Header=BB4_2956 Depth=3
	v_ffbh_u32_e32 v3, v6
	v_min_u32_e32 v24, 32, v3
	v_subrev_u32_e32 v3, 29, v24
	v_lshlrev_b64 v[2:3], v3, v[2:3]
	v_bfe_u32 v7, v17, 18, 5
	v_and_b32_e32 v2, 3, v2
	v_cmp_eq_u32_e32 vcc, 0, v7
	v_sub_u32_e32 v3, 30, v24
	v_cndmask_b32_e32 v2, v6, v2, vcc
	v_lshlrev_b32_e32 v6, 8, v17
	v_cndmask_b32_e32 v3, v7, v3, vcc
	v_and_b32_e32 v6, 0x80000000, v6
	v_lshl_add_u32 v3, v3, 23, v6
	v_lshl_or_b32 v2, v2, 21, v3
	v_add_u32_e32 v3, 0x38000000, v2
                                        ; implicit-def: $vgpr6
                                        ; implicit-def: $vgpr2
.LBB4_3184:                             ;   in Loop: Header=BB4_2956 Depth=3
	s_andn2_saveexec_b64 s[34:35], s[34:35]
; %bb.3185:                             ;   in Loop: Header=BB4_2956 Depth=3
	v_mov_b32_e32 v3, -1
	v_cmp_gt_i16_sdwa vcc, sext(v2), v3 src0_sel:BYTE_0 src1_sel:DWORD
	v_mov_b32_e32 v2, 0xff800000
	v_cndmask_b32_e32 v2, v2, v47, vcc
	v_cmp_eq_u32_e32 vcc, 0, v6
	v_mov_b32_e32 v3, 0x7f800001
	v_cndmask_b32_e32 v3, v3, v2, vcc
; %bb.3186:                             ;   in Loop: Header=BB4_2956 Depth=3
	s_or_b64 exec, exec, s[34:35]
.LBB4_3187:                             ;   in Loop: Header=BB4_2956 Depth=3
	s_or_b64 exec, exec, s[30:31]
.LBB4_3188:                             ;   in Loop: Header=BB4_2956 Depth=3
	s_or_b64 exec, exec, s[28:29]
	v_mul_f32_e32 v2, v4, v3
	v_and_b32_e32 v3, 0x7f800000, v2
	v_mov_b32_e32 v4, v61
	v_cmp_ne_u64_e32 vcc, s[62:63], v[3:4]
	v_and_b32_e32 v60, 0x7fffff, v2
                                        ; implicit-def: $vgpr37
	s_and_saveexec_b64 s[28:29], vcc
	s_xor_b64 s[30:31], exec, s[28:29]
	s_cbranch_execz .LBB4_3202
; %bb.3189:                             ;   in Loop: Header=BB4_2956 Depth=3
	v_and_b32_e32 v3, 0x7fffffff, v2
	v_mov_b32_e32 v4, v61
	v_cmp_gt_u64_e32 vcc, s[78:79], v[3:4]
	v_and_b32_sdwa v38, v2, s81 dst_sel:DWORD dst_unused:UNUSED_PAD src0_sel:BYTE_3 src1_sel:DWORD
                                        ; implicit-def: $vgpr37
	s_and_saveexec_b64 s[28:29], vcc
	s_xor_b64 s[34:35], exec, s[28:29]
	s_cbranch_execz .LBB4_3199
; %bb.3190:                             ;   in Loop: Header=BB4_2956 Depth=3
	v_mov_b32_e32 v37, 0
	v_cmp_ne_u32_e32 vcc, 0, v2
	s_and_saveexec_b64 s[36:37], vcc
	s_cbranch_execz .LBB4_3198
; %bb.3191:                             ;   in Loop: Header=BB4_2956 Depth=3
	v_bfe_u32 v37, v2, 23, 8
	v_cmp_gt_u32_e64 s[28:29], s47, v37
	v_sub_u32_e32 v2, 0x71, v37
	v_cmp_eq_u32_e32 vcc, 0, v37
	v_cndmask_b32_e64 v2, 0, v2, s[28:29]
	v_mov_b32_e32 v4, 0x70
	v_cndmask_b32_e32 v39, v2, v4, vcc
	v_add_u32_e32 v4, 21, v39
	v_or_b32_e32 v3, 0x800000, v60
	v_lshlrev_b64 v[50:51], v4, -1
	v_cndmask_b32_e32 v2, v3, v60, vcc
	v_mov_b32_e32 v3, v61
	v_add_u32_e32 v4, 20, v39
	v_bfi_b32 v50, v50, 0, v2
	v_lshlrev_b64 v[52:53], v4, 1
	v_lshrrev_b64 v[2:3], v39, v[2:3]
	v_bfi_b32 v51, v51, 0, 0
	v_cmp_eq_u64_e64 s[28:29], v[50:51], v[52:53]
	v_mov_b32_e32 v4, v3
	v_mov_b32_e32 v3, v2
	s_and_saveexec_b64 s[38:39], s[28:29]
; %bb.3192:                             ;   in Loop: Header=BB4_2956 Depth=3
	v_bfe_u32 v3, v2, 21, 1
	v_add_co_u32_e64 v3, s[28:29], v2, v3
	v_add_co_u32_e64 v3, s[28:29], -1, v3
; %bb.3193:                             ;   in Loop: Header=BB4_2956 Depth=3
	s_or_b64 exec, exec, s[38:39]
	v_add_u32_e32 v4, 0xffffff81, v37
	v_mov_b32_e32 v6, 0xffffff82
	v_cndmask_b32_e32 v4, v4, v6, vcc
	v_lshrrev_b32_e32 v6, 23, v2
	v_add3_u32 v37, v39, v4, v6
	v_add_u32_e32 v6, 14, v37
	v_and_b32_e32 v3, 0x1fffff, v3
	v_add_u32_e32 v60, v3, v2
	v_cmp_ne_u32_e32 vcc, 0, v6
                                        ; implicit-def: $vgpr2_vgpr3
                                        ; implicit-def: $vgpr4
	s_and_saveexec_b64 s[28:29], vcc
	s_xor_b64 s[28:29], exec, s[28:29]
; %bb.3194:                             ;   in Loop: Header=BB4_2956 Depth=3
	v_cmp_lt_u64_e32 vcc, s[88:89], v[60:61]
	v_add_u32_e32 v2, 15, v37
	v_cndmask_b32_e32 v4, v6, v2, vcc
	v_cndmask_b32_e64 v2, 0, 1, vcc
	v_lshrrev_b64 v[2:3], v2, v[60:61]
; %bb.3195:                             ;   in Loop: Header=BB4_2956 Depth=3
	s_andn2_saveexec_b64 s[28:29], s[28:29]
; %bb.3196:                             ;   in Loop: Header=BB4_2956 Depth=3
	v_mov_b32_e32 v2, v60
	v_mov_b32_e32 v3, v61
	v_bfe_u32 v4, v60, 23, 1
; %bb.3197:                             ;   in Loop: Header=BB4_2956 Depth=3
	s_or_b64 exec, exec, s[28:29]
	v_lshrrev_b64 v[2:3], 21, v[2:3]
	v_cmp_gt_i32_e32 vcc, 32, v4
	v_cndmask_b32_e32 v3, 0, v3, vcc
	v_cndmask_b32_e32 v2, 3, v2, vcc
	v_cmp_eq_u64_e64 s[28:29], 0, v[2:3]
	v_min_i32_e32 v3, 31, v4
	v_lshlrev_b32_e32 v3, 2, v3
	v_cmp_eq_u32_e32 vcc, 0, v4
	v_and_b32_e32 v3, 0xfc, v3
	v_and_or_b32 v2, v2, 3, v3
	s_and_b64 s[28:29], vcc, s[28:29]
	v_cndmask_b32_e64 v2, v2, 0, s[28:29]
	v_or_b32_e32 v37, v2, v38
.LBB4_3198:                             ;   in Loop: Header=BB4_2956 Depth=3
	s_or_b64 exec, exec, s[36:37]
                                        ; implicit-def: $vgpr38
.LBB4_3199:                             ;   in Loop: Header=BB4_2956 Depth=3
	s_andn2_saveexec_b64 s[28:29], s[34:35]
; %bb.3200:                             ;   in Loop: Header=BB4_2956 Depth=3
	v_or_b32_e32 v37, 0x7b, v38
; %bb.3201:                             ;   in Loop: Header=BB4_2956 Depth=3
	s_or_b64 exec, exec, s[28:29]
                                        ; implicit-def: $vgpr2
.LBB4_3202:                             ;   in Loop: Header=BB4_2956 Depth=3
	s_andn2_saveexec_b64 s[28:29], s[30:31]
	s_cbranch_execz .LBB4_3208
; %bb.3203:                             ;   in Loop: Header=BB4_2956 Depth=3
	v_cmp_ne_u64_e32 vcc, 0, v[60:61]
                                        ; implicit-def: $vgpr37
	s_and_saveexec_b64 s[30:31], vcc
	s_xor_b64 vcc, exec, s[30:31]
; %bb.3204:                             ;   in Loop: Header=BB4_2956 Depth=3
	v_or_b32_sdwa v37, v2, s44 dst_sel:DWORD dst_unused:UNUSED_PAD src0_sel:BYTE_3 src1_sel:DWORD
                                        ; implicit-def: $vgpr2
; %bb.3205:                             ;   in Loop: Header=BB4_2956 Depth=3
	s_andn2_saveexec_b64 s[30:31], vcc
; %bb.3206:                             ;   in Loop: Header=BB4_2956 Depth=3
	v_cmp_lt_i32_e32 vcc, -1, v2
	v_bfrev_b32_e32 v2, 0.5
	v_mov_b32_e32 v3, 0x7c
	v_cndmask_b32_e32 v37, v2, v3, vcc
; %bb.3207:                             ;   in Loop: Header=BB4_2956 Depth=3
	s_or_b64 exec, exec, s[30:31]
.LBB4_3208:                             ;   in Loop: Header=BB4_2956 Depth=3
	s_or_b64 exec, exec, s[28:29]
	v_cmp_lt_u64_e32 vcc, s[56:57], v[20:21]
	v_mov_b32_e32 v3, 0
	v_mov_b32_e32 v4, 0
	s_and_saveexec_b64 s[28:29], vcc
	s_cbranch_execz .LBB4_3216
; %bb.3209:                             ;   in Loop: Header=BB4_2956 Depth=3
	v_lshrrev_b32_e32 v2, 24, v21
	v_cmp_ne_u32_e32 vcc, s81, v2
	v_bfrev_b32_e32 v4, 1
	s_and_saveexec_b64 s[30:31], vcc
	s_cbranch_execz .LBB4_3215
; %bb.3210:                             ;   in Loop: Header=BB4_2956 Depth=3
	v_and_b32_e32 v4, 0x7c000000, v21
	v_bfe_u32 v6, v21, 24, 2
	v_cmp_ne_u32_e32 vcc, s82, v4
                                        ; implicit-def: $vgpr4
	s_and_saveexec_b64 s[34:35], vcc
	s_xor_b64 s[34:35], exec, s[34:35]
	s_cbranch_execz .LBB4_3212
; %bb.3211:                             ;   in Loop: Header=BB4_2956 Depth=3
	v_ffbh_u32_e32 v7, v6
	v_min_u32_e32 v7, 32, v7
	v_subrev_u32_e32 v24, 29, v7
	v_lshlrev_b64 v[38:39], v24, v[2:3]
	v_bfe_u32 v4, v21, 26, 5
	v_sub_u32_e32 v2, 30, v7
	v_and_b32_e32 v7, 3, v38
	v_cmp_eq_u32_e32 vcc, 0, v4
	v_cndmask_b32_e32 v2, v4, v2, vcc
	v_cndmask_b32_e32 v4, v6, v7, vcc
	v_and_b32_e32 v6, 0x80000000, v21
	v_lshl_add_u32 v2, v2, 23, v6
	v_lshl_or_b32 v2, v4, 21, v2
	v_add_u32_e32 v4, 0x38000000, v2
                                        ; implicit-def: $vgpr6
.LBB4_3212:                             ;   in Loop: Header=BB4_2956 Depth=3
	s_andn2_saveexec_b64 s[34:35], s[34:35]
; %bb.3213:                             ;   in Loop: Header=BB4_2956 Depth=3
	v_cmp_lt_i64_e32 vcc, -1, v[20:21]
	v_mov_b32_e32 v2, 0xff800000
	v_cndmask_b32_e32 v2, v2, v47, vcc
	v_cmp_eq_u32_e32 vcc, 0, v6
	v_mov_b32_e32 v4, 0x7f800001
	v_cndmask_b32_e32 v4, v4, v2, vcc
; %bb.3214:                             ;   in Loop: Header=BB4_2956 Depth=3
	s_or_b64 exec, exec, s[34:35]
.LBB4_3215:                             ;   in Loop: Header=BB4_2956 Depth=3
	s_or_b64 exec, exec, s[30:31]
.LBB4_3216:                             ;   in Loop: Header=BB4_2956 Depth=3
	s_or_b64 exec, exec, s[28:29]
	v_cmp_lt_u64_e32 vcc, s[56:57], v[16:17]
	s_and_saveexec_b64 s[28:29], vcc
	s_cbranch_execz .LBB4_3224
; %bb.3217:                             ;   in Loop: Header=BB4_2956 Depth=3
	v_lshrrev_b32_e32 v2, 24, v17
	v_cmp_ne_u32_e32 vcc, s81, v2
	v_bfrev_b32_e32 v3, 1
	s_and_saveexec_b64 s[30:31], vcc
	s_cbranch_execz .LBB4_3223
; %bb.3218:                             ;   in Loop: Header=BB4_2956 Depth=3
	v_and_b32_e32 v3, 0x7c000000, v17
	v_bfe_u32 v6, v17, 24, 2
	v_cmp_ne_u32_e32 vcc, s82, v3
                                        ; implicit-def: $vgpr3
	s_and_saveexec_b64 s[34:35], vcc
	s_xor_b64 s[34:35], exec, s[34:35]
	s_cbranch_execz .LBB4_3220
; %bb.3219:                             ;   in Loop: Header=BB4_2956 Depth=3
	v_ffbh_u32_e32 v3, v6
	v_min_u32_e32 v20, 32, v3
	v_subrev_u32_e32 v3, 29, v20
	v_lshlrev_b64 v[2:3], v3, v[2:3]
	v_bfe_u32 v7, v17, 26, 5
	v_sub_u32_e32 v3, 30, v20
	v_and_b32_e32 v2, 3, v2
	v_cmp_eq_u32_e32 vcc, 0, v7
	v_cndmask_b32_e32 v3, v7, v3, vcc
	v_cndmask_b32_e32 v2, v6, v2, vcc
	v_and_b32_e32 v6, 0x80000000, v17
	v_lshl_add_u32 v3, v3, 23, v6
	v_lshl_or_b32 v2, v2, 21, v3
	v_add_u32_e32 v3, 0x38000000, v2
                                        ; implicit-def: $vgpr6
.LBB4_3220:                             ;   in Loop: Header=BB4_2956 Depth=3
	s_andn2_saveexec_b64 s[34:35], s[34:35]
; %bb.3221:                             ;   in Loop: Header=BB4_2956 Depth=3
	v_cmp_lt_i64_e32 vcc, -1, v[16:17]
	v_mov_b32_e32 v2, 0xff800000
	v_cndmask_b32_e32 v2, v2, v47, vcc
	v_cmp_eq_u32_e32 vcc, 0, v6
	v_mov_b32_e32 v3, 0x7f800001
	v_cndmask_b32_e32 v3, v3, v2, vcc
; %bb.3222:                             ;   in Loop: Header=BB4_2956 Depth=3
	s_or_b64 exec, exec, s[34:35]
.LBB4_3223:                             ;   in Loop: Header=BB4_2956 Depth=3
	s_or_b64 exec, exec, s[30:31]
.LBB4_3224:                             ;   in Loop: Header=BB4_2956 Depth=3
	s_or_b64 exec, exec, s[28:29]
	v_mul_f32_e32 v2, v4, v3
	v_and_b32_e32 v3, 0x7f800000, v2
	v_mov_b32_e32 v4, v61
	v_cmp_ne_u64_e32 vcc, s[62:63], v[3:4]
	v_and_b32_e32 v60, 0x7fffff, v2
                                        ; implicit-def: $vgpr16
	s_and_saveexec_b64 s[28:29], vcc
	s_xor_b64 s[30:31], exec, s[28:29]
	s_cbranch_execz .LBB4_3238
; %bb.3225:                             ;   in Loop: Header=BB4_2956 Depth=3
	v_and_b32_e32 v3, 0x7fffffff, v2
	v_mov_b32_e32 v4, v61
	v_cmp_gt_u64_e32 vcc, s[78:79], v[3:4]
	v_and_b32_sdwa v17, v2, s81 dst_sel:DWORD dst_unused:UNUSED_PAD src0_sel:BYTE_3 src1_sel:DWORD
                                        ; implicit-def: $vgpr16
	s_and_saveexec_b64 s[28:29], vcc
	s_xor_b64 s[34:35], exec, s[28:29]
	s_cbranch_execz .LBB4_3235
; %bb.3226:                             ;   in Loop: Header=BB4_2956 Depth=3
	v_mov_b32_e32 v16, 0
	v_cmp_ne_u32_e32 vcc, 0, v2
	s_and_saveexec_b64 s[36:37], vcc
	s_cbranch_execz .LBB4_3234
; %bb.3227:                             ;   in Loop: Header=BB4_2956 Depth=3
	v_bfe_u32 v16, v2, 23, 8
	v_cmp_gt_u32_e64 s[28:29], s47, v16
	v_sub_u32_e32 v2, 0x71, v16
	v_cmp_eq_u32_e32 vcc, 0, v16
	v_cndmask_b32_e64 v2, 0, v2, s[28:29]
	v_mov_b32_e32 v4, 0x70
	v_cndmask_b32_e32 v20, v2, v4, vcc
	v_add_u32_e32 v4, 21, v20
	v_or_b32_e32 v3, 0x800000, v60
	v_lshlrev_b64 v[38:39], v4, -1
	v_cndmask_b32_e32 v2, v3, v60, vcc
	v_mov_b32_e32 v3, v61
	v_add_u32_e32 v4, 20, v20
	v_bfi_b32 v38, v38, 0, v2
	v_lshlrev_b64 v[50:51], v4, 1
	v_lshrrev_b64 v[2:3], v20, v[2:3]
	v_bfi_b32 v39, v39, 0, 0
	v_cmp_eq_u64_e64 s[28:29], v[38:39], v[50:51]
	v_mov_b32_e32 v4, v3
	v_mov_b32_e32 v3, v2
	s_and_saveexec_b64 s[38:39], s[28:29]
; %bb.3228:                             ;   in Loop: Header=BB4_2956 Depth=3
	v_bfe_u32 v3, v2, 21, 1
	v_add_co_u32_e64 v3, s[28:29], v2, v3
	v_add_co_u32_e64 v3, s[28:29], -1, v3
; %bb.3229:                             ;   in Loop: Header=BB4_2956 Depth=3
	s_or_b64 exec, exec, s[38:39]
	v_add_u32_e32 v4, 0xffffff81, v16
	v_mov_b32_e32 v6, 0xffffff82
	v_cndmask_b32_e32 v4, v4, v6, vcc
	v_lshrrev_b32_e32 v6, 23, v2
	v_add3_u32 v16, v20, v4, v6
	v_add_u32_e32 v6, 14, v16
	v_and_b32_e32 v3, 0x1fffff, v3
	v_add_u32_e32 v60, v3, v2
	v_cmp_ne_u32_e32 vcc, 0, v6
                                        ; implicit-def: $vgpr2_vgpr3
                                        ; implicit-def: $vgpr4
	s_and_saveexec_b64 s[28:29], vcc
	s_xor_b64 s[28:29], exec, s[28:29]
; %bb.3230:                             ;   in Loop: Header=BB4_2956 Depth=3
	v_cmp_lt_u64_e32 vcc, s[88:89], v[60:61]
	v_add_u32_e32 v2, 15, v16
	v_cndmask_b32_e32 v4, v6, v2, vcc
	v_cndmask_b32_e64 v2, 0, 1, vcc
	v_lshrrev_b64 v[2:3], v2, v[60:61]
; %bb.3231:                             ;   in Loop: Header=BB4_2956 Depth=3
	s_andn2_saveexec_b64 s[28:29], s[28:29]
; %bb.3232:                             ;   in Loop: Header=BB4_2956 Depth=3
	v_mov_b32_e32 v2, v60
	v_mov_b32_e32 v3, v61
	v_bfe_u32 v4, v60, 23, 1
; %bb.3233:                             ;   in Loop: Header=BB4_2956 Depth=3
	s_or_b64 exec, exec, s[28:29]
	v_lshrrev_b64 v[2:3], 21, v[2:3]
	v_cmp_gt_i32_e32 vcc, 32, v4
	v_cndmask_b32_e32 v3, 0, v3, vcc
	v_cndmask_b32_e32 v2, 3, v2, vcc
	v_cmp_eq_u64_e64 s[28:29], 0, v[2:3]
	v_min_i32_e32 v3, 31, v4
	v_lshlrev_b32_e32 v3, 2, v3
	v_cmp_eq_u32_e32 vcc, 0, v4
	v_and_b32_e32 v3, 0xfc, v3
	v_and_or_b32 v2, v2, 3, v3
	s_and_b64 s[28:29], vcc, s[28:29]
	v_cndmask_b32_e64 v2, v2, 0, s[28:29]
	v_or_b32_e32 v16, v2, v17
.LBB4_3234:                             ;   in Loop: Header=BB4_2956 Depth=3
	s_or_b64 exec, exec, s[36:37]
                                        ; implicit-def: $vgpr17
.LBB4_3235:                             ;   in Loop: Header=BB4_2956 Depth=3
	s_andn2_saveexec_b64 s[28:29], s[34:35]
; %bb.3236:                             ;   in Loop: Header=BB4_2956 Depth=3
	v_or_b32_e32 v16, 0x7b, v17
; %bb.3237:                             ;   in Loop: Header=BB4_2956 Depth=3
	s_or_b64 exec, exec, s[28:29]
                                        ; implicit-def: $vgpr2
.LBB4_3238:                             ;   in Loop: Header=BB4_2956 Depth=3
	s_andn2_saveexec_b64 s[28:29], s[30:31]
	s_cbranch_execz .LBB4_3244
; %bb.3239:                             ;   in Loop: Header=BB4_2956 Depth=3
	v_cmp_ne_u64_e32 vcc, 0, v[60:61]
                                        ; implicit-def: $vgpr16
	s_and_saveexec_b64 s[30:31], vcc
	s_xor_b64 vcc, exec, s[30:31]
; %bb.3240:                             ;   in Loop: Header=BB4_2956 Depth=3
	v_or_b32_sdwa v16, v2, s44 dst_sel:DWORD dst_unused:UNUSED_PAD src0_sel:BYTE_3 src1_sel:DWORD
                                        ; implicit-def: $vgpr2
; %bb.3241:                             ;   in Loop: Header=BB4_2956 Depth=3
	s_andn2_saveexec_b64 s[30:31], vcc
; %bb.3242:                             ;   in Loop: Header=BB4_2956 Depth=3
	v_cmp_lt_i32_e32 vcc, -1, v2
	v_bfrev_b32_e32 v2, 0.5
	v_mov_b32_e32 v3, 0x7c
	v_cndmask_b32_e32 v16, v2, v3, vcc
; %bb.3243:                             ;   in Loop: Header=BB4_2956 Depth=3
	s_or_b64 exec, exec, s[30:31]
.LBB4_3244:                             ;   in Loop: Header=BB4_2956 Depth=3
	s_or_b64 exec, exec, s[28:29]
	v_cmp_ne_u16_sdwa vcc, v22, v61 src0_sel:BYTE_0 src1_sel:DWORD
	v_mov_b32_e32 v2, 0
	v_mov_b32_e32 v3, 0
	s_and_saveexec_b64 s[28:29], vcc
	s_cbranch_execz .LBB4_3252
; %bb.3245:                             ;   in Loop: Header=BB4_2956 Depth=3
	v_cmp_ne_u16_sdwa vcc, sext(v22), s70 src0_sel:BYTE_0 src1_sel:DWORD
	v_bfrev_b32_e32 v3, 1
	s_and_saveexec_b64 s[30:31], vcc
	s_cbranch_execz .LBB4_3251
; %bb.3246:                             ;   in Loop: Header=BB4_2956 Depth=3
	v_and_b32_e32 v3, 0x7c, v22
	v_and_b32_e32 v4, 3, v22
	v_cmp_ne_u32_e32 vcc, s71, v3
                                        ; implicit-def: $vgpr3
	s_and_saveexec_b64 s[34:35], vcc
	s_xor_b64 s[34:35], exec, s[34:35]
	s_cbranch_execz .LBB4_3248
; %bb.3247:                             ;   in Loop: Header=BB4_2956 Depth=3
	v_ffbh_u32_e32 v6, v4
	v_min_u32_e32 v6, 32, v6
	v_bfe_u32 v3, v22, 2, 5
	v_subrev_u32_e32 v7, 29, v6
	v_lshlrev_b64 v[20:21], v7, v[22:23]
	v_sub_u32_e32 v6, 30, v6
	v_cmp_eq_u32_e32 vcc, 0, v3
	v_cndmask_b32_e32 v3, v3, v6, vcc
	v_lshlrev_b32_e32 v6, 24, v22
	v_and_b32_e32 v7, 3, v20
	v_and_b32_e32 v6, 0x80000000, v6
	v_cndmask_b32_e32 v4, v4, v7, vcc
	v_lshl_add_u32 v3, v3, 23, v6
	v_lshl_or_b32 v3, v4, 21, v3
	v_add_u32_e32 v3, 0x38000000, v3
                                        ; implicit-def: $vgpr4
.LBB4_3248:                             ;   in Loop: Header=BB4_2956 Depth=3
	s_andn2_saveexec_b64 s[34:35], s[34:35]
; %bb.3249:                             ;   in Loop: Header=BB4_2956 Depth=3
	v_mov_b32_e32 v3, -1
	v_cmp_gt_i16_sdwa vcc, sext(v22), v3 src0_sel:BYTE_0 src1_sel:DWORD
	v_mov_b32_e32 v3, 0xff800000
	v_cndmask_b32_e32 v3, v3, v47, vcc
	v_cmp_eq_u32_e32 vcc, 0, v4
	v_mov_b32_e32 v4, 0x7f800001
	v_cndmask_b32_e32 v3, v4, v3, vcc
; %bb.3250:                             ;   in Loop: Header=BB4_2956 Depth=3
	s_or_b64 exec, exec, s[34:35]
.LBB4_3251:                             ;   in Loop: Header=BB4_2956 Depth=3
	s_or_b64 exec, exec, s[30:31]
.LBB4_3252:                             ;   in Loop: Header=BB4_2956 Depth=3
	s_or_b64 exec, exec, s[28:29]
	v_cmp_ne_u16_sdwa vcc, v18, v61 src0_sel:BYTE_0 src1_sel:DWORD
	s_and_saveexec_b64 s[28:29], vcc
	s_cbranch_execz .LBB4_3260
; %bb.3253:                             ;   in Loop: Header=BB4_2956 Depth=3
	v_cmp_ne_u16_sdwa vcc, sext(v18), s70 src0_sel:BYTE_0 src1_sel:DWORD
	v_bfrev_b32_e32 v2, 1
	s_and_saveexec_b64 s[30:31], vcc
	s_cbranch_execz .LBB4_3259
; %bb.3254:                             ;   in Loop: Header=BB4_2956 Depth=3
	v_and_b32_e32 v2, 0x7c, v18
	v_and_b32_e32 v4, 3, v18
	v_cmp_ne_u32_e32 vcc, s71, v2
                                        ; implicit-def: $vgpr2
	s_and_saveexec_b64 s[34:35], vcc
	s_xor_b64 s[34:35], exec, s[34:35]
	s_cbranch_execz .LBB4_3256
; %bb.3255:                             ;   in Loop: Header=BB4_2956 Depth=3
	v_ffbh_u32_e32 v6, v4
	v_min_u32_e32 v6, 32, v6
	v_bfe_u32 v2, v18, 2, 5
	v_subrev_u32_e32 v7, 29, v6
	v_lshlrev_b64 v[20:21], v7, v[18:19]
	v_sub_u32_e32 v6, 30, v6
	v_cmp_eq_u32_e32 vcc, 0, v2
	v_cndmask_b32_e32 v2, v2, v6, vcc
	v_lshlrev_b32_e32 v6, 24, v18
	v_and_b32_e32 v7, 3, v20
	v_and_b32_e32 v6, 0x80000000, v6
	v_cndmask_b32_e32 v4, v4, v7, vcc
	v_lshl_add_u32 v2, v2, 23, v6
	v_lshl_or_b32 v2, v4, 21, v2
	v_add_u32_e32 v2, 0x38000000, v2
                                        ; implicit-def: $vgpr4
.LBB4_3256:                             ;   in Loop: Header=BB4_2956 Depth=3
	s_andn2_saveexec_b64 s[34:35], s[34:35]
; %bb.3257:                             ;   in Loop: Header=BB4_2956 Depth=3
	v_mov_b32_e32 v2, -1
	v_cmp_gt_i16_sdwa vcc, sext(v18), v2 src0_sel:BYTE_0 src1_sel:DWORD
	v_mov_b32_e32 v2, 0xff800000
	v_cndmask_b32_e32 v2, v2, v47, vcc
	v_cmp_eq_u32_e32 vcc, 0, v4
	v_mov_b32_e32 v4, 0x7f800001
	v_cndmask_b32_e32 v2, v4, v2, vcc
; %bb.3258:                             ;   in Loop: Header=BB4_2956 Depth=3
	s_or_b64 exec, exec, s[34:35]
.LBB4_3259:                             ;   in Loop: Header=BB4_2956 Depth=3
	s_or_b64 exec, exec, s[30:31]
.LBB4_3260:                             ;   in Loop: Header=BB4_2956 Depth=3
	s_or_b64 exec, exec, s[28:29]
	v_mul_f32_e32 v2, v3, v2
	v_and_b32_e32 v3, 0x7f800000, v2
	v_mov_b32_e32 v4, v61
	v_cmp_ne_u64_e32 vcc, s[62:63], v[3:4]
	v_and_b32_e32 v60, 0x7fffff, v2
                                        ; implicit-def: $vgpr17
	s_and_saveexec_b64 s[28:29], vcc
	s_xor_b64 s[30:31], exec, s[28:29]
	s_cbranch_execz .LBB4_3274
; %bb.3261:                             ;   in Loop: Header=BB4_2956 Depth=3
	v_and_b32_e32 v3, 0x7fffffff, v2
	v_mov_b32_e32 v4, v61
	v_cmp_gt_u64_e32 vcc, s[78:79], v[3:4]
	v_and_b32_sdwa v20, v2, s81 dst_sel:DWORD dst_unused:UNUSED_PAD src0_sel:BYTE_3 src1_sel:DWORD
                                        ; implicit-def: $vgpr17
	s_and_saveexec_b64 s[28:29], vcc
	s_xor_b64 s[34:35], exec, s[28:29]
	s_cbranch_execz .LBB4_3271
; %bb.3262:                             ;   in Loop: Header=BB4_2956 Depth=3
	v_mov_b32_e32 v17, 0
	v_cmp_ne_u32_e32 vcc, 0, v2
	s_and_saveexec_b64 s[36:37], vcc
	s_cbranch_execz .LBB4_3270
; %bb.3263:                             ;   in Loop: Header=BB4_2956 Depth=3
	v_bfe_u32 v17, v2, 23, 8
	v_cmp_gt_u32_e64 s[28:29], s47, v17
	v_sub_u32_e32 v2, 0x71, v17
	v_cmp_eq_u32_e32 vcc, 0, v17
	v_cndmask_b32_e64 v2, 0, v2, s[28:29]
	v_mov_b32_e32 v4, 0x70
	v_cndmask_b32_e32 v21, v2, v4, vcc
	v_add_u32_e32 v4, 21, v21
	v_or_b32_e32 v3, 0x800000, v60
	v_lshlrev_b64 v[38:39], v4, -1
	v_cndmask_b32_e32 v2, v3, v60, vcc
	v_mov_b32_e32 v3, v61
	v_add_u32_e32 v4, 20, v21
	v_bfi_b32 v38, v38, 0, v2
	v_lshlrev_b64 v[50:51], v4, 1
	v_lshrrev_b64 v[2:3], v21, v[2:3]
	v_bfi_b32 v39, v39, 0, 0
	v_cmp_eq_u64_e64 s[28:29], v[38:39], v[50:51]
	v_mov_b32_e32 v4, v3
	v_mov_b32_e32 v3, v2
	s_and_saveexec_b64 s[38:39], s[28:29]
; %bb.3264:                             ;   in Loop: Header=BB4_2956 Depth=3
	v_bfe_u32 v3, v2, 21, 1
	v_add_co_u32_e64 v3, s[28:29], v2, v3
	v_add_co_u32_e64 v3, s[28:29], -1, v3
; %bb.3265:                             ;   in Loop: Header=BB4_2956 Depth=3
	s_or_b64 exec, exec, s[38:39]
	v_add_u32_e32 v4, 0xffffff81, v17
	v_mov_b32_e32 v6, 0xffffff82
	v_cndmask_b32_e32 v4, v4, v6, vcc
	v_lshrrev_b32_e32 v6, 23, v2
	v_add3_u32 v17, v21, v4, v6
	v_add_u32_e32 v6, 14, v17
	v_and_b32_e32 v3, 0x1fffff, v3
	v_add_u32_e32 v60, v3, v2
	v_cmp_ne_u32_e32 vcc, 0, v6
                                        ; implicit-def: $vgpr2_vgpr3
                                        ; implicit-def: $vgpr4
	s_and_saveexec_b64 s[28:29], vcc
	s_xor_b64 s[28:29], exec, s[28:29]
; %bb.3266:                             ;   in Loop: Header=BB4_2956 Depth=3
	v_cmp_lt_u64_e32 vcc, s[88:89], v[60:61]
	v_add_u32_e32 v2, 15, v17
	v_cndmask_b32_e32 v4, v6, v2, vcc
	v_cndmask_b32_e64 v2, 0, 1, vcc
	v_lshrrev_b64 v[2:3], v2, v[60:61]
; %bb.3267:                             ;   in Loop: Header=BB4_2956 Depth=3
	s_andn2_saveexec_b64 s[28:29], s[28:29]
; %bb.3268:                             ;   in Loop: Header=BB4_2956 Depth=3
	v_mov_b32_e32 v2, v60
	v_mov_b32_e32 v3, v61
	v_bfe_u32 v4, v60, 23, 1
; %bb.3269:                             ;   in Loop: Header=BB4_2956 Depth=3
	s_or_b64 exec, exec, s[28:29]
	v_lshrrev_b64 v[2:3], 21, v[2:3]
	v_cmp_gt_i32_e32 vcc, 32, v4
	v_cndmask_b32_e32 v3, 0, v3, vcc
	v_cndmask_b32_e32 v2, 3, v2, vcc
	v_cmp_eq_u64_e64 s[28:29], 0, v[2:3]
	v_min_i32_e32 v3, 31, v4
	v_lshlrev_b32_e32 v3, 2, v3
	v_cmp_eq_u32_e32 vcc, 0, v4
	v_and_b32_e32 v3, 0xfc, v3
	v_and_or_b32 v2, v2, 3, v3
	s_and_b64 s[28:29], vcc, s[28:29]
	v_cndmask_b32_e64 v2, v2, 0, s[28:29]
	v_or_b32_e32 v17, v2, v20
.LBB4_3270:                             ;   in Loop: Header=BB4_2956 Depth=3
	s_or_b64 exec, exec, s[36:37]
                                        ; implicit-def: $vgpr20
.LBB4_3271:                             ;   in Loop: Header=BB4_2956 Depth=3
	s_andn2_saveexec_b64 s[28:29], s[34:35]
; %bb.3272:                             ;   in Loop: Header=BB4_2956 Depth=3
	v_or_b32_e32 v17, 0x7b, v20
; %bb.3273:                             ;   in Loop: Header=BB4_2956 Depth=3
	s_or_b64 exec, exec, s[28:29]
                                        ; implicit-def: $vgpr2
.LBB4_3274:                             ;   in Loop: Header=BB4_2956 Depth=3
	s_andn2_saveexec_b64 s[28:29], s[30:31]
	s_cbranch_execz .LBB4_3280
; %bb.3275:                             ;   in Loop: Header=BB4_2956 Depth=3
	v_cmp_ne_u64_e32 vcc, 0, v[60:61]
                                        ; implicit-def: $vgpr17
	s_and_saveexec_b64 s[30:31], vcc
	s_xor_b64 vcc, exec, s[30:31]
; %bb.3276:                             ;   in Loop: Header=BB4_2956 Depth=3
	v_or_b32_sdwa v17, v2, s44 dst_sel:DWORD dst_unused:UNUSED_PAD src0_sel:BYTE_3 src1_sel:DWORD
                                        ; implicit-def: $vgpr2
; %bb.3277:                             ;   in Loop: Header=BB4_2956 Depth=3
	s_andn2_saveexec_b64 s[30:31], vcc
; %bb.3278:                             ;   in Loop: Header=BB4_2956 Depth=3
	v_cmp_lt_i32_e32 vcc, -1, v2
	v_bfrev_b32_e32 v2, 0.5
	v_mov_b32_e32 v3, 0x7c
	v_cndmask_b32_e32 v17, v2, v3, vcc
; %bb.3279:                             ;   in Loop: Header=BB4_2956 Depth=3
	s_or_b64 exec, exec, s[30:31]
.LBB4_3280:                             ;   in Loop: Header=BB4_2956 Depth=3
	s_or_b64 exec, exec, s[28:29]
	v_lshrrev_b16_e32 v2, 8, v22
	v_cmp_ne_u16_e32 vcc, 0, v2
	v_mov_b32_e32 v4, 0
	v_mov_b32_e32 v20, 0
	s_and_saveexec_b64 s[28:29], vcc
	s_cbranch_execz .LBB4_3288
; %bb.3281:                             ;   in Loop: Header=BB4_2956 Depth=3
	v_cmp_ne_u16_e32 vcc, s81, v2
	v_bfrev_b32_e32 v20, 1
	s_and_saveexec_b64 s[30:31], vcc
	s_cbranch_execz .LBB4_3287
; %bb.3282:                             ;   in Loop: Header=BB4_2956 Depth=3
	v_and_b32_e32 v3, 0x7c, v2
	v_and_b32_e32 v6, 3, v2
	v_cmp_ne_u32_e32 vcc, s71, v3
                                        ; implicit-def: $vgpr20
	s_and_saveexec_b64 s[34:35], vcc
	s_xor_b64 s[34:35], exec, s[34:35]
	s_cbranch_execz .LBB4_3284
; %bb.3283:                             ;   in Loop: Header=BB4_2956 Depth=3
	v_ffbh_u32_e32 v20, v6
	v_min_u32_e32 v20, 32, v20
	v_mov_b32_e32 v3, v61
	v_subrev_u32_e32 v21, 29, v20
	v_bfe_u32 v7, v2, 2, 5
	v_lshlrev_b64 v[2:3], v21, v[2:3]
	v_cmp_eq_u32_e32 vcc, 0, v7
	v_and_b32_e32 v2, 3, v2
	v_sub_u32_e32 v3, 30, v20
	v_cndmask_b32_e32 v2, v6, v2, vcc
	v_lshlrev_b32_e32 v6, 16, v22
	v_cndmask_b32_e32 v3, v7, v3, vcc
	v_and_b32_e32 v6, 0x80000000, v6
	v_lshl_add_u32 v3, v3, 23, v6
	v_lshl_or_b32 v2, v2, 21, v3
	v_add_u32_e32 v20, 0x38000000, v2
                                        ; implicit-def: $vgpr6
.LBB4_3284:                             ;   in Loop: Header=BB4_2956 Depth=3
	s_andn2_saveexec_b64 s[34:35], s[34:35]
; %bb.3285:                             ;   in Loop: Header=BB4_2956 Depth=3
	v_cmp_lt_i16_e32 vcc, -1, v22
	v_mov_b32_e32 v2, 0xff800000
	v_cndmask_b32_e32 v2, v2, v47, vcc
	v_cmp_eq_u32_e32 vcc, 0, v6
	v_mov_b32_e32 v3, 0x7f800001
	v_cndmask_b32_e32 v20, v3, v2, vcc
; %bb.3286:                             ;   in Loop: Header=BB4_2956 Depth=3
	s_or_b64 exec, exec, s[34:35]
.LBB4_3287:                             ;   in Loop: Header=BB4_2956 Depth=3
	s_or_b64 exec, exec, s[30:31]
.LBB4_3288:                             ;   in Loop: Header=BB4_2956 Depth=3
	s_or_b64 exec, exec, s[28:29]
	v_lshrrev_b16_e32 v2, 8, v18
	v_cmp_ne_u16_e32 vcc, 0, v2
	s_and_saveexec_b64 s[28:29], vcc
	s_cbranch_execz .LBB4_3296
; %bb.3289:                             ;   in Loop: Header=BB4_2956 Depth=3
	v_cmp_ne_u16_e32 vcc, s81, v2
	v_bfrev_b32_e32 v4, 1
	s_and_saveexec_b64 s[30:31], vcc
	s_cbranch_execz .LBB4_3295
; %bb.3290:                             ;   in Loop: Header=BB4_2956 Depth=3
	v_and_b32_e32 v3, 0x7c, v2
	v_and_b32_e32 v6, 3, v2
	v_cmp_ne_u32_e32 vcc, s71, v3
                                        ; implicit-def: $vgpr4
	s_and_saveexec_b64 s[34:35], vcc
	s_xor_b64 s[34:35], exec, s[34:35]
	s_cbranch_execz .LBB4_3292
; %bb.3291:                             ;   in Loop: Header=BB4_2956 Depth=3
	v_ffbh_u32_e32 v7, v6
	v_min_u32_e32 v7, 32, v7
	v_mov_b32_e32 v3, v61
	v_subrev_u32_e32 v21, 29, v7
	v_bfe_u32 v4, v2, 2, 5
	v_lshlrev_b64 v[2:3], v21, v[2:3]
	v_sub_u32_e32 v3, 30, v7
	v_cmp_eq_u32_e32 vcc, 0, v4
	v_cndmask_b32_e32 v3, v4, v3, vcc
	v_lshlrev_b32_e32 v4, 16, v18
	v_and_b32_e32 v2, 3, v2
	v_and_b32_e32 v4, 0x80000000, v4
	v_cndmask_b32_e32 v2, v6, v2, vcc
	v_lshl_add_u32 v3, v3, 23, v4
	v_lshl_or_b32 v2, v2, 21, v3
	v_add_u32_e32 v4, 0x38000000, v2
                                        ; implicit-def: $vgpr6
.LBB4_3292:                             ;   in Loop: Header=BB4_2956 Depth=3
	s_andn2_saveexec_b64 s[34:35], s[34:35]
; %bb.3293:                             ;   in Loop: Header=BB4_2956 Depth=3
	v_cmp_lt_i16_e32 vcc, -1, v18
	v_mov_b32_e32 v2, 0xff800000
	v_cndmask_b32_e32 v2, v2, v47, vcc
	v_cmp_eq_u32_e32 vcc, 0, v6
	v_mov_b32_e32 v3, 0x7f800001
	v_cndmask_b32_e32 v4, v3, v2, vcc
; %bb.3294:                             ;   in Loop: Header=BB4_2956 Depth=3
	s_or_b64 exec, exec, s[34:35]
.LBB4_3295:                             ;   in Loop: Header=BB4_2956 Depth=3
	s_or_b64 exec, exec, s[30:31]
.LBB4_3296:                             ;   in Loop: Header=BB4_2956 Depth=3
	s_or_b64 exec, exec, s[28:29]
	v_mul_f32_e32 v2, v20, v4
	v_and_b32_e32 v3, 0x7f800000, v2
	v_mov_b32_e32 v4, v61
	v_cmp_ne_u64_e32 vcc, s[62:63], v[3:4]
	v_and_b32_e32 v60, 0x7fffff, v2
                                        ; implicit-def: $vgpr20
	s_and_saveexec_b64 s[28:29], vcc
	s_xor_b64 s[30:31], exec, s[28:29]
	s_cbranch_execz .LBB4_3310
; %bb.3297:                             ;   in Loop: Header=BB4_2956 Depth=3
	v_and_b32_e32 v3, 0x7fffffff, v2
	v_mov_b32_e32 v4, v61
	v_cmp_gt_u64_e32 vcc, s[78:79], v[3:4]
	v_and_b32_sdwa v21, v2, s81 dst_sel:DWORD dst_unused:UNUSED_PAD src0_sel:BYTE_3 src1_sel:DWORD
                                        ; implicit-def: $vgpr20
	s_and_saveexec_b64 s[28:29], vcc
	s_xor_b64 s[34:35], exec, s[28:29]
	s_cbranch_execz .LBB4_3307
; %bb.3298:                             ;   in Loop: Header=BB4_2956 Depth=3
	v_mov_b32_e32 v20, 0
	v_cmp_ne_u32_e32 vcc, 0, v2
	s_and_saveexec_b64 s[36:37], vcc
	s_cbranch_execz .LBB4_3306
; %bb.3299:                             ;   in Loop: Header=BB4_2956 Depth=3
	v_bfe_u32 v20, v2, 23, 8
	v_cmp_gt_u32_e64 s[28:29], s47, v20
	v_sub_u32_e32 v2, 0x71, v20
	v_cmp_eq_u32_e32 vcc, 0, v20
	v_cndmask_b32_e64 v2, 0, v2, s[28:29]
	v_mov_b32_e32 v4, 0x70
	v_cndmask_b32_e32 v38, v2, v4, vcc
	v_add_u32_e32 v4, 21, v38
	v_or_b32_e32 v3, 0x800000, v60
	v_lshlrev_b64 v[50:51], v4, -1
	v_cndmask_b32_e32 v2, v3, v60, vcc
	v_mov_b32_e32 v3, v61
	v_add_u32_e32 v4, 20, v38
	v_bfi_b32 v50, v50, 0, v2
	v_lshlrev_b64 v[52:53], v4, 1
	v_lshrrev_b64 v[2:3], v38, v[2:3]
	v_bfi_b32 v51, v51, 0, 0
	v_cmp_eq_u64_e64 s[28:29], v[50:51], v[52:53]
	v_mov_b32_e32 v4, v3
	v_mov_b32_e32 v3, v2
	s_and_saveexec_b64 s[38:39], s[28:29]
; %bb.3300:                             ;   in Loop: Header=BB4_2956 Depth=3
	v_bfe_u32 v3, v2, 21, 1
	v_add_co_u32_e64 v3, s[28:29], v2, v3
	v_add_co_u32_e64 v3, s[28:29], -1, v3
; %bb.3301:                             ;   in Loop: Header=BB4_2956 Depth=3
	s_or_b64 exec, exec, s[38:39]
	v_add_u32_e32 v4, 0xffffff81, v20
	v_mov_b32_e32 v6, 0xffffff82
	v_cndmask_b32_e32 v4, v4, v6, vcc
	v_lshrrev_b32_e32 v6, 23, v2
	v_add3_u32 v20, v38, v4, v6
	v_add_u32_e32 v6, 14, v20
	v_and_b32_e32 v3, 0x1fffff, v3
	v_add_u32_e32 v60, v3, v2
	v_cmp_ne_u32_e32 vcc, 0, v6
                                        ; implicit-def: $vgpr2_vgpr3
                                        ; implicit-def: $vgpr4
	s_and_saveexec_b64 s[28:29], vcc
	s_xor_b64 s[28:29], exec, s[28:29]
; %bb.3302:                             ;   in Loop: Header=BB4_2956 Depth=3
	v_cmp_lt_u64_e32 vcc, s[88:89], v[60:61]
	v_add_u32_e32 v2, 15, v20
	v_cndmask_b32_e32 v4, v6, v2, vcc
	v_cndmask_b32_e64 v2, 0, 1, vcc
	v_lshrrev_b64 v[2:3], v2, v[60:61]
; %bb.3303:                             ;   in Loop: Header=BB4_2956 Depth=3
	s_andn2_saveexec_b64 s[28:29], s[28:29]
; %bb.3304:                             ;   in Loop: Header=BB4_2956 Depth=3
	v_mov_b32_e32 v2, v60
	v_mov_b32_e32 v3, v61
	v_bfe_u32 v4, v60, 23, 1
; %bb.3305:                             ;   in Loop: Header=BB4_2956 Depth=3
	s_or_b64 exec, exec, s[28:29]
	v_lshrrev_b64 v[2:3], 21, v[2:3]
	v_cmp_gt_i32_e32 vcc, 32, v4
	v_cndmask_b32_e32 v3, 0, v3, vcc
	v_cndmask_b32_e32 v2, 3, v2, vcc
	v_cmp_eq_u64_e64 s[28:29], 0, v[2:3]
	v_min_i32_e32 v3, 31, v4
	v_lshlrev_b32_e32 v3, 2, v3
	v_cmp_eq_u32_e32 vcc, 0, v4
	v_and_b32_e32 v3, 0xfc, v3
	v_and_or_b32 v2, v2, 3, v3
	s_and_b64 s[28:29], vcc, s[28:29]
	v_cndmask_b32_e64 v2, v2, 0, s[28:29]
	v_or_b32_e32 v20, v2, v21
.LBB4_3306:                             ;   in Loop: Header=BB4_2956 Depth=3
	s_or_b64 exec, exec, s[36:37]
                                        ; implicit-def: $vgpr21
.LBB4_3307:                             ;   in Loop: Header=BB4_2956 Depth=3
	s_andn2_saveexec_b64 s[28:29], s[34:35]
; %bb.3308:                             ;   in Loop: Header=BB4_2956 Depth=3
	v_or_b32_e32 v20, 0x7b, v21
; %bb.3309:                             ;   in Loop: Header=BB4_2956 Depth=3
	s_or_b64 exec, exec, s[28:29]
                                        ; implicit-def: $vgpr2
.LBB4_3310:                             ;   in Loop: Header=BB4_2956 Depth=3
	s_andn2_saveexec_b64 s[28:29], s[30:31]
	s_cbranch_execz .LBB4_3316
; %bb.3311:                             ;   in Loop: Header=BB4_2956 Depth=3
	v_cmp_ne_u64_e32 vcc, 0, v[60:61]
                                        ; implicit-def: $vgpr20
	s_and_saveexec_b64 s[30:31], vcc
	s_xor_b64 vcc, exec, s[30:31]
; %bb.3312:                             ;   in Loop: Header=BB4_2956 Depth=3
	v_or_b32_sdwa v20, v2, s44 dst_sel:DWORD dst_unused:UNUSED_PAD src0_sel:BYTE_3 src1_sel:DWORD
                                        ; implicit-def: $vgpr2
; %bb.3313:                             ;   in Loop: Header=BB4_2956 Depth=3
	s_andn2_saveexec_b64 s[30:31], vcc
; %bb.3314:                             ;   in Loop: Header=BB4_2956 Depth=3
	v_cmp_lt_i32_e32 vcc, -1, v2
	v_bfrev_b32_e32 v2, 0.5
	v_mov_b32_e32 v3, 0x7c
	v_cndmask_b32_e32 v20, v2, v3, vcc
; %bb.3315:                             ;   in Loop: Header=BB4_2956 Depth=3
	s_or_b64 exec, exec, s[30:31]
.LBB4_3316:                             ;   in Loop: Header=BB4_2956 Depth=3
	s_or_b64 exec, exec, s[28:29]
	v_lshrrev_b32_e32 v2, 16, v22
	v_cmp_ne_u16_sdwa vcc, v2, v61 src0_sel:BYTE_0 src1_sel:DWORD
	v_mov_b32_e32 v3, 0
	v_mov_b32_e32 v4, 0
	s_and_saveexec_b64 s[28:29], vcc
	s_cbranch_execz .LBB4_3324
; %bb.3317:                             ;   in Loop: Header=BB4_2956 Depth=3
	v_cmp_ne_u16_sdwa vcc, v2, s81 src0_sel:BYTE_0 src1_sel:DWORD
	v_bfrev_b32_e32 v4, 1
	s_and_saveexec_b64 s[30:31], vcc
	s_cbranch_execz .LBB4_3323
; %bb.3318:                             ;   in Loop: Header=BB4_2956 Depth=3
	v_and_b32_e32 v4, 0x7c0000, v22
	v_bfe_u32 v6, v22, 16, 2
	v_cmp_ne_u32_e32 vcc, s45, v4
                                        ; implicit-def: $vgpr4
	s_and_saveexec_b64 s[34:35], vcc
	s_xor_b64 s[34:35], exec, s[34:35]
	s_cbranch_execz .LBB4_3320
; %bb.3319:                             ;   in Loop: Header=BB4_2956 Depth=3
	v_ffbh_u32_e32 v7, v6
	v_min_u32_e32 v7, 32, v7
	v_subrev_u32_e32 v21, 29, v7
	v_lshlrev_b64 v[38:39], v21, v[2:3]
	v_bfe_u32 v4, v22, 18, 5
	v_sub_u32_e32 v2, 30, v7
	v_and_b32_e32 v7, 3, v38
	v_cmp_eq_u32_e32 vcc, 0, v4
	v_cndmask_b32_e32 v2, v4, v2, vcc
	v_cndmask_b32_e32 v4, v6, v7, vcc
	v_lshlrev_b32_e32 v6, 8, v22
	v_and_b32_e32 v6, 0x80000000, v6
	v_lshl_add_u32 v2, v2, 23, v6
	v_lshl_or_b32 v2, v4, 21, v2
	v_add_u32_e32 v4, 0x38000000, v2
                                        ; implicit-def: $vgpr6
                                        ; implicit-def: $vgpr2
.LBB4_3320:                             ;   in Loop: Header=BB4_2956 Depth=3
	s_andn2_saveexec_b64 s[34:35], s[34:35]
; %bb.3321:                             ;   in Loop: Header=BB4_2956 Depth=3
	v_mov_b32_e32 v4, -1
	v_cmp_gt_i16_sdwa vcc, sext(v2), v4 src0_sel:BYTE_0 src1_sel:DWORD
	v_mov_b32_e32 v2, 0xff800000
	v_cndmask_b32_e32 v2, v2, v47, vcc
	v_cmp_eq_u32_e32 vcc, 0, v6
	v_mov_b32_e32 v4, 0x7f800001
	v_cndmask_b32_e32 v4, v4, v2, vcc
; %bb.3322:                             ;   in Loop: Header=BB4_2956 Depth=3
	s_or_b64 exec, exec, s[34:35]
.LBB4_3323:                             ;   in Loop: Header=BB4_2956 Depth=3
	s_or_b64 exec, exec, s[30:31]
.LBB4_3324:                             ;   in Loop: Header=BB4_2956 Depth=3
	s_or_b64 exec, exec, s[28:29]
	v_lshrrev_b32_e32 v2, 16, v18
	v_cmp_ne_u16_sdwa vcc, v2, v61 src0_sel:BYTE_0 src1_sel:DWORD
	s_and_saveexec_b64 s[28:29], vcc
	s_cbranch_execz .LBB4_3332
; %bb.3325:                             ;   in Loop: Header=BB4_2956 Depth=3
	v_cmp_ne_u16_sdwa vcc, v2, s81 src0_sel:BYTE_0 src1_sel:DWORD
	v_bfrev_b32_e32 v3, 1
	s_and_saveexec_b64 s[30:31], vcc
	s_cbranch_execz .LBB4_3331
; %bb.3326:                             ;   in Loop: Header=BB4_2956 Depth=3
	v_and_b32_e32 v3, 0x7c0000, v18
	v_bfe_u32 v6, v18, 16, 2
	v_cmp_ne_u32_e32 vcc, s45, v3
                                        ; implicit-def: $vgpr3
	s_and_saveexec_b64 s[34:35], vcc
	s_xor_b64 s[34:35], exec, s[34:35]
	s_cbranch_execz .LBB4_3328
; %bb.3327:                             ;   in Loop: Header=BB4_2956 Depth=3
	v_ffbh_u32_e32 v3, v6
	v_min_u32_e32 v21, 32, v3
	v_subrev_u32_e32 v3, 29, v21
	v_lshlrev_b64 v[2:3], v3, v[2:3]
	v_bfe_u32 v7, v18, 18, 5
	v_and_b32_e32 v2, 3, v2
	v_cmp_eq_u32_e32 vcc, 0, v7
	v_sub_u32_e32 v3, 30, v21
	v_cndmask_b32_e32 v2, v6, v2, vcc
	v_lshlrev_b32_e32 v6, 8, v18
	v_cndmask_b32_e32 v3, v7, v3, vcc
	v_and_b32_e32 v6, 0x80000000, v6
	v_lshl_add_u32 v3, v3, 23, v6
	v_lshl_or_b32 v2, v2, 21, v3
	v_add_u32_e32 v3, 0x38000000, v2
                                        ; implicit-def: $vgpr6
                                        ; implicit-def: $vgpr2
.LBB4_3328:                             ;   in Loop: Header=BB4_2956 Depth=3
	s_andn2_saveexec_b64 s[34:35], s[34:35]
; %bb.3329:                             ;   in Loop: Header=BB4_2956 Depth=3
	v_mov_b32_e32 v3, -1
	v_cmp_gt_i16_sdwa vcc, sext(v2), v3 src0_sel:BYTE_0 src1_sel:DWORD
	v_mov_b32_e32 v2, 0xff800000
	v_cndmask_b32_e32 v2, v2, v47, vcc
	v_cmp_eq_u32_e32 vcc, 0, v6
	v_mov_b32_e32 v3, 0x7f800001
	v_cndmask_b32_e32 v3, v3, v2, vcc
; %bb.3330:                             ;   in Loop: Header=BB4_2956 Depth=3
	s_or_b64 exec, exec, s[34:35]
.LBB4_3331:                             ;   in Loop: Header=BB4_2956 Depth=3
	s_or_b64 exec, exec, s[30:31]
.LBB4_3332:                             ;   in Loop: Header=BB4_2956 Depth=3
	s_or_b64 exec, exec, s[28:29]
	v_mul_f32_e32 v2, v4, v3
	v_and_b32_e32 v3, 0x7f800000, v2
	v_mov_b32_e32 v4, v61
	v_cmp_ne_u64_e32 vcc, s[62:63], v[3:4]
	v_and_b32_e32 v60, 0x7fffff, v2
                                        ; implicit-def: $vgpr21
	s_and_saveexec_b64 s[28:29], vcc
	s_xor_b64 s[30:31], exec, s[28:29]
	s_cbranch_execz .LBB4_3346
; %bb.3333:                             ;   in Loop: Header=BB4_2956 Depth=3
	v_and_b32_e32 v3, 0x7fffffff, v2
	v_mov_b32_e32 v4, v61
	v_cmp_gt_u64_e32 vcc, s[78:79], v[3:4]
	v_and_b32_sdwa v38, v2, s81 dst_sel:DWORD dst_unused:UNUSED_PAD src0_sel:BYTE_3 src1_sel:DWORD
                                        ; implicit-def: $vgpr21
	s_and_saveexec_b64 s[28:29], vcc
	s_xor_b64 s[34:35], exec, s[28:29]
	s_cbranch_execz .LBB4_3343
; %bb.3334:                             ;   in Loop: Header=BB4_2956 Depth=3
	v_mov_b32_e32 v21, 0
	v_cmp_ne_u32_e32 vcc, 0, v2
	s_and_saveexec_b64 s[36:37], vcc
	s_cbranch_execz .LBB4_3342
; %bb.3335:                             ;   in Loop: Header=BB4_2956 Depth=3
	v_bfe_u32 v21, v2, 23, 8
	v_cmp_gt_u32_e64 s[28:29], s47, v21
	v_sub_u32_e32 v2, 0x71, v21
	v_cmp_eq_u32_e32 vcc, 0, v21
	v_cndmask_b32_e64 v2, 0, v2, s[28:29]
	v_mov_b32_e32 v4, 0x70
	v_cndmask_b32_e32 v39, v2, v4, vcc
	v_add_u32_e32 v4, 21, v39
	v_or_b32_e32 v3, 0x800000, v60
	v_lshlrev_b64 v[50:51], v4, -1
	v_cndmask_b32_e32 v2, v3, v60, vcc
	v_mov_b32_e32 v3, v61
	v_add_u32_e32 v4, 20, v39
	v_bfi_b32 v50, v50, 0, v2
	v_lshlrev_b64 v[52:53], v4, 1
	v_lshrrev_b64 v[2:3], v39, v[2:3]
	v_bfi_b32 v51, v51, 0, 0
	v_cmp_eq_u64_e64 s[28:29], v[50:51], v[52:53]
	v_mov_b32_e32 v4, v3
	v_mov_b32_e32 v3, v2
	s_and_saveexec_b64 s[38:39], s[28:29]
; %bb.3336:                             ;   in Loop: Header=BB4_2956 Depth=3
	v_bfe_u32 v3, v2, 21, 1
	v_add_co_u32_e64 v3, s[28:29], v2, v3
	v_add_co_u32_e64 v3, s[28:29], -1, v3
; %bb.3337:                             ;   in Loop: Header=BB4_2956 Depth=3
	s_or_b64 exec, exec, s[38:39]
	v_add_u32_e32 v4, 0xffffff81, v21
	v_mov_b32_e32 v6, 0xffffff82
	v_cndmask_b32_e32 v4, v4, v6, vcc
	v_lshrrev_b32_e32 v6, 23, v2
	v_add3_u32 v21, v39, v4, v6
	v_add_u32_e32 v6, 14, v21
	v_and_b32_e32 v3, 0x1fffff, v3
	v_add_u32_e32 v60, v3, v2
	v_cmp_ne_u32_e32 vcc, 0, v6
                                        ; implicit-def: $vgpr2_vgpr3
                                        ; implicit-def: $vgpr4
	s_and_saveexec_b64 s[28:29], vcc
	s_xor_b64 s[28:29], exec, s[28:29]
; %bb.3338:                             ;   in Loop: Header=BB4_2956 Depth=3
	v_cmp_lt_u64_e32 vcc, s[88:89], v[60:61]
	v_add_u32_e32 v2, 15, v21
	v_cndmask_b32_e32 v4, v6, v2, vcc
	v_cndmask_b32_e64 v2, 0, 1, vcc
	v_lshrrev_b64 v[2:3], v2, v[60:61]
; %bb.3339:                             ;   in Loop: Header=BB4_2956 Depth=3
	s_andn2_saveexec_b64 s[28:29], s[28:29]
; %bb.3340:                             ;   in Loop: Header=BB4_2956 Depth=3
	v_mov_b32_e32 v2, v60
	v_mov_b32_e32 v3, v61
	v_bfe_u32 v4, v60, 23, 1
; %bb.3341:                             ;   in Loop: Header=BB4_2956 Depth=3
	s_or_b64 exec, exec, s[28:29]
	v_lshrrev_b64 v[2:3], 21, v[2:3]
	v_cmp_gt_i32_e32 vcc, 32, v4
	v_cndmask_b32_e32 v3, 0, v3, vcc
	v_cndmask_b32_e32 v2, 3, v2, vcc
	v_cmp_eq_u64_e64 s[28:29], 0, v[2:3]
	v_min_i32_e32 v3, 31, v4
	v_lshlrev_b32_e32 v3, 2, v3
	v_cmp_eq_u32_e32 vcc, 0, v4
	v_and_b32_e32 v3, 0xfc, v3
	v_and_or_b32 v2, v2, 3, v3
	s_and_b64 s[28:29], vcc, s[28:29]
	v_cndmask_b32_e64 v2, v2, 0, s[28:29]
	v_or_b32_e32 v21, v2, v38
.LBB4_3342:                             ;   in Loop: Header=BB4_2956 Depth=3
	s_or_b64 exec, exec, s[36:37]
                                        ; implicit-def: $vgpr38
.LBB4_3343:                             ;   in Loop: Header=BB4_2956 Depth=3
	s_andn2_saveexec_b64 s[28:29], s[34:35]
; %bb.3344:                             ;   in Loop: Header=BB4_2956 Depth=3
	v_or_b32_e32 v21, 0x7b, v38
; %bb.3345:                             ;   in Loop: Header=BB4_2956 Depth=3
	s_or_b64 exec, exec, s[28:29]
                                        ; implicit-def: $vgpr2
.LBB4_3346:                             ;   in Loop: Header=BB4_2956 Depth=3
	s_andn2_saveexec_b64 s[28:29], s[30:31]
	s_cbranch_execz .LBB4_3352
; %bb.3347:                             ;   in Loop: Header=BB4_2956 Depth=3
	v_cmp_ne_u64_e32 vcc, 0, v[60:61]
                                        ; implicit-def: $vgpr21
	s_and_saveexec_b64 s[30:31], vcc
	s_xor_b64 vcc, exec, s[30:31]
; %bb.3348:                             ;   in Loop: Header=BB4_2956 Depth=3
	v_or_b32_sdwa v21, v2, s44 dst_sel:DWORD dst_unused:UNUSED_PAD src0_sel:BYTE_3 src1_sel:DWORD
                                        ; implicit-def: $vgpr2
; %bb.3349:                             ;   in Loop: Header=BB4_2956 Depth=3
	s_andn2_saveexec_b64 s[30:31], vcc
; %bb.3350:                             ;   in Loop: Header=BB4_2956 Depth=3
	v_cmp_lt_i32_e32 vcc, -1, v2
	v_bfrev_b32_e32 v2, 0.5
	v_mov_b32_e32 v3, 0x7c
	v_cndmask_b32_e32 v21, v2, v3, vcc
; %bb.3351:                             ;   in Loop: Header=BB4_2956 Depth=3
	s_or_b64 exec, exec, s[30:31]
.LBB4_3352:                             ;   in Loop: Header=BB4_2956 Depth=3
	s_or_b64 exec, exec, s[28:29]
	v_cmp_lt_u32_e32 vcc, s57, v22
	v_mov_b32_e32 v3, 0
	v_mov_b32_e32 v4, 0
	s_and_saveexec_b64 s[28:29], vcc
	s_cbranch_execz .LBB4_3360
; %bb.3353:                             ;   in Loop: Header=BB4_2956 Depth=3
	v_lshrrev_b32_e32 v2, 24, v22
	v_cmp_ne_u32_e32 vcc, s81, v2
	v_bfrev_b32_e32 v4, 1
	s_and_saveexec_b64 s[30:31], vcc
	s_cbranch_execz .LBB4_3359
; %bb.3354:                             ;   in Loop: Header=BB4_2956 Depth=3
	v_and_b32_e32 v4, 0x7c000000, v22
	v_bfe_u32 v6, v22, 24, 2
	v_cmp_ne_u32_e32 vcc, s82, v4
                                        ; implicit-def: $vgpr4
	s_and_saveexec_b64 s[34:35], vcc
	s_xor_b64 s[34:35], exec, s[34:35]
	s_cbranch_execz .LBB4_3356
; %bb.3355:                             ;   in Loop: Header=BB4_2956 Depth=3
	v_ffbh_u32_e32 v7, v6
	v_min_u32_e32 v7, 32, v7
	v_subrev_u32_e32 v24, 29, v7
	v_lshlrev_b64 v[38:39], v24, v[2:3]
	v_bfe_u32 v4, v22, 26, 5
	v_sub_u32_e32 v2, 30, v7
	v_and_b32_e32 v7, 3, v38
	v_cmp_eq_u32_e32 vcc, 0, v4
	v_cndmask_b32_e32 v2, v4, v2, vcc
	v_cndmask_b32_e32 v4, v6, v7, vcc
	v_and_b32_e32 v6, 0x80000000, v22
	v_lshl_add_u32 v2, v2, 23, v6
	v_lshl_or_b32 v2, v4, 21, v2
	v_add_u32_e32 v4, 0x38000000, v2
                                        ; implicit-def: $vgpr6
.LBB4_3356:                             ;   in Loop: Header=BB4_2956 Depth=3
	s_andn2_saveexec_b64 s[34:35], s[34:35]
; %bb.3357:                             ;   in Loop: Header=BB4_2956 Depth=3
	v_cmp_lt_i32_e32 vcc, -1, v22
	v_mov_b32_e32 v2, 0xff800000
	v_cndmask_b32_e32 v2, v2, v47, vcc
	v_cmp_eq_u32_e32 vcc, 0, v6
	v_mov_b32_e32 v4, 0x7f800001
	v_cndmask_b32_e32 v4, v4, v2, vcc
; %bb.3358:                             ;   in Loop: Header=BB4_2956 Depth=3
	s_or_b64 exec, exec, s[34:35]
.LBB4_3359:                             ;   in Loop: Header=BB4_2956 Depth=3
	s_or_b64 exec, exec, s[30:31]
.LBB4_3360:                             ;   in Loop: Header=BB4_2956 Depth=3
	s_or_b64 exec, exec, s[28:29]
	v_cmp_lt_u32_e32 vcc, s57, v18
	s_and_saveexec_b64 s[28:29], vcc
	s_cbranch_execz .LBB4_3368
; %bb.3361:                             ;   in Loop: Header=BB4_2956 Depth=3
	v_lshrrev_b32_e32 v2, 24, v18
	v_cmp_ne_u32_e32 vcc, s81, v2
	v_bfrev_b32_e32 v3, 1
	s_and_saveexec_b64 s[30:31], vcc
	s_cbranch_execz .LBB4_3367
; %bb.3362:                             ;   in Loop: Header=BB4_2956 Depth=3
	v_and_b32_e32 v3, 0x7c000000, v18
	v_bfe_u32 v6, v18, 24, 2
	v_cmp_ne_u32_e32 vcc, s82, v3
                                        ; implicit-def: $vgpr3
	s_and_saveexec_b64 s[34:35], vcc
	s_xor_b64 s[34:35], exec, s[34:35]
	s_cbranch_execz .LBB4_3364
; %bb.3363:                             ;   in Loop: Header=BB4_2956 Depth=3
	v_ffbh_u32_e32 v3, v6
	v_min_u32_e32 v24, 32, v3
	v_subrev_u32_e32 v3, 29, v24
	v_lshlrev_b64 v[2:3], v3, v[2:3]
	v_bfe_u32 v7, v18, 26, 5
	v_sub_u32_e32 v3, 30, v24
	v_and_b32_e32 v2, 3, v2
	v_cmp_eq_u32_e32 vcc, 0, v7
	v_cndmask_b32_e32 v3, v7, v3, vcc
	v_cndmask_b32_e32 v2, v6, v2, vcc
	v_and_b32_e32 v6, 0x80000000, v18
	v_lshl_add_u32 v3, v3, 23, v6
	v_lshl_or_b32 v2, v2, 21, v3
	v_add_u32_e32 v3, 0x38000000, v2
                                        ; implicit-def: $vgpr6
.LBB4_3364:                             ;   in Loop: Header=BB4_2956 Depth=3
	s_andn2_saveexec_b64 s[34:35], s[34:35]
; %bb.3365:                             ;   in Loop: Header=BB4_2956 Depth=3
	v_cmp_lt_i32_e32 vcc, -1, v18
	v_mov_b32_e32 v2, 0xff800000
	v_cndmask_b32_e32 v2, v2, v47, vcc
	v_cmp_eq_u32_e32 vcc, 0, v6
	v_mov_b32_e32 v3, 0x7f800001
	v_cndmask_b32_e32 v3, v3, v2, vcc
; %bb.3366:                             ;   in Loop: Header=BB4_2956 Depth=3
	s_or_b64 exec, exec, s[34:35]
.LBB4_3367:                             ;   in Loop: Header=BB4_2956 Depth=3
	s_or_b64 exec, exec, s[30:31]
.LBB4_3368:                             ;   in Loop: Header=BB4_2956 Depth=3
	s_or_b64 exec, exec, s[28:29]
	v_mul_f32_e32 v2, v4, v3
	v_and_b32_e32 v3, 0x7f800000, v2
	v_mov_b32_e32 v4, v61
	v_cmp_ne_u64_e32 vcc, s[62:63], v[3:4]
	v_and_b32_e32 v60, 0x7fffff, v2
                                        ; implicit-def: $vgpr38
	s_and_saveexec_b64 s[28:29], vcc
	s_xor_b64 s[30:31], exec, s[28:29]
	s_cbranch_execz .LBB4_3382
; %bb.3369:                             ;   in Loop: Header=BB4_2956 Depth=3
	v_and_b32_e32 v3, 0x7fffffff, v2
	v_mov_b32_e32 v4, v61
	v_cmp_gt_u64_e32 vcc, s[78:79], v[3:4]
	v_and_b32_sdwa v39, v2, s81 dst_sel:DWORD dst_unused:UNUSED_PAD src0_sel:BYTE_3 src1_sel:DWORD
                                        ; implicit-def: $vgpr38
	s_and_saveexec_b64 s[28:29], vcc
	s_xor_b64 s[34:35], exec, s[28:29]
	s_cbranch_execz .LBB4_3379
; %bb.3370:                             ;   in Loop: Header=BB4_2956 Depth=3
	v_mov_b32_e32 v38, 0
	v_cmp_ne_u32_e32 vcc, 0, v2
	s_and_saveexec_b64 s[36:37], vcc
	s_cbranch_execz .LBB4_3378
; %bb.3371:                             ;   in Loop: Header=BB4_2956 Depth=3
	v_bfe_u32 v38, v2, 23, 8
	v_cmp_gt_u32_e64 s[28:29], s47, v38
	v_sub_u32_e32 v2, 0x71, v38
	v_cmp_eq_u32_e32 vcc, 0, v38
	v_cndmask_b32_e64 v2, 0, v2, s[28:29]
	v_mov_b32_e32 v4, 0x70
	v_cndmask_b32_e32 v50, v2, v4, vcc
	v_add_u32_e32 v4, 21, v50
	v_or_b32_e32 v3, 0x800000, v60
	v_lshlrev_b64 v[51:52], v4, -1
	v_cndmask_b32_e32 v2, v3, v60, vcc
	v_mov_b32_e32 v3, v61
	v_add_u32_e32 v4, 20, v50
	v_bfi_b32 v51, v51, 0, v2
	v_lshlrev_b64 v[53:54], v4, 1
	v_lshrrev_b64 v[2:3], v50, v[2:3]
	v_bfi_b32 v52, v52, 0, 0
	v_cmp_eq_u64_e64 s[28:29], v[51:52], v[53:54]
	v_mov_b32_e32 v4, v3
	v_mov_b32_e32 v3, v2
	s_and_saveexec_b64 s[38:39], s[28:29]
; %bb.3372:                             ;   in Loop: Header=BB4_2956 Depth=3
	v_bfe_u32 v3, v2, 21, 1
	v_add_co_u32_e64 v3, s[28:29], v2, v3
	v_add_co_u32_e64 v3, s[28:29], -1, v3
; %bb.3373:                             ;   in Loop: Header=BB4_2956 Depth=3
	s_or_b64 exec, exec, s[38:39]
	v_add_u32_e32 v4, 0xffffff81, v38
	v_mov_b32_e32 v6, 0xffffff82
	v_cndmask_b32_e32 v4, v4, v6, vcc
	v_lshrrev_b32_e32 v6, 23, v2
	v_add3_u32 v38, v50, v4, v6
	v_add_u32_e32 v6, 14, v38
	v_and_b32_e32 v3, 0x1fffff, v3
	v_add_u32_e32 v60, v3, v2
	v_cmp_ne_u32_e32 vcc, 0, v6
                                        ; implicit-def: $vgpr2_vgpr3
                                        ; implicit-def: $vgpr4
	s_and_saveexec_b64 s[28:29], vcc
	s_xor_b64 s[28:29], exec, s[28:29]
; %bb.3374:                             ;   in Loop: Header=BB4_2956 Depth=3
	v_cmp_lt_u64_e32 vcc, s[88:89], v[60:61]
	v_add_u32_e32 v2, 15, v38
	v_cndmask_b32_e32 v4, v6, v2, vcc
	v_cndmask_b32_e64 v2, 0, 1, vcc
	v_lshrrev_b64 v[2:3], v2, v[60:61]
; %bb.3375:                             ;   in Loop: Header=BB4_2956 Depth=3
	s_andn2_saveexec_b64 s[28:29], s[28:29]
; %bb.3376:                             ;   in Loop: Header=BB4_2956 Depth=3
	v_mov_b32_e32 v2, v60
	v_mov_b32_e32 v3, v61
	v_bfe_u32 v4, v60, 23, 1
; %bb.3377:                             ;   in Loop: Header=BB4_2956 Depth=3
	s_or_b64 exec, exec, s[28:29]
	v_lshrrev_b64 v[2:3], 21, v[2:3]
	v_cmp_gt_i32_e32 vcc, 32, v4
	v_cndmask_b32_e32 v3, 0, v3, vcc
	v_cndmask_b32_e32 v2, 3, v2, vcc
	v_cmp_eq_u64_e64 s[28:29], 0, v[2:3]
	v_min_i32_e32 v3, 31, v4
	v_lshlrev_b32_e32 v3, 2, v3
	v_cmp_eq_u32_e32 vcc, 0, v4
	v_and_b32_e32 v3, 0xfc, v3
	v_and_or_b32 v2, v2, 3, v3
	s_and_b64 s[28:29], vcc, s[28:29]
	v_cndmask_b32_e64 v2, v2, 0, s[28:29]
	v_or_b32_e32 v38, v2, v39
.LBB4_3378:                             ;   in Loop: Header=BB4_2956 Depth=3
	s_or_b64 exec, exec, s[36:37]
                                        ; implicit-def: $vgpr39
.LBB4_3379:                             ;   in Loop: Header=BB4_2956 Depth=3
	s_andn2_saveexec_b64 s[28:29], s[34:35]
; %bb.3380:                             ;   in Loop: Header=BB4_2956 Depth=3
	v_or_b32_e32 v38, 0x7b, v39
; %bb.3381:                             ;   in Loop: Header=BB4_2956 Depth=3
	s_or_b64 exec, exec, s[28:29]
                                        ; implicit-def: $vgpr2
.LBB4_3382:                             ;   in Loop: Header=BB4_2956 Depth=3
	s_andn2_saveexec_b64 s[28:29], s[30:31]
	s_cbranch_execz .LBB4_3388
; %bb.3383:                             ;   in Loop: Header=BB4_2956 Depth=3
	v_cmp_ne_u64_e32 vcc, 0, v[60:61]
                                        ; implicit-def: $vgpr38
	s_and_saveexec_b64 s[30:31], vcc
	s_xor_b64 vcc, exec, s[30:31]
; %bb.3384:                             ;   in Loop: Header=BB4_2956 Depth=3
	v_or_b32_sdwa v38, v2, s44 dst_sel:DWORD dst_unused:UNUSED_PAD src0_sel:BYTE_3 src1_sel:DWORD
                                        ; implicit-def: $vgpr2
; %bb.3385:                             ;   in Loop: Header=BB4_2956 Depth=3
	s_andn2_saveexec_b64 s[30:31], vcc
; %bb.3386:                             ;   in Loop: Header=BB4_2956 Depth=3
	v_cmp_lt_i32_e32 vcc, -1, v2
	v_bfrev_b32_e32 v2, 0.5
	v_mov_b32_e32 v3, 0x7c
	v_cndmask_b32_e32 v38, v2, v3, vcc
; %bb.3387:                             ;   in Loop: Header=BB4_2956 Depth=3
	s_or_b64 exec, exec, s[30:31]
.LBB4_3388:                             ;   in Loop: Header=BB4_2956 Depth=3
	s_or_b64 exec, exec, s[28:29]
	v_mov_b32_e32 v60, v23
	v_cmp_ne_u16_sdwa vcc, v23, v61 src0_sel:BYTE_0 src1_sel:DWORD
	v_mov_b32_e32 v3, 0
	v_mov_b32_e32 v2, 0
	s_and_saveexec_b64 s[28:29], vcc
	s_cbranch_execz .LBB4_3396
; %bb.3389:                             ;   in Loop: Header=BB4_2956 Depth=3
	v_cmp_ne_u16_sdwa vcc, v23, s81 src0_sel:BYTE_0 src1_sel:DWORD
	v_bfrev_b32_e32 v2, 1
	s_and_saveexec_b64 s[30:31], vcc
	s_cbranch_execz .LBB4_3395
; %bb.3390:                             ;   in Loop: Header=BB4_2956 Depth=3
	v_and_b32_e32 v2, 0x7c, v23
	v_and_b32_e32 v4, 3, v23
	v_cmp_ne_u32_e32 vcc, s71, v2
                                        ; implicit-def: $vgpr2
	s_and_saveexec_b64 s[34:35], vcc
	s_xor_b64 s[34:35], exec, s[34:35]
	s_cbranch_execz .LBB4_3392
; %bb.3391:                             ;   in Loop: Header=BB4_2956 Depth=3
	v_ffbh_u32_e32 v6, v4
	v_min_u32_e32 v6, 32, v6
	v_bfe_u32 v2, v23, 2, 5
	v_subrev_u32_e32 v7, 29, v6
	v_lshlrev_b64 v[50:51], v7, v[60:61]
	v_sub_u32_e32 v6, 30, v6
	v_cmp_eq_u32_e32 vcc, 0, v2
	v_cndmask_b32_e32 v2, v2, v6, vcc
	v_lshlrev_b32_e32 v6, 24, v23
	v_and_b32_e32 v7, 3, v50
	v_and_b32_e32 v6, 0x80000000, v6
	v_cndmask_b32_e32 v4, v4, v7, vcc
	v_lshl_add_u32 v2, v2, 23, v6
	v_lshl_or_b32 v2, v4, 21, v2
	v_add_u32_e32 v2, 0x38000000, v2
                                        ; implicit-def: $vgpr4
.LBB4_3392:                             ;   in Loop: Header=BB4_2956 Depth=3
	s_andn2_saveexec_b64 s[34:35], s[34:35]
; %bb.3393:                             ;   in Loop: Header=BB4_2956 Depth=3
	v_mov_b32_e32 v2, -1
	v_cmp_gt_i16_sdwa vcc, sext(v23), v2 src0_sel:BYTE_0 src1_sel:DWORD
	v_mov_b32_e32 v2, 0xff800000
	v_cndmask_b32_e32 v2, v2, v47, vcc
	v_cmp_eq_u32_e32 vcc, 0, v4
	v_mov_b32_e32 v4, 0x7f800001
	v_cndmask_b32_e32 v2, v4, v2, vcc
; %bb.3394:                             ;   in Loop: Header=BB4_2956 Depth=3
	s_or_b64 exec, exec, s[34:35]
.LBB4_3395:                             ;   in Loop: Header=BB4_2956 Depth=3
	s_or_b64 exec, exec, s[30:31]
.LBB4_3396:                             ;   in Loop: Header=BB4_2956 Depth=3
	s_or_b64 exec, exec, s[28:29]
	v_cmp_ne_u16_sdwa vcc, v19, v61 src0_sel:BYTE_0 src1_sel:DWORD
	s_and_saveexec_b64 s[28:29], vcc
	s_cbranch_execz .LBB4_3404
; %bb.3397:                             ;   in Loop: Header=BB4_2956 Depth=3
	v_cmp_ne_u16_sdwa vcc, v19, s81 src0_sel:BYTE_0 src1_sel:DWORD
	v_bfrev_b32_e32 v3, 1
	s_and_saveexec_b64 s[30:31], vcc
	s_cbranch_execz .LBB4_3403
; %bb.3398:                             ;   in Loop: Header=BB4_2956 Depth=3
	v_and_b32_e32 v3, 0x7c, v19
	v_and_b32_e32 v4, 3, v19
	v_cmp_ne_u32_e32 vcc, s71, v3
                                        ; implicit-def: $vgpr3
	s_and_saveexec_b64 s[34:35], vcc
	s_xor_b64 s[34:35], exec, s[34:35]
	s_cbranch_execz .LBB4_3400
; %bb.3399:                             ;   in Loop: Header=BB4_2956 Depth=3
	v_ffbh_u32_e32 v6, v4
	v_min_u32_e32 v6, 32, v6
	v_mov_b32_e32 v50, v19
	v_mov_b32_e32 v51, v61
	v_bfe_u32 v3, v19, 2, 5
	v_subrev_u32_e32 v7, 29, v6
	v_lshlrev_b64 v[50:51], v7, v[50:51]
	v_sub_u32_e32 v6, 30, v6
	v_cmp_eq_u32_e32 vcc, 0, v3
	v_cndmask_b32_e32 v3, v3, v6, vcc
	v_lshlrev_b32_e32 v6, 24, v19
	v_and_b32_e32 v7, 3, v50
	v_and_b32_e32 v6, 0x80000000, v6
	v_cndmask_b32_e32 v4, v4, v7, vcc
	v_lshl_add_u32 v3, v3, 23, v6
	v_lshl_or_b32 v3, v4, 21, v3
	v_add_u32_e32 v3, 0x38000000, v3
                                        ; implicit-def: $vgpr4
.LBB4_3400:                             ;   in Loop: Header=BB4_2956 Depth=3
	s_andn2_saveexec_b64 s[34:35], s[34:35]
; %bb.3401:                             ;   in Loop: Header=BB4_2956 Depth=3
	v_mov_b32_e32 v3, -1
	v_cmp_gt_i16_sdwa vcc, sext(v19), v3 src0_sel:BYTE_0 src1_sel:DWORD
	v_mov_b32_e32 v3, 0xff800000
	v_cndmask_b32_e32 v3, v3, v47, vcc
	v_cmp_eq_u32_e32 vcc, 0, v4
	v_mov_b32_e32 v4, 0x7f800001
	v_cndmask_b32_e32 v3, v4, v3, vcc
; %bb.3402:                             ;   in Loop: Header=BB4_2956 Depth=3
	s_or_b64 exec, exec, s[34:35]
.LBB4_3403:                             ;   in Loop: Header=BB4_2956 Depth=3
	s_or_b64 exec, exec, s[30:31]
.LBB4_3404:                             ;   in Loop: Header=BB4_2956 Depth=3
	s_or_b64 exec, exec, s[28:29]
	v_mul_f32_e32 v4, v2, v3
	v_and_b32_e32 v50, 0x7f800000, v4
	v_mov_b32_e32 v51, v61
	v_cmp_ne_u64_e32 vcc, s[62:63], v[50:51]
	v_and_b32_e32 v2, 0x7fffff, v4
	v_mov_b32_e32 v3, v61
                                        ; implicit-def: $vgpr39
	s_and_saveexec_b64 s[28:29], vcc
	s_xor_b64 s[30:31], exec, s[28:29]
	s_cbranch_execz .LBB4_3418
; %bb.3405:                             ;   in Loop: Header=BB4_2956 Depth=3
	v_and_b32_e32 v50, 0x7fffffff, v4
	v_mov_b32_e32 v51, v61
	v_cmp_gt_u64_e32 vcc, s[78:79], v[50:51]
	v_and_b32_sdwa v50, v4, s81 dst_sel:DWORD dst_unused:UNUSED_PAD src0_sel:BYTE_3 src1_sel:DWORD
                                        ; implicit-def: $vgpr39
	s_and_saveexec_b64 s[28:29], vcc
	s_xor_b64 s[34:35], exec, s[28:29]
	s_cbranch_execz .LBB4_3415
; %bb.3406:                             ;   in Loop: Header=BB4_2956 Depth=3
	v_mov_b32_e32 v39, 0
	v_cmp_ne_u32_e32 vcc, 0, v4
	s_and_saveexec_b64 s[36:37], vcc
	s_cbranch_execz .LBB4_3414
; %bb.3407:                             ;   in Loop: Header=BB4_2956 Depth=3
	v_bfe_u32 v39, v4, 23, 8
	v_cmp_gt_u32_e64 s[28:29], s47, v39
	v_sub_u32_e32 v4, 0x71, v39
	v_cmp_eq_u32_e32 vcc, 0, v39
	v_cndmask_b32_e64 v4, 0, v4, s[28:29]
	v_mov_b32_e32 v7, 0x70
	v_cndmask_b32_e32 v51, v4, v7, vcc
	v_add_u32_e32 v4, 21, v51
	v_or_b32_e32 v6, 0x800000, v2
	v_lshlrev_b64 v[52:53], v4, -1
	v_cndmask_b32_e32 v2, v6, v2, vcc
	v_add_u32_e32 v4, 20, v51
	v_bfi_b32 v52, v52, 0, v2
	v_lshlrev_b64 v[54:55], v4, 1
	v_lshrrev_b64 v[2:3], v51, v[2:3]
	v_bfi_b32 v53, v53, 0, 0
	v_cmp_eq_u64_e64 s[28:29], v[52:53], v[54:55]
	v_mov_b32_e32 v4, v3
	v_mov_b32_e32 v3, v2
	s_and_saveexec_b64 s[38:39], s[28:29]
; %bb.3408:                             ;   in Loop: Header=BB4_2956 Depth=3
	v_bfe_u32 v3, v2, 21, 1
	v_add_co_u32_e64 v3, s[28:29], v2, v3
	v_add_co_u32_e64 v3, s[28:29], -1, v3
; %bb.3409:                             ;   in Loop: Header=BB4_2956 Depth=3
	s_or_b64 exec, exec, s[38:39]
	v_add_u32_e32 v4, 0xffffff81, v39
	v_mov_b32_e32 v6, 0xffffff82
	v_cndmask_b32_e32 v4, v4, v6, vcc
	v_lshrrev_b32_e32 v6, 23, v2
	v_add3_u32 v39, v51, v4, v6
	v_add_u32_e32 v6, 14, v39
	v_and_b32_e32 v3, 0x1fffff, v3
	v_add_u32_e32 v2, v3, v2
	v_mov_b32_e32 v3, v61
	v_cmp_ne_u32_e32 vcc, 0, v6
                                        ; implicit-def: $vgpr4
	s_and_saveexec_b64 s[28:29], vcc
	s_xor_b64 s[28:29], exec, s[28:29]
; %bb.3410:                             ;   in Loop: Header=BB4_2956 Depth=3
	v_cmp_lt_u64_e32 vcc, s[88:89], v[2:3]
	v_add_u32_e32 v4, 15, v39
	v_cndmask_b32_e32 v4, v6, v4, vcc
	v_cndmask_b32_e64 v6, 0, 1, vcc
	v_lshrrev_b64 v[2:3], v6, v[2:3]
; %bb.3411:                             ;   in Loop: Header=BB4_2956 Depth=3
	s_andn2_saveexec_b64 s[28:29], s[28:29]
; %bb.3412:                             ;   in Loop: Header=BB4_2956 Depth=3
	v_bfe_u32 v4, v2, 23, 1
; %bb.3413:                             ;   in Loop: Header=BB4_2956 Depth=3
	s_or_b64 exec, exec, s[28:29]
	v_lshrrev_b64 v[2:3], 21, v[2:3]
	v_cmp_gt_i32_e32 vcc, 32, v4
	v_cndmask_b32_e32 v3, 0, v3, vcc
	v_cndmask_b32_e32 v2, 3, v2, vcc
	v_cmp_eq_u64_e64 s[28:29], 0, v[2:3]
	v_min_i32_e32 v3, 31, v4
	v_lshlrev_b32_e32 v3, 2, v3
	v_cmp_eq_u32_e32 vcc, 0, v4
	v_and_b32_e32 v3, 0xfc, v3
	v_and_or_b32 v2, v2, 3, v3
	s_and_b64 s[28:29], vcc, s[28:29]
	v_cndmask_b32_e64 v2, v2, 0, s[28:29]
	v_or_b32_e32 v39, v2, v50
.LBB4_3414:                             ;   in Loop: Header=BB4_2956 Depth=3
	s_or_b64 exec, exec, s[36:37]
                                        ; implicit-def: $vgpr50
.LBB4_3415:                             ;   in Loop: Header=BB4_2956 Depth=3
	s_andn2_saveexec_b64 s[28:29], s[34:35]
; %bb.3416:                             ;   in Loop: Header=BB4_2956 Depth=3
	v_or_b32_e32 v39, 0x7b, v50
; %bb.3417:                             ;   in Loop: Header=BB4_2956 Depth=3
	s_or_b64 exec, exec, s[28:29]
                                        ; implicit-def: $vgpr4
                                        ; implicit-def: $vgpr2_vgpr3
.LBB4_3418:                             ;   in Loop: Header=BB4_2956 Depth=3
	s_andn2_saveexec_b64 s[28:29], s[30:31]
	s_cbranch_execz .LBB4_3424
; %bb.3419:                             ;   in Loop: Header=BB4_2956 Depth=3
	v_cmp_ne_u64_e32 vcc, 0, v[2:3]
                                        ; implicit-def: $vgpr39
	s_and_saveexec_b64 s[30:31], vcc
	s_xor_b64 vcc, exec, s[30:31]
; %bb.3420:                             ;   in Loop: Header=BB4_2956 Depth=3
	v_or_b32_sdwa v39, v4, s44 dst_sel:DWORD dst_unused:UNUSED_PAD src0_sel:BYTE_3 src1_sel:DWORD
                                        ; implicit-def: $vgpr4
; %bb.3421:                             ;   in Loop: Header=BB4_2956 Depth=3
	s_andn2_saveexec_b64 s[30:31], vcc
; %bb.3422:                             ;   in Loop: Header=BB4_2956 Depth=3
	v_cmp_lt_i32_e32 vcc, -1, v4
	v_bfrev_b32_e32 v2, 0.5
	v_mov_b32_e32 v3, 0x7c
	v_cndmask_b32_e32 v39, v2, v3, vcc
; %bb.3423:                             ;   in Loop: Header=BB4_2956 Depth=3
	s_or_b64 exec, exec, s[30:31]
.LBB4_3424:                             ;   in Loop: Header=BB4_2956 Depth=3
	s_or_b64 exec, exec, s[28:29]
	v_lshrrev_b16_e32 v2, 8, v60
	v_cmp_ne_u16_e32 vcc, 0, v2
	v_mov_b32_e32 v4, 0
	v_mov_b32_e32 v50, 0
	s_and_saveexec_b64 s[28:29], vcc
	s_cbranch_execz .LBB4_3432
; %bb.3425:                             ;   in Loop: Header=BB4_2956 Depth=3
	v_cmp_ne_u16_e32 vcc, s81, v2
	v_bfrev_b32_e32 v50, 1
	s_and_saveexec_b64 s[30:31], vcc
	s_cbranch_execz .LBB4_3431
; %bb.3426:                             ;   in Loop: Header=BB4_2956 Depth=3
	v_and_b32_e32 v3, 0x7c, v2
	v_and_b32_e32 v6, 3, v2
	v_cmp_ne_u32_e32 vcc, s71, v3
                                        ; implicit-def: $vgpr50
	s_and_saveexec_b64 s[34:35], vcc
	s_xor_b64 s[34:35], exec, s[34:35]
	s_cbranch_execz .LBB4_3428
; %bb.3427:                             ;   in Loop: Header=BB4_2956 Depth=3
	v_ffbh_u32_e32 v24, v6
	v_min_u32_e32 v24, 32, v24
	v_mov_b32_e32 v3, v61
	v_subrev_u32_e32 v25, 29, v24
	v_bfe_u32 v7, v2, 2, 5
	v_lshlrev_b64 v[2:3], v25, v[2:3]
	v_cmp_eq_u32_e32 vcc, 0, v7
	v_and_b32_e32 v2, 3, v2
	v_sub_u32_e32 v3, 30, v24
	v_cndmask_b32_e32 v2, v6, v2, vcc
	v_lshlrev_b32_e32 v6, 16, v60
	v_cndmask_b32_e32 v3, v7, v3, vcc
	v_and_b32_e32 v6, 0x80000000, v6
	v_lshl_add_u32 v3, v3, 23, v6
	v_lshl_or_b32 v2, v2, 21, v3
	v_add_u32_e32 v50, 0x38000000, v2
                                        ; implicit-def: $vgpr6
.LBB4_3428:                             ;   in Loop: Header=BB4_2956 Depth=3
	s_andn2_saveexec_b64 s[34:35], s[34:35]
; %bb.3429:                             ;   in Loop: Header=BB4_2956 Depth=3
	v_cmp_lt_i16_e32 vcc, -1, v60
	v_mov_b32_e32 v2, 0xff800000
	v_cndmask_b32_e32 v2, v2, v47, vcc
	v_cmp_eq_u32_e32 vcc, 0, v6
	v_mov_b32_e32 v3, 0x7f800001
	v_cndmask_b32_e32 v50, v3, v2, vcc
; %bb.3430:                             ;   in Loop: Header=BB4_2956 Depth=3
	s_or_b64 exec, exec, s[34:35]
.LBB4_3431:                             ;   in Loop: Header=BB4_2956 Depth=3
	s_or_b64 exec, exec, s[30:31]
.LBB4_3432:                             ;   in Loop: Header=BB4_2956 Depth=3
	s_or_b64 exec, exec, s[28:29]
	v_lshrrev_b16_e32 v2, 8, v19
	v_cmp_ne_u16_e32 vcc, 0, v2
	s_and_saveexec_b64 s[28:29], vcc
	s_cbranch_execz .LBB4_3440
; %bb.3433:                             ;   in Loop: Header=BB4_2956 Depth=3
	v_cmp_ne_u16_e32 vcc, s81, v2
	v_bfrev_b32_e32 v4, 1
	s_and_saveexec_b64 s[30:31], vcc
	s_cbranch_execz .LBB4_3439
; %bb.3434:                             ;   in Loop: Header=BB4_2956 Depth=3
	v_and_b32_e32 v3, 0x7c, v2
	v_and_b32_e32 v6, 3, v2
	v_cmp_ne_u32_e32 vcc, s71, v3
                                        ; implicit-def: $vgpr4
	s_and_saveexec_b64 s[34:35], vcc
	s_xor_b64 s[34:35], exec, s[34:35]
	s_cbranch_execz .LBB4_3436
; %bb.3435:                             ;   in Loop: Header=BB4_2956 Depth=3
	v_ffbh_u32_e32 v7, v6
	v_min_u32_e32 v7, 32, v7
	v_mov_b32_e32 v3, v61
	v_subrev_u32_e32 v24, 29, v7
	v_bfe_u32 v4, v2, 2, 5
	v_lshlrev_b64 v[2:3], v24, v[2:3]
	v_sub_u32_e32 v3, 30, v7
	v_cmp_eq_u32_e32 vcc, 0, v4
	v_cndmask_b32_e32 v3, v4, v3, vcc
	v_lshlrev_b32_e32 v4, 16, v19
	v_and_b32_e32 v2, 3, v2
	v_and_b32_e32 v4, 0x80000000, v4
	v_cndmask_b32_e32 v2, v6, v2, vcc
	v_lshl_add_u32 v3, v3, 23, v4
	v_lshl_or_b32 v2, v2, 21, v3
	v_add_u32_e32 v4, 0x38000000, v2
                                        ; implicit-def: $vgpr6
.LBB4_3436:                             ;   in Loop: Header=BB4_2956 Depth=3
	s_andn2_saveexec_b64 s[34:35], s[34:35]
; %bb.3437:                             ;   in Loop: Header=BB4_2956 Depth=3
	v_cmp_lt_i16_e32 vcc, -1, v19
	v_mov_b32_e32 v2, 0xff800000
	v_cndmask_b32_e32 v2, v2, v47, vcc
	v_cmp_eq_u32_e32 vcc, 0, v6
	v_mov_b32_e32 v3, 0x7f800001
	v_cndmask_b32_e32 v4, v3, v2, vcc
; %bb.3438:                             ;   in Loop: Header=BB4_2956 Depth=3
	s_or_b64 exec, exec, s[34:35]
.LBB4_3439:                             ;   in Loop: Header=BB4_2956 Depth=3
	s_or_b64 exec, exec, s[30:31]
.LBB4_3440:                             ;   in Loop: Header=BB4_2956 Depth=3
	s_or_b64 exec, exec, s[28:29]
	v_mul_f32_e32 v2, v50, v4
	v_and_b32_e32 v3, 0x7f800000, v2
	v_mov_b32_e32 v4, v61
	v_cmp_ne_u64_e32 vcc, s[62:63], v[3:4]
	v_and_b32_e32 v60, 0x7fffff, v2
                                        ; implicit-def: $vgpr50
	s_and_saveexec_b64 s[28:29], vcc
	s_xor_b64 s[30:31], exec, s[28:29]
	s_cbranch_execz .LBB4_3454
; %bb.3441:                             ;   in Loop: Header=BB4_2956 Depth=3
	v_and_b32_e32 v3, 0x7fffffff, v2
	v_mov_b32_e32 v4, v61
	v_cmp_gt_u64_e32 vcc, s[78:79], v[3:4]
	v_and_b32_sdwa v51, v2, s81 dst_sel:DWORD dst_unused:UNUSED_PAD src0_sel:BYTE_3 src1_sel:DWORD
                                        ; implicit-def: $vgpr50
	s_and_saveexec_b64 s[28:29], vcc
	s_xor_b64 s[34:35], exec, s[28:29]
	s_cbranch_execz .LBB4_3451
; %bb.3442:                             ;   in Loop: Header=BB4_2956 Depth=3
	v_mov_b32_e32 v50, 0
	v_cmp_ne_u32_e32 vcc, 0, v2
	s_and_saveexec_b64 s[36:37], vcc
	s_cbranch_execz .LBB4_3450
; %bb.3443:                             ;   in Loop: Header=BB4_2956 Depth=3
	v_bfe_u32 v50, v2, 23, 8
	v_cmp_gt_u32_e64 s[28:29], s47, v50
	v_sub_u32_e32 v2, 0x71, v50
	v_cmp_eq_u32_e32 vcc, 0, v50
	v_cndmask_b32_e64 v2, 0, v2, s[28:29]
	v_mov_b32_e32 v4, 0x70
	v_cndmask_b32_e32 v52, v2, v4, vcc
	v_add_u32_e32 v4, 21, v52
	v_or_b32_e32 v3, 0x800000, v60
	v_lshlrev_b64 v[53:54], v4, -1
	v_cndmask_b32_e32 v2, v3, v60, vcc
	v_mov_b32_e32 v3, v61
	v_add_u32_e32 v4, 20, v52
	v_bfi_b32 v53, v53, 0, v2
	v_lshlrev_b64 v[42:43], v4, 1
	v_lshrrev_b64 v[2:3], v52, v[2:3]
	v_bfi_b32 v54, v54, 0, 0
	v_cmp_eq_u64_e64 s[28:29], v[53:54], v[42:43]
	v_mov_b32_e32 v4, v3
	v_mov_b32_e32 v3, v2
	s_and_saveexec_b64 s[38:39], s[28:29]
; %bb.3444:                             ;   in Loop: Header=BB4_2956 Depth=3
	v_bfe_u32 v3, v2, 21, 1
	v_add_co_u32_e64 v3, s[28:29], v2, v3
	v_add_co_u32_e64 v3, s[28:29], -1, v3
; %bb.3445:                             ;   in Loop: Header=BB4_2956 Depth=3
	s_or_b64 exec, exec, s[38:39]
	v_add_u32_e32 v4, 0xffffff81, v50
	v_mov_b32_e32 v6, 0xffffff82
	v_cndmask_b32_e32 v4, v4, v6, vcc
	v_lshrrev_b32_e32 v6, 23, v2
	v_add3_u32 v50, v52, v4, v6
	v_add_u32_e32 v6, 14, v50
	v_and_b32_e32 v3, 0x1fffff, v3
	v_add_u32_e32 v60, v3, v2
	v_cmp_ne_u32_e32 vcc, 0, v6
                                        ; implicit-def: $vgpr2_vgpr3
                                        ; implicit-def: $vgpr4
	s_and_saveexec_b64 s[28:29], vcc
	s_xor_b64 s[28:29], exec, s[28:29]
; %bb.3446:                             ;   in Loop: Header=BB4_2956 Depth=3
	v_cmp_lt_u64_e32 vcc, s[88:89], v[60:61]
	v_add_u32_e32 v2, 15, v50
	v_cndmask_b32_e32 v4, v6, v2, vcc
	v_cndmask_b32_e64 v2, 0, 1, vcc
	v_lshrrev_b64 v[2:3], v2, v[60:61]
; %bb.3447:                             ;   in Loop: Header=BB4_2956 Depth=3
	s_andn2_saveexec_b64 s[28:29], s[28:29]
; %bb.3448:                             ;   in Loop: Header=BB4_2956 Depth=3
	v_mov_b32_e32 v2, v60
	v_mov_b32_e32 v3, v61
	v_bfe_u32 v4, v60, 23, 1
; %bb.3449:                             ;   in Loop: Header=BB4_2956 Depth=3
	s_or_b64 exec, exec, s[28:29]
	v_lshrrev_b64 v[2:3], 21, v[2:3]
	v_cmp_gt_i32_e32 vcc, 32, v4
	v_cndmask_b32_e32 v3, 0, v3, vcc
	v_cndmask_b32_e32 v2, 3, v2, vcc
	v_cmp_eq_u64_e64 s[28:29], 0, v[2:3]
	v_min_i32_e32 v3, 31, v4
	v_lshlrev_b32_e32 v3, 2, v3
	v_cmp_eq_u32_e32 vcc, 0, v4
	v_and_b32_e32 v3, 0xfc, v3
	v_and_or_b32 v2, v2, 3, v3
	s_and_b64 s[28:29], vcc, s[28:29]
	v_cndmask_b32_e64 v2, v2, 0, s[28:29]
	v_or_b32_e32 v50, v2, v51
.LBB4_3450:                             ;   in Loop: Header=BB4_2956 Depth=3
	s_or_b64 exec, exec, s[36:37]
                                        ; implicit-def: $vgpr51
.LBB4_3451:                             ;   in Loop: Header=BB4_2956 Depth=3
	s_andn2_saveexec_b64 s[28:29], s[34:35]
; %bb.3452:                             ;   in Loop: Header=BB4_2956 Depth=3
	v_or_b32_e32 v50, 0x7b, v51
; %bb.3453:                             ;   in Loop: Header=BB4_2956 Depth=3
	s_or_b64 exec, exec, s[28:29]
                                        ; implicit-def: $vgpr2
.LBB4_3454:                             ;   in Loop: Header=BB4_2956 Depth=3
	s_andn2_saveexec_b64 s[28:29], s[30:31]
	s_cbranch_execz .LBB4_3460
; %bb.3455:                             ;   in Loop: Header=BB4_2956 Depth=3
	v_cmp_ne_u64_e32 vcc, 0, v[60:61]
                                        ; implicit-def: $vgpr50
	s_and_saveexec_b64 s[30:31], vcc
	s_xor_b64 vcc, exec, s[30:31]
; %bb.3456:                             ;   in Loop: Header=BB4_2956 Depth=3
	v_or_b32_sdwa v50, v2, s44 dst_sel:DWORD dst_unused:UNUSED_PAD src0_sel:BYTE_3 src1_sel:DWORD
                                        ; implicit-def: $vgpr2
; %bb.3457:                             ;   in Loop: Header=BB4_2956 Depth=3
	s_andn2_saveexec_b64 s[30:31], vcc
; %bb.3458:                             ;   in Loop: Header=BB4_2956 Depth=3
	v_cmp_lt_i32_e32 vcc, -1, v2
	v_bfrev_b32_e32 v2, 0.5
	v_mov_b32_e32 v3, 0x7c
	v_cndmask_b32_e32 v50, v2, v3, vcc
; %bb.3459:                             ;   in Loop: Header=BB4_2956 Depth=3
	s_or_b64 exec, exec, s[30:31]
.LBB4_3460:                             ;   in Loop: Header=BB4_2956 Depth=3
	s_or_b64 exec, exec, s[28:29]
	v_lshrrev_b32_e32 v2, 16, v23
	v_cmp_ne_u16_sdwa vcc, v2, v61 src0_sel:BYTE_0 src1_sel:DWORD
	v_mov_b32_e32 v3, 0
	v_mov_b32_e32 v4, 0
	s_and_saveexec_b64 s[28:29], vcc
	s_cbranch_execz .LBB4_3468
; %bb.3461:                             ;   in Loop: Header=BB4_2956 Depth=3
	v_cmp_ne_u16_sdwa vcc, v2, s81 src0_sel:BYTE_0 src1_sel:DWORD
	v_bfrev_b32_e32 v4, 1
	s_and_saveexec_b64 s[30:31], vcc
	s_cbranch_execz .LBB4_3467
; %bb.3462:                             ;   in Loop: Header=BB4_2956 Depth=3
	v_and_b32_e32 v4, 0x7c0000, v23
	v_bfe_u32 v6, v23, 16, 2
	v_cmp_ne_u32_e32 vcc, s45, v4
                                        ; implicit-def: $vgpr4
	s_and_saveexec_b64 s[34:35], vcc
	s_xor_b64 s[34:35], exec, s[34:35]
	s_cbranch_execz .LBB4_3464
; %bb.3463:                             ;   in Loop: Header=BB4_2956 Depth=3
	v_ffbh_u32_e32 v7, v6
	v_min_u32_e32 v7, 32, v7
	v_subrev_u32_e32 v24, 29, v7
	v_lshlrev_b64 v[51:52], v24, v[2:3]
	v_bfe_u32 v4, v23, 18, 5
	v_sub_u32_e32 v2, 30, v7
	v_and_b32_e32 v7, 3, v51
	v_cmp_eq_u32_e32 vcc, 0, v4
	v_cndmask_b32_e32 v2, v4, v2, vcc
	v_cndmask_b32_e32 v4, v6, v7, vcc
	v_lshlrev_b32_e32 v6, 8, v23
	v_and_b32_e32 v6, 0x80000000, v6
	v_lshl_add_u32 v2, v2, 23, v6
	v_lshl_or_b32 v2, v4, 21, v2
	v_add_u32_e32 v4, 0x38000000, v2
                                        ; implicit-def: $vgpr6
                                        ; implicit-def: $vgpr2
.LBB4_3464:                             ;   in Loop: Header=BB4_2956 Depth=3
	s_andn2_saveexec_b64 s[34:35], s[34:35]
; %bb.3465:                             ;   in Loop: Header=BB4_2956 Depth=3
	v_mov_b32_e32 v4, -1
	v_cmp_gt_i16_sdwa vcc, sext(v2), v4 src0_sel:BYTE_0 src1_sel:DWORD
	v_mov_b32_e32 v2, 0xff800000
	v_cndmask_b32_e32 v2, v2, v47, vcc
	v_cmp_eq_u32_e32 vcc, 0, v6
	v_mov_b32_e32 v4, 0x7f800001
	v_cndmask_b32_e32 v4, v4, v2, vcc
; %bb.3466:                             ;   in Loop: Header=BB4_2956 Depth=3
	s_or_b64 exec, exec, s[34:35]
.LBB4_3467:                             ;   in Loop: Header=BB4_2956 Depth=3
	s_or_b64 exec, exec, s[30:31]
.LBB4_3468:                             ;   in Loop: Header=BB4_2956 Depth=3
	s_or_b64 exec, exec, s[28:29]
	v_lshrrev_b32_e32 v2, 16, v19
	v_cmp_ne_u16_sdwa vcc, v2, v61 src0_sel:BYTE_0 src1_sel:DWORD
	s_and_saveexec_b64 s[28:29], vcc
	s_cbranch_execz .LBB4_3476
; %bb.3469:                             ;   in Loop: Header=BB4_2956 Depth=3
	v_cmp_ne_u16_sdwa vcc, v2, s81 src0_sel:BYTE_0 src1_sel:DWORD
	v_bfrev_b32_e32 v3, 1
	s_and_saveexec_b64 s[30:31], vcc
	s_cbranch_execz .LBB4_3475
; %bb.3470:                             ;   in Loop: Header=BB4_2956 Depth=3
	v_and_b32_e32 v3, 0x7c0000, v19
	v_bfe_u32 v6, v19, 16, 2
	v_cmp_ne_u32_e32 vcc, s45, v3
                                        ; implicit-def: $vgpr3
	s_and_saveexec_b64 s[34:35], vcc
	s_xor_b64 s[34:35], exec, s[34:35]
	s_cbranch_execz .LBB4_3472
; %bb.3471:                             ;   in Loop: Header=BB4_2956 Depth=3
	v_ffbh_u32_e32 v3, v6
	v_min_u32_e32 v24, 32, v3
	v_subrev_u32_e32 v3, 29, v24
	v_lshlrev_b64 v[2:3], v3, v[2:3]
	v_bfe_u32 v7, v19, 18, 5
	v_and_b32_e32 v2, 3, v2
	v_cmp_eq_u32_e32 vcc, 0, v7
	v_sub_u32_e32 v3, 30, v24
	v_cndmask_b32_e32 v2, v6, v2, vcc
	v_lshlrev_b32_e32 v6, 8, v19
	v_cndmask_b32_e32 v3, v7, v3, vcc
	v_and_b32_e32 v6, 0x80000000, v6
	v_lshl_add_u32 v3, v3, 23, v6
	v_lshl_or_b32 v2, v2, 21, v3
	v_add_u32_e32 v3, 0x38000000, v2
                                        ; implicit-def: $vgpr6
                                        ; implicit-def: $vgpr2
.LBB4_3472:                             ;   in Loop: Header=BB4_2956 Depth=3
	s_andn2_saveexec_b64 s[34:35], s[34:35]
; %bb.3473:                             ;   in Loop: Header=BB4_2956 Depth=3
	v_mov_b32_e32 v3, -1
	v_cmp_gt_i16_sdwa vcc, sext(v2), v3 src0_sel:BYTE_0 src1_sel:DWORD
	v_mov_b32_e32 v2, 0xff800000
	v_cndmask_b32_e32 v2, v2, v47, vcc
	v_cmp_eq_u32_e32 vcc, 0, v6
	v_mov_b32_e32 v3, 0x7f800001
	v_cndmask_b32_e32 v3, v3, v2, vcc
; %bb.3474:                             ;   in Loop: Header=BB4_2956 Depth=3
	s_or_b64 exec, exec, s[34:35]
.LBB4_3475:                             ;   in Loop: Header=BB4_2956 Depth=3
	s_or_b64 exec, exec, s[30:31]
.LBB4_3476:                             ;   in Loop: Header=BB4_2956 Depth=3
	s_or_b64 exec, exec, s[28:29]
	v_mul_f32_e32 v2, v4, v3
	v_and_b32_e32 v3, 0x7f800000, v2
	v_mov_b32_e32 v4, v61
	v_cmp_ne_u64_e32 vcc, s[62:63], v[3:4]
	v_and_b32_e32 v60, 0x7fffff, v2
                                        ; implicit-def: $vgpr51
	s_and_saveexec_b64 s[28:29], vcc
	s_xor_b64 s[30:31], exec, s[28:29]
	s_cbranch_execz .LBB4_3490
; %bb.3477:                             ;   in Loop: Header=BB4_2956 Depth=3
	v_and_b32_e32 v3, 0x7fffffff, v2
	v_mov_b32_e32 v4, v61
	v_cmp_gt_u64_e32 vcc, s[78:79], v[3:4]
	v_and_b32_sdwa v52, v2, s81 dst_sel:DWORD dst_unused:UNUSED_PAD src0_sel:BYTE_3 src1_sel:DWORD
                                        ; implicit-def: $vgpr51
	s_and_saveexec_b64 s[28:29], vcc
	s_xor_b64 s[34:35], exec, s[28:29]
	s_cbranch_execz .LBB4_3487
; %bb.3478:                             ;   in Loop: Header=BB4_2956 Depth=3
	v_mov_b32_e32 v51, 0
	v_cmp_ne_u32_e32 vcc, 0, v2
	s_and_saveexec_b64 s[36:37], vcc
	s_cbranch_execz .LBB4_3486
; %bb.3479:                             ;   in Loop: Header=BB4_2956 Depth=3
	v_bfe_u32 v51, v2, 23, 8
	v_cmp_gt_u32_e64 s[28:29], s47, v51
	v_sub_u32_e32 v2, 0x71, v51
	v_cmp_eq_u32_e32 vcc, 0, v51
	v_cndmask_b32_e64 v2, 0, v2, s[28:29]
	v_mov_b32_e32 v4, 0x70
	v_cndmask_b32_e32 v53, v2, v4, vcc
	v_add_u32_e32 v4, 21, v53
	v_or_b32_e32 v3, 0x800000, v60
	v_lshlrev_b64 v[54:55], v4, -1
	v_cndmask_b32_e32 v2, v3, v60, vcc
	v_mov_b32_e32 v3, v61
	v_add_u32_e32 v4, 20, v53
	v_bfi_b32 v54, v54, 0, v2
	v_lshlrev_b64 v[42:43], v4, 1
	v_lshrrev_b64 v[2:3], v53, v[2:3]
	v_bfi_b32 v55, v55, 0, 0
	v_cmp_eq_u64_e64 s[28:29], v[54:55], v[42:43]
	v_mov_b32_e32 v4, v3
	v_mov_b32_e32 v3, v2
	s_and_saveexec_b64 s[38:39], s[28:29]
; %bb.3480:                             ;   in Loop: Header=BB4_2956 Depth=3
	v_bfe_u32 v3, v2, 21, 1
	v_add_co_u32_e64 v3, s[28:29], v2, v3
	v_add_co_u32_e64 v3, s[28:29], -1, v3
; %bb.3481:                             ;   in Loop: Header=BB4_2956 Depth=3
	s_or_b64 exec, exec, s[38:39]
	v_add_u32_e32 v4, 0xffffff81, v51
	v_mov_b32_e32 v6, 0xffffff82
	v_cndmask_b32_e32 v4, v4, v6, vcc
	v_lshrrev_b32_e32 v6, 23, v2
	v_add3_u32 v51, v53, v4, v6
	v_add_u32_e32 v6, 14, v51
	v_and_b32_e32 v3, 0x1fffff, v3
	v_add_u32_e32 v60, v3, v2
	v_cmp_ne_u32_e32 vcc, 0, v6
                                        ; implicit-def: $vgpr2_vgpr3
                                        ; implicit-def: $vgpr4
	s_and_saveexec_b64 s[28:29], vcc
	s_xor_b64 s[28:29], exec, s[28:29]
; %bb.3482:                             ;   in Loop: Header=BB4_2956 Depth=3
	v_cmp_lt_u64_e32 vcc, s[88:89], v[60:61]
	v_add_u32_e32 v2, 15, v51
	v_cndmask_b32_e32 v4, v6, v2, vcc
	v_cndmask_b32_e64 v2, 0, 1, vcc
	v_lshrrev_b64 v[2:3], v2, v[60:61]
; %bb.3483:                             ;   in Loop: Header=BB4_2956 Depth=3
	s_andn2_saveexec_b64 s[28:29], s[28:29]
; %bb.3484:                             ;   in Loop: Header=BB4_2956 Depth=3
	v_mov_b32_e32 v2, v60
	v_mov_b32_e32 v3, v61
	v_bfe_u32 v4, v60, 23, 1
; %bb.3485:                             ;   in Loop: Header=BB4_2956 Depth=3
	s_or_b64 exec, exec, s[28:29]
	v_lshrrev_b64 v[2:3], 21, v[2:3]
	v_cmp_gt_i32_e32 vcc, 32, v4
	v_cndmask_b32_e32 v3, 0, v3, vcc
	v_cndmask_b32_e32 v2, 3, v2, vcc
	v_cmp_eq_u64_e64 s[28:29], 0, v[2:3]
	v_min_i32_e32 v3, 31, v4
	v_lshlrev_b32_e32 v3, 2, v3
	v_cmp_eq_u32_e32 vcc, 0, v4
	v_and_b32_e32 v3, 0xfc, v3
	v_and_or_b32 v2, v2, 3, v3
	s_and_b64 s[28:29], vcc, s[28:29]
	v_cndmask_b32_e64 v2, v2, 0, s[28:29]
	v_or_b32_e32 v51, v2, v52
.LBB4_3486:                             ;   in Loop: Header=BB4_2956 Depth=3
	s_or_b64 exec, exec, s[36:37]
                                        ; implicit-def: $vgpr52
.LBB4_3487:                             ;   in Loop: Header=BB4_2956 Depth=3
	s_andn2_saveexec_b64 s[28:29], s[34:35]
; %bb.3488:                             ;   in Loop: Header=BB4_2956 Depth=3
	v_or_b32_e32 v51, 0x7b, v52
; %bb.3489:                             ;   in Loop: Header=BB4_2956 Depth=3
	s_or_b64 exec, exec, s[28:29]
                                        ; implicit-def: $vgpr2
.LBB4_3490:                             ;   in Loop: Header=BB4_2956 Depth=3
	s_andn2_saveexec_b64 s[28:29], s[30:31]
	s_cbranch_execz .LBB4_3496
; %bb.3491:                             ;   in Loop: Header=BB4_2956 Depth=3
	v_cmp_ne_u64_e32 vcc, 0, v[60:61]
                                        ; implicit-def: $vgpr51
	s_and_saveexec_b64 s[30:31], vcc
	s_xor_b64 vcc, exec, s[30:31]
; %bb.3492:                             ;   in Loop: Header=BB4_2956 Depth=3
	v_or_b32_sdwa v51, v2, s44 dst_sel:DWORD dst_unused:UNUSED_PAD src0_sel:BYTE_3 src1_sel:DWORD
                                        ; implicit-def: $vgpr2
; %bb.3493:                             ;   in Loop: Header=BB4_2956 Depth=3
	s_andn2_saveexec_b64 s[30:31], vcc
; %bb.3494:                             ;   in Loop: Header=BB4_2956 Depth=3
	v_cmp_lt_i32_e32 vcc, -1, v2
	v_bfrev_b32_e32 v2, 0.5
	v_mov_b32_e32 v3, 0x7c
	v_cndmask_b32_e32 v51, v2, v3, vcc
; %bb.3495:                             ;   in Loop: Header=BB4_2956 Depth=3
	s_or_b64 exec, exec, s[30:31]
.LBB4_3496:                             ;   in Loop: Header=BB4_2956 Depth=3
	s_or_b64 exec, exec, s[28:29]
	v_cmp_lt_u64_e32 vcc, s[56:57], v[22:23]
	v_mov_b32_e32 v3, 0
	v_mov_b32_e32 v4, 0
	s_and_saveexec_b64 s[28:29], vcc
	s_cbranch_execz .LBB4_3504
; %bb.3497:                             ;   in Loop: Header=BB4_2956 Depth=3
	v_lshrrev_b32_e32 v2, 24, v23
	v_cmp_ne_u32_e32 vcc, s81, v2
	v_bfrev_b32_e32 v4, 1
	s_and_saveexec_b64 s[30:31], vcc
	s_cbranch_execz .LBB4_3503
; %bb.3498:                             ;   in Loop: Header=BB4_2956 Depth=3
	v_and_b32_e32 v4, 0x7c000000, v23
	v_bfe_u32 v6, v23, 24, 2
	v_cmp_ne_u32_e32 vcc, s82, v4
                                        ; implicit-def: $vgpr4
	s_and_saveexec_b64 s[34:35], vcc
	s_xor_b64 s[34:35], exec, s[34:35]
	s_cbranch_execz .LBB4_3500
; %bb.3499:                             ;   in Loop: Header=BB4_2956 Depth=3
	v_ffbh_u32_e32 v7, v6
	v_min_u32_e32 v7, 32, v7
	v_subrev_u32_e32 v22, 29, v7
	v_lshlrev_b64 v[52:53], v22, v[2:3]
	v_bfe_u32 v4, v23, 26, 5
	v_sub_u32_e32 v2, 30, v7
	v_and_b32_e32 v7, 3, v52
	v_cmp_eq_u32_e32 vcc, 0, v4
	v_cndmask_b32_e32 v2, v4, v2, vcc
	v_cndmask_b32_e32 v4, v6, v7, vcc
	v_and_b32_e32 v6, 0x80000000, v23
	v_lshl_add_u32 v2, v2, 23, v6
	v_lshl_or_b32 v2, v4, 21, v2
	v_add_u32_e32 v4, 0x38000000, v2
                                        ; implicit-def: $vgpr6
                                        ; implicit-def: $vgpr22_vgpr23
.LBB4_3500:                             ;   in Loop: Header=BB4_2956 Depth=3
	s_andn2_saveexec_b64 s[34:35], s[34:35]
; %bb.3501:                             ;   in Loop: Header=BB4_2956 Depth=3
	v_cmp_lt_i64_e32 vcc, -1, v[22:23]
	v_mov_b32_e32 v2, 0xff800000
	v_cndmask_b32_e32 v2, v2, v47, vcc
	v_cmp_eq_u32_e32 vcc, 0, v6
	v_mov_b32_e32 v4, 0x7f800001
	v_cndmask_b32_e32 v4, v4, v2, vcc
; %bb.3502:                             ;   in Loop: Header=BB4_2956 Depth=3
	s_or_b64 exec, exec, s[34:35]
.LBB4_3503:                             ;   in Loop: Header=BB4_2956 Depth=3
	s_or_b64 exec, exec, s[30:31]
.LBB4_3504:                             ;   in Loop: Header=BB4_2956 Depth=3
	s_or_b64 exec, exec, s[28:29]
	v_cmp_lt_u64_e32 vcc, s[56:57], v[18:19]
	s_and_saveexec_b64 s[28:29], vcc
	s_cbranch_execz .LBB4_3512
; %bb.3505:                             ;   in Loop: Header=BB4_2956 Depth=3
	v_lshrrev_b32_e32 v2, 24, v19
	v_cmp_ne_u32_e32 vcc, s81, v2
	v_bfrev_b32_e32 v3, 1
	s_and_saveexec_b64 s[30:31], vcc
	s_cbranch_execz .LBB4_3511
; %bb.3506:                             ;   in Loop: Header=BB4_2956 Depth=3
	v_and_b32_e32 v3, 0x7c000000, v19
	v_bfe_u32 v6, v19, 24, 2
	v_cmp_ne_u32_e32 vcc, s82, v3
                                        ; implicit-def: $vgpr3
	s_and_saveexec_b64 s[34:35], vcc
	s_xor_b64 s[34:35], exec, s[34:35]
	s_cbranch_execz .LBB4_3508
; %bb.3507:                             ;   in Loop: Header=BB4_2956 Depth=3
	v_ffbh_u32_e32 v3, v6
	v_min_u32_e32 v18, 32, v3
	v_subrev_u32_e32 v3, 29, v18
	v_lshlrev_b64 v[2:3], v3, v[2:3]
	v_bfe_u32 v7, v19, 26, 5
	v_sub_u32_e32 v3, 30, v18
	v_and_b32_e32 v2, 3, v2
	v_cmp_eq_u32_e32 vcc, 0, v7
	v_cndmask_b32_e32 v3, v7, v3, vcc
	v_cndmask_b32_e32 v2, v6, v2, vcc
	v_and_b32_e32 v6, 0x80000000, v19
	v_lshl_add_u32 v3, v3, 23, v6
	v_lshl_or_b32 v2, v2, 21, v3
	v_add_u32_e32 v3, 0x38000000, v2
                                        ; implicit-def: $vgpr6
                                        ; implicit-def: $vgpr18_vgpr19
.LBB4_3508:                             ;   in Loop: Header=BB4_2956 Depth=3
	s_andn2_saveexec_b64 s[34:35], s[34:35]
; %bb.3509:                             ;   in Loop: Header=BB4_2956 Depth=3
	v_cmp_lt_i64_e32 vcc, -1, v[18:19]
	v_mov_b32_e32 v2, 0xff800000
	v_cndmask_b32_e32 v2, v2, v47, vcc
	v_cmp_eq_u32_e32 vcc, 0, v6
	v_mov_b32_e32 v3, 0x7f800001
	v_cndmask_b32_e32 v3, v3, v2, vcc
; %bb.3510:                             ;   in Loop: Header=BB4_2956 Depth=3
	s_or_b64 exec, exec, s[34:35]
.LBB4_3511:                             ;   in Loop: Header=BB4_2956 Depth=3
	s_or_b64 exec, exec, s[30:31]
.LBB4_3512:                             ;   in Loop: Header=BB4_2956 Depth=3
	s_or_b64 exec, exec, s[28:29]
	v_mul_f32_e32 v2, v4, v3
	v_and_b32_e32 v3, 0x7f800000, v2
	v_mov_b32_e32 v4, v61
	v_cmp_ne_u64_e32 vcc, s[62:63], v[3:4]
	v_and_b32_e32 v60, 0x7fffff, v2
                                        ; implicit-def: $vgpr18
	s_and_saveexec_b64 s[28:29], vcc
	s_xor_b64 s[30:31], exec, s[28:29]
	s_cbranch_execz .LBB4_3526
; %bb.3513:                             ;   in Loop: Header=BB4_2956 Depth=3
	v_and_b32_e32 v3, 0x7fffffff, v2
	v_mov_b32_e32 v4, v61
	v_cmp_gt_u64_e32 vcc, s[78:79], v[3:4]
	v_and_b32_sdwa v19, v2, s81 dst_sel:DWORD dst_unused:UNUSED_PAD src0_sel:BYTE_3 src1_sel:DWORD
                                        ; implicit-def: $vgpr18
	s_and_saveexec_b64 s[28:29], vcc
	s_xor_b64 s[34:35], exec, s[28:29]
	s_cbranch_execz .LBB4_3523
; %bb.3514:                             ;   in Loop: Header=BB4_2956 Depth=3
	v_mov_b32_e32 v18, 0
	v_cmp_ne_u32_e32 vcc, 0, v2
	s_and_saveexec_b64 s[36:37], vcc
	s_cbranch_execz .LBB4_3522
; %bb.3515:                             ;   in Loop: Header=BB4_2956 Depth=3
	v_bfe_u32 v18, v2, 23, 8
	v_cmp_gt_u32_e64 s[28:29], s47, v18
	v_sub_u32_e32 v2, 0x71, v18
	v_cmp_eq_u32_e32 vcc, 0, v18
	v_cndmask_b32_e64 v2, 0, v2, s[28:29]
	v_mov_b32_e32 v4, 0x70
	v_cndmask_b32_e32 v22, v2, v4, vcc
	v_add_u32_e32 v4, 21, v22
	v_or_b32_e32 v3, 0x800000, v60
	v_lshlrev_b64 v[52:53], v4, -1
	v_cndmask_b32_e32 v2, v3, v60, vcc
	v_mov_b32_e32 v3, v61
	v_add_u32_e32 v4, 20, v22
	v_bfi_b32 v52, v52, 0, v2
	v_lshlrev_b64 v[54:55], v4, 1
	v_lshrrev_b64 v[2:3], v22, v[2:3]
	v_bfi_b32 v53, v53, 0, 0
	v_cmp_eq_u64_e64 s[28:29], v[52:53], v[54:55]
	v_mov_b32_e32 v4, v3
	v_mov_b32_e32 v3, v2
	s_and_saveexec_b64 s[38:39], s[28:29]
; %bb.3516:                             ;   in Loop: Header=BB4_2956 Depth=3
	v_bfe_u32 v3, v2, 21, 1
	v_add_co_u32_e64 v3, s[28:29], v2, v3
	v_add_co_u32_e64 v3, s[28:29], -1, v3
; %bb.3517:                             ;   in Loop: Header=BB4_2956 Depth=3
	s_or_b64 exec, exec, s[38:39]
	v_add_u32_e32 v4, 0xffffff81, v18
	v_mov_b32_e32 v6, 0xffffff82
	v_cndmask_b32_e32 v4, v4, v6, vcc
	v_lshrrev_b32_e32 v6, 23, v2
	v_add3_u32 v18, v22, v4, v6
	v_add_u32_e32 v6, 14, v18
	v_and_b32_e32 v3, 0x1fffff, v3
	v_add_u32_e32 v60, v3, v2
	v_cmp_ne_u32_e32 vcc, 0, v6
                                        ; implicit-def: $vgpr2_vgpr3
                                        ; implicit-def: $vgpr4
	s_and_saveexec_b64 s[28:29], vcc
	s_xor_b64 s[28:29], exec, s[28:29]
; %bb.3518:                             ;   in Loop: Header=BB4_2956 Depth=3
	v_cmp_lt_u64_e32 vcc, s[88:89], v[60:61]
	v_add_u32_e32 v2, 15, v18
	v_cndmask_b32_e32 v4, v6, v2, vcc
	v_cndmask_b32_e64 v2, 0, 1, vcc
	v_lshrrev_b64 v[2:3], v2, v[60:61]
; %bb.3519:                             ;   in Loop: Header=BB4_2956 Depth=3
	s_andn2_saveexec_b64 s[28:29], s[28:29]
; %bb.3520:                             ;   in Loop: Header=BB4_2956 Depth=3
	v_mov_b32_e32 v2, v60
	v_mov_b32_e32 v3, v61
	v_bfe_u32 v4, v60, 23, 1
; %bb.3521:                             ;   in Loop: Header=BB4_2956 Depth=3
	s_or_b64 exec, exec, s[28:29]
	v_lshrrev_b64 v[2:3], 21, v[2:3]
	v_cmp_gt_i32_e32 vcc, 32, v4
	v_cndmask_b32_e32 v3, 0, v3, vcc
	v_cndmask_b32_e32 v2, 3, v2, vcc
	v_cmp_eq_u64_e64 s[28:29], 0, v[2:3]
	v_min_i32_e32 v3, 31, v4
	v_lshlrev_b32_e32 v3, 2, v3
	v_cmp_eq_u32_e32 vcc, 0, v4
	v_and_b32_e32 v3, 0xfc, v3
	v_and_or_b32 v2, v2, 3, v3
	s_and_b64 s[28:29], vcc, s[28:29]
	v_cndmask_b32_e64 v2, v2, 0, s[28:29]
	v_or_b32_e32 v18, v2, v19
.LBB4_3522:                             ;   in Loop: Header=BB4_2956 Depth=3
	s_or_b64 exec, exec, s[36:37]
                                        ; implicit-def: $vgpr19
.LBB4_3523:                             ;   in Loop: Header=BB4_2956 Depth=3
	s_andn2_saveexec_b64 s[28:29], s[34:35]
; %bb.3524:                             ;   in Loop: Header=BB4_2956 Depth=3
	v_or_b32_e32 v18, 0x7b, v19
; %bb.3525:                             ;   in Loop: Header=BB4_2956 Depth=3
	s_or_b64 exec, exec, s[28:29]
                                        ; implicit-def: $vgpr2
.LBB4_3526:                             ;   in Loop: Header=BB4_2956 Depth=3
	s_andn2_saveexec_b64 s[28:29], s[30:31]
	s_cbranch_execz .LBB4_3532
; %bb.3527:                             ;   in Loop: Header=BB4_2956 Depth=3
	v_cmp_ne_u64_e32 vcc, 0, v[60:61]
                                        ; implicit-def: $vgpr18
	s_and_saveexec_b64 s[30:31], vcc
	s_xor_b64 vcc, exec, s[30:31]
; %bb.3528:                             ;   in Loop: Header=BB4_2956 Depth=3
	v_or_b32_sdwa v18, v2, s44 dst_sel:DWORD dst_unused:UNUSED_PAD src0_sel:BYTE_3 src1_sel:DWORD
                                        ; implicit-def: $vgpr2
; %bb.3529:                             ;   in Loop: Header=BB4_2956 Depth=3
	s_andn2_saveexec_b64 s[30:31], vcc
; %bb.3530:                             ;   in Loop: Header=BB4_2956 Depth=3
	v_cmp_lt_i32_e32 vcc, -1, v2
	v_bfrev_b32_e32 v2, 0.5
	v_mov_b32_e32 v3, 0x7c
	v_cndmask_b32_e32 v18, v2, v3, vcc
; %bb.3531:                             ;   in Loop: Header=BB4_2956 Depth=3
	s_or_b64 exec, exec, s[30:31]
.LBB4_3532:                             ;   in Loop: Header=BB4_2956 Depth=3
	s_or_b64 exec, exec, s[28:29]
	v_cmp_ne_u16_sdwa vcc, v12, v61 src0_sel:BYTE_0 src1_sel:DWORD
	v_mov_b32_e32 v2, 0
	v_mov_b32_e32 v3, 0
	s_and_saveexec_b64 s[28:29], vcc
	s_cbranch_execz .LBB4_3540
; %bb.3533:                             ;   in Loop: Header=BB4_2956 Depth=3
	v_cmp_ne_u16_sdwa vcc, sext(v12), s70 src0_sel:BYTE_0 src1_sel:DWORD
	v_bfrev_b32_e32 v3, 1
	s_and_saveexec_b64 s[30:31], vcc
	s_cbranch_execz .LBB4_3539
; %bb.3534:                             ;   in Loop: Header=BB4_2956 Depth=3
	v_and_b32_e32 v3, 0x7c, v12
	v_and_b32_e32 v4, 3, v12
	v_cmp_ne_u32_e32 vcc, s71, v3
                                        ; implicit-def: $vgpr3
	s_and_saveexec_b64 s[34:35], vcc
	s_xor_b64 s[34:35], exec, s[34:35]
	s_cbranch_execz .LBB4_3536
; %bb.3535:                             ;   in Loop: Header=BB4_2956 Depth=3
	v_ffbh_u32_e32 v6, v4
	v_min_u32_e32 v6, 32, v6
	v_bfe_u32 v3, v12, 2, 5
	v_subrev_u32_e32 v7, 29, v6
	v_lshlrev_b64 v[22:23], v7, v[12:13]
	v_sub_u32_e32 v6, 30, v6
	v_cmp_eq_u32_e32 vcc, 0, v3
	v_cndmask_b32_e32 v3, v3, v6, vcc
	v_lshlrev_b32_e32 v6, 24, v12
	v_and_b32_e32 v7, 3, v22
	v_and_b32_e32 v6, 0x80000000, v6
	v_cndmask_b32_e32 v4, v4, v7, vcc
	v_lshl_add_u32 v3, v3, 23, v6
	v_lshl_or_b32 v3, v4, 21, v3
	v_add_u32_e32 v3, 0x38000000, v3
                                        ; implicit-def: $vgpr4
.LBB4_3536:                             ;   in Loop: Header=BB4_2956 Depth=3
	s_andn2_saveexec_b64 s[34:35], s[34:35]
; %bb.3537:                             ;   in Loop: Header=BB4_2956 Depth=3
	v_mov_b32_e32 v3, -1
	v_cmp_gt_i16_sdwa vcc, sext(v12), v3 src0_sel:BYTE_0 src1_sel:DWORD
	v_mov_b32_e32 v3, 0xff800000
	v_cndmask_b32_e32 v3, v3, v47, vcc
	v_cmp_eq_u32_e32 vcc, 0, v4
	v_mov_b32_e32 v4, 0x7f800001
	v_cndmask_b32_e32 v3, v4, v3, vcc
; %bb.3538:                             ;   in Loop: Header=BB4_2956 Depth=3
	s_or_b64 exec, exec, s[34:35]
.LBB4_3539:                             ;   in Loop: Header=BB4_2956 Depth=3
	s_or_b64 exec, exec, s[30:31]
.LBB4_3540:                             ;   in Loop: Header=BB4_2956 Depth=3
	s_or_b64 exec, exec, s[28:29]
	s_waitcnt vmcnt(0)
	v_cmp_ne_u16_sdwa vcc, v8, v61 src0_sel:BYTE_0 src1_sel:DWORD
	s_and_saveexec_b64 s[28:29], vcc
	s_cbranch_execz .LBB4_3548
; %bb.3541:                             ;   in Loop: Header=BB4_2956 Depth=3
	v_cmp_ne_u16_sdwa vcc, sext(v8), s70 src0_sel:BYTE_0 src1_sel:DWORD
	v_bfrev_b32_e32 v2, 1
	s_and_saveexec_b64 s[30:31], vcc
	s_cbranch_execz .LBB4_3547
; %bb.3542:                             ;   in Loop: Header=BB4_2956 Depth=3
	v_and_b32_e32 v2, 0x7c, v8
	v_and_b32_e32 v4, 3, v8
	v_cmp_ne_u32_e32 vcc, s71, v2
                                        ; implicit-def: $vgpr2
	s_and_saveexec_b64 s[34:35], vcc
	s_xor_b64 s[34:35], exec, s[34:35]
	s_cbranch_execz .LBB4_3544
; %bb.3543:                             ;   in Loop: Header=BB4_2956 Depth=3
	v_ffbh_u32_e32 v6, v4
	v_min_u32_e32 v6, 32, v6
	v_bfe_u32 v2, v8, 2, 5
	v_subrev_u32_e32 v7, 29, v6
	v_lshlrev_b64 v[22:23], v7, v[8:9]
	v_sub_u32_e32 v6, 30, v6
	v_cmp_eq_u32_e32 vcc, 0, v2
	v_cndmask_b32_e32 v2, v2, v6, vcc
	v_lshlrev_b32_e32 v6, 24, v8
	v_and_b32_e32 v7, 3, v22
	v_and_b32_e32 v6, 0x80000000, v6
	v_cndmask_b32_e32 v4, v4, v7, vcc
	v_lshl_add_u32 v2, v2, 23, v6
	v_lshl_or_b32 v2, v4, 21, v2
	v_add_u32_e32 v2, 0x38000000, v2
                                        ; implicit-def: $vgpr4
.LBB4_3544:                             ;   in Loop: Header=BB4_2956 Depth=3
	s_andn2_saveexec_b64 s[34:35], s[34:35]
; %bb.3545:                             ;   in Loop: Header=BB4_2956 Depth=3
	v_mov_b32_e32 v2, -1
	v_cmp_gt_i16_sdwa vcc, sext(v8), v2 src0_sel:BYTE_0 src1_sel:DWORD
	v_mov_b32_e32 v2, 0xff800000
	v_cndmask_b32_e32 v2, v2, v47, vcc
	v_cmp_eq_u32_e32 vcc, 0, v4
	v_mov_b32_e32 v4, 0x7f800001
	v_cndmask_b32_e32 v2, v4, v2, vcc
; %bb.3546:                             ;   in Loop: Header=BB4_2956 Depth=3
	s_or_b64 exec, exec, s[34:35]
.LBB4_3547:                             ;   in Loop: Header=BB4_2956 Depth=3
	s_or_b64 exec, exec, s[30:31]
.LBB4_3548:                             ;   in Loop: Header=BB4_2956 Depth=3
	s_or_b64 exec, exec, s[28:29]
	v_mul_f32_e32 v2, v3, v2
	v_and_b32_e32 v3, 0x7f800000, v2
	v_mov_b32_e32 v4, v61
	v_cmp_ne_u64_e32 vcc, s[62:63], v[3:4]
	v_and_b32_e32 v60, 0x7fffff, v2
                                        ; implicit-def: $vgpr19
	s_and_saveexec_b64 s[28:29], vcc
	s_xor_b64 s[30:31], exec, s[28:29]
	s_cbranch_execz .LBB4_3562
; %bb.3549:                             ;   in Loop: Header=BB4_2956 Depth=3
	v_and_b32_e32 v3, 0x7fffffff, v2
	v_mov_b32_e32 v4, v61
	v_cmp_gt_u64_e32 vcc, s[78:79], v[3:4]
	v_and_b32_sdwa v22, v2, s81 dst_sel:DWORD dst_unused:UNUSED_PAD src0_sel:BYTE_3 src1_sel:DWORD
                                        ; implicit-def: $vgpr19
	s_and_saveexec_b64 s[28:29], vcc
	s_xor_b64 s[34:35], exec, s[28:29]
	s_cbranch_execz .LBB4_3559
; %bb.3550:                             ;   in Loop: Header=BB4_2956 Depth=3
	v_mov_b32_e32 v19, 0
	v_cmp_ne_u32_e32 vcc, 0, v2
	s_and_saveexec_b64 s[36:37], vcc
	s_cbranch_execz .LBB4_3558
; %bb.3551:                             ;   in Loop: Header=BB4_2956 Depth=3
	v_bfe_u32 v19, v2, 23, 8
	v_cmp_gt_u32_e64 s[28:29], s47, v19
	v_sub_u32_e32 v2, 0x71, v19
	v_cmp_eq_u32_e32 vcc, 0, v19
	v_cndmask_b32_e64 v2, 0, v2, s[28:29]
	v_mov_b32_e32 v4, 0x70
	v_cndmask_b32_e32 v23, v2, v4, vcc
	v_add_u32_e32 v4, 21, v23
	v_or_b32_e32 v3, 0x800000, v60
	v_lshlrev_b64 v[52:53], v4, -1
	v_cndmask_b32_e32 v2, v3, v60, vcc
	v_mov_b32_e32 v3, v61
	v_add_u32_e32 v4, 20, v23
	v_bfi_b32 v52, v52, 0, v2
	v_lshlrev_b64 v[54:55], v4, 1
	v_lshrrev_b64 v[2:3], v23, v[2:3]
	v_bfi_b32 v53, v53, 0, 0
	v_cmp_eq_u64_e64 s[28:29], v[52:53], v[54:55]
	v_mov_b32_e32 v4, v3
	v_mov_b32_e32 v3, v2
	s_and_saveexec_b64 s[38:39], s[28:29]
; %bb.3552:                             ;   in Loop: Header=BB4_2956 Depth=3
	v_bfe_u32 v3, v2, 21, 1
	v_add_co_u32_e64 v3, s[28:29], v2, v3
	v_add_co_u32_e64 v3, s[28:29], -1, v3
; %bb.3553:                             ;   in Loop: Header=BB4_2956 Depth=3
	s_or_b64 exec, exec, s[38:39]
	v_add_u32_e32 v4, 0xffffff81, v19
	v_mov_b32_e32 v6, 0xffffff82
	v_cndmask_b32_e32 v4, v4, v6, vcc
	v_lshrrev_b32_e32 v6, 23, v2
	v_add3_u32 v19, v23, v4, v6
	v_add_u32_e32 v6, 14, v19
	v_and_b32_e32 v3, 0x1fffff, v3
	v_add_u32_e32 v60, v3, v2
	v_cmp_ne_u32_e32 vcc, 0, v6
                                        ; implicit-def: $vgpr2_vgpr3
                                        ; implicit-def: $vgpr4
	s_and_saveexec_b64 s[28:29], vcc
	s_xor_b64 s[28:29], exec, s[28:29]
; %bb.3554:                             ;   in Loop: Header=BB4_2956 Depth=3
	v_cmp_lt_u64_e32 vcc, s[88:89], v[60:61]
	v_add_u32_e32 v2, 15, v19
	v_cndmask_b32_e32 v4, v6, v2, vcc
	v_cndmask_b32_e64 v2, 0, 1, vcc
	v_lshrrev_b64 v[2:3], v2, v[60:61]
; %bb.3555:                             ;   in Loop: Header=BB4_2956 Depth=3
	s_andn2_saveexec_b64 s[28:29], s[28:29]
; %bb.3556:                             ;   in Loop: Header=BB4_2956 Depth=3
	v_mov_b32_e32 v2, v60
	v_mov_b32_e32 v3, v61
	v_bfe_u32 v4, v60, 23, 1
; %bb.3557:                             ;   in Loop: Header=BB4_2956 Depth=3
	s_or_b64 exec, exec, s[28:29]
	v_lshrrev_b64 v[2:3], 21, v[2:3]
	v_cmp_gt_i32_e32 vcc, 32, v4
	v_cndmask_b32_e32 v3, 0, v3, vcc
	v_cndmask_b32_e32 v2, 3, v2, vcc
	v_cmp_eq_u64_e64 s[28:29], 0, v[2:3]
	v_min_i32_e32 v3, 31, v4
	v_lshlrev_b32_e32 v3, 2, v3
	v_cmp_eq_u32_e32 vcc, 0, v4
	v_and_b32_e32 v3, 0xfc, v3
	v_and_or_b32 v2, v2, 3, v3
	s_and_b64 s[28:29], vcc, s[28:29]
	v_cndmask_b32_e64 v2, v2, 0, s[28:29]
	v_or_b32_e32 v19, v2, v22
.LBB4_3558:                             ;   in Loop: Header=BB4_2956 Depth=3
	s_or_b64 exec, exec, s[36:37]
                                        ; implicit-def: $vgpr22
.LBB4_3559:                             ;   in Loop: Header=BB4_2956 Depth=3
	s_andn2_saveexec_b64 s[28:29], s[34:35]
; %bb.3560:                             ;   in Loop: Header=BB4_2956 Depth=3
	v_or_b32_e32 v19, 0x7b, v22
; %bb.3561:                             ;   in Loop: Header=BB4_2956 Depth=3
	s_or_b64 exec, exec, s[28:29]
                                        ; implicit-def: $vgpr2
.LBB4_3562:                             ;   in Loop: Header=BB4_2956 Depth=3
	s_andn2_saveexec_b64 s[28:29], s[30:31]
	s_cbranch_execz .LBB4_3568
; %bb.3563:                             ;   in Loop: Header=BB4_2956 Depth=3
	v_cmp_ne_u64_e32 vcc, 0, v[60:61]
                                        ; implicit-def: $vgpr19
	s_and_saveexec_b64 s[30:31], vcc
	s_xor_b64 vcc, exec, s[30:31]
; %bb.3564:                             ;   in Loop: Header=BB4_2956 Depth=3
	v_or_b32_sdwa v19, v2, s44 dst_sel:DWORD dst_unused:UNUSED_PAD src0_sel:BYTE_3 src1_sel:DWORD
                                        ; implicit-def: $vgpr2
; %bb.3565:                             ;   in Loop: Header=BB4_2956 Depth=3
	s_andn2_saveexec_b64 s[30:31], vcc
; %bb.3566:                             ;   in Loop: Header=BB4_2956 Depth=3
	v_cmp_lt_i32_e32 vcc, -1, v2
	v_bfrev_b32_e32 v2, 0.5
	v_mov_b32_e32 v3, 0x7c
	v_cndmask_b32_e32 v19, v2, v3, vcc
; %bb.3567:                             ;   in Loop: Header=BB4_2956 Depth=3
	s_or_b64 exec, exec, s[30:31]
.LBB4_3568:                             ;   in Loop: Header=BB4_2956 Depth=3
	s_or_b64 exec, exec, s[28:29]
	v_lshrrev_b16_e32 v2, 8, v12
	v_cmp_ne_u16_e32 vcc, 0, v2
	v_mov_b32_e32 v4, 0
	v_mov_b32_e32 v22, 0
	s_and_saveexec_b64 s[28:29], vcc
	s_cbranch_execz .LBB4_3576
; %bb.3569:                             ;   in Loop: Header=BB4_2956 Depth=3
	v_cmp_ne_u16_e32 vcc, s81, v2
	v_bfrev_b32_e32 v22, 1
	s_and_saveexec_b64 s[30:31], vcc
	s_cbranch_execz .LBB4_3575
; %bb.3570:                             ;   in Loop: Header=BB4_2956 Depth=3
	v_and_b32_e32 v3, 0x7c, v2
	v_and_b32_e32 v6, 3, v2
	v_cmp_ne_u32_e32 vcc, s71, v3
                                        ; implicit-def: $vgpr22
	s_and_saveexec_b64 s[34:35], vcc
	s_xor_b64 s[34:35], exec, s[34:35]
	s_cbranch_execz .LBB4_3572
; %bb.3571:                             ;   in Loop: Header=BB4_2956 Depth=3
	v_ffbh_u32_e32 v22, v6
	v_min_u32_e32 v22, 32, v22
	v_mov_b32_e32 v3, v61
	v_subrev_u32_e32 v23, 29, v22
	v_bfe_u32 v7, v2, 2, 5
	v_lshlrev_b64 v[2:3], v23, v[2:3]
	v_cmp_eq_u32_e32 vcc, 0, v7
	v_and_b32_e32 v2, 3, v2
	v_sub_u32_e32 v3, 30, v22
	v_cndmask_b32_e32 v2, v6, v2, vcc
	v_lshlrev_b32_e32 v6, 16, v12
	v_cndmask_b32_e32 v3, v7, v3, vcc
	v_and_b32_e32 v6, 0x80000000, v6
	v_lshl_add_u32 v3, v3, 23, v6
	v_lshl_or_b32 v2, v2, 21, v3
	v_add_u32_e32 v22, 0x38000000, v2
                                        ; implicit-def: $vgpr6
.LBB4_3572:                             ;   in Loop: Header=BB4_2956 Depth=3
	s_andn2_saveexec_b64 s[34:35], s[34:35]
; %bb.3573:                             ;   in Loop: Header=BB4_2956 Depth=3
	v_cmp_lt_i16_e32 vcc, -1, v12
	v_mov_b32_e32 v2, 0xff800000
	v_cndmask_b32_e32 v2, v2, v47, vcc
	v_cmp_eq_u32_e32 vcc, 0, v6
	v_mov_b32_e32 v3, 0x7f800001
	v_cndmask_b32_e32 v22, v3, v2, vcc
; %bb.3574:                             ;   in Loop: Header=BB4_2956 Depth=3
	s_or_b64 exec, exec, s[34:35]
.LBB4_3575:                             ;   in Loop: Header=BB4_2956 Depth=3
	s_or_b64 exec, exec, s[30:31]
.LBB4_3576:                             ;   in Loop: Header=BB4_2956 Depth=3
	s_or_b64 exec, exec, s[28:29]
	v_lshrrev_b16_e32 v2, 8, v8
	v_cmp_ne_u16_e32 vcc, 0, v2
	s_and_saveexec_b64 s[28:29], vcc
	s_cbranch_execz .LBB4_3584
; %bb.3577:                             ;   in Loop: Header=BB4_2956 Depth=3
	v_cmp_ne_u16_e32 vcc, s81, v2
	v_bfrev_b32_e32 v4, 1
	s_and_saveexec_b64 s[30:31], vcc
	s_cbranch_execz .LBB4_3583
; %bb.3578:                             ;   in Loop: Header=BB4_2956 Depth=3
	v_and_b32_e32 v3, 0x7c, v2
	v_and_b32_e32 v6, 3, v2
	v_cmp_ne_u32_e32 vcc, s71, v3
                                        ; implicit-def: $vgpr4
	s_and_saveexec_b64 s[34:35], vcc
	s_xor_b64 s[34:35], exec, s[34:35]
	s_cbranch_execz .LBB4_3580
; %bb.3579:                             ;   in Loop: Header=BB4_2956 Depth=3
	v_ffbh_u32_e32 v7, v6
	v_min_u32_e32 v7, 32, v7
	v_mov_b32_e32 v3, v61
	v_subrev_u32_e32 v23, 29, v7
	v_bfe_u32 v4, v2, 2, 5
	v_lshlrev_b64 v[2:3], v23, v[2:3]
	v_sub_u32_e32 v3, 30, v7
	v_cmp_eq_u32_e32 vcc, 0, v4
	v_cndmask_b32_e32 v3, v4, v3, vcc
	v_lshlrev_b32_e32 v4, 16, v8
	v_and_b32_e32 v2, 3, v2
	v_and_b32_e32 v4, 0x80000000, v4
	v_cndmask_b32_e32 v2, v6, v2, vcc
	v_lshl_add_u32 v3, v3, 23, v4
	v_lshl_or_b32 v2, v2, 21, v3
	v_add_u32_e32 v4, 0x38000000, v2
                                        ; implicit-def: $vgpr6
.LBB4_3580:                             ;   in Loop: Header=BB4_2956 Depth=3
	s_andn2_saveexec_b64 s[34:35], s[34:35]
; %bb.3581:                             ;   in Loop: Header=BB4_2956 Depth=3
	v_cmp_lt_i16_e32 vcc, -1, v8
	v_mov_b32_e32 v2, 0xff800000
	v_cndmask_b32_e32 v2, v2, v47, vcc
	v_cmp_eq_u32_e32 vcc, 0, v6
	v_mov_b32_e32 v3, 0x7f800001
	v_cndmask_b32_e32 v4, v3, v2, vcc
; %bb.3582:                             ;   in Loop: Header=BB4_2956 Depth=3
	s_or_b64 exec, exec, s[34:35]
.LBB4_3583:                             ;   in Loop: Header=BB4_2956 Depth=3
	s_or_b64 exec, exec, s[30:31]
.LBB4_3584:                             ;   in Loop: Header=BB4_2956 Depth=3
	s_or_b64 exec, exec, s[28:29]
	v_mul_f32_e32 v2, v22, v4
	v_and_b32_e32 v3, 0x7f800000, v2
	v_mov_b32_e32 v4, v61
	v_cmp_ne_u64_e32 vcc, s[62:63], v[3:4]
	v_and_b32_e32 v60, 0x7fffff, v2
                                        ; implicit-def: $vgpr22
	s_and_saveexec_b64 s[28:29], vcc
	s_xor_b64 s[30:31], exec, s[28:29]
	s_cbranch_execz .LBB4_3598
; %bb.3585:                             ;   in Loop: Header=BB4_2956 Depth=3
	v_and_b32_e32 v3, 0x7fffffff, v2
	v_mov_b32_e32 v4, v61
	v_cmp_gt_u64_e32 vcc, s[78:79], v[3:4]
	v_and_b32_sdwa v23, v2, s81 dst_sel:DWORD dst_unused:UNUSED_PAD src0_sel:BYTE_3 src1_sel:DWORD
                                        ; implicit-def: $vgpr22
	s_and_saveexec_b64 s[28:29], vcc
	s_xor_b64 s[34:35], exec, s[28:29]
	s_cbranch_execz .LBB4_3595
; %bb.3586:                             ;   in Loop: Header=BB4_2956 Depth=3
	v_mov_b32_e32 v22, 0
	v_cmp_ne_u32_e32 vcc, 0, v2
	s_and_saveexec_b64 s[36:37], vcc
	s_cbranch_execz .LBB4_3594
; %bb.3587:                             ;   in Loop: Header=BB4_2956 Depth=3
	v_bfe_u32 v22, v2, 23, 8
	v_cmp_gt_u32_e64 s[28:29], s47, v22
	v_sub_u32_e32 v2, 0x71, v22
	v_cmp_eq_u32_e32 vcc, 0, v22
	v_cndmask_b32_e64 v2, 0, v2, s[28:29]
	v_mov_b32_e32 v4, 0x70
	v_cndmask_b32_e32 v52, v2, v4, vcc
	v_add_u32_e32 v4, 21, v52
	v_or_b32_e32 v3, 0x800000, v60
	v_lshlrev_b64 v[53:54], v4, -1
	v_cndmask_b32_e32 v2, v3, v60, vcc
	v_mov_b32_e32 v3, v61
	v_add_u32_e32 v4, 20, v52
	v_bfi_b32 v53, v53, 0, v2
	v_lshlrev_b64 v[42:43], v4, 1
	v_lshrrev_b64 v[2:3], v52, v[2:3]
	v_bfi_b32 v54, v54, 0, 0
	v_cmp_eq_u64_e64 s[28:29], v[53:54], v[42:43]
	v_mov_b32_e32 v4, v3
	v_mov_b32_e32 v3, v2
	s_and_saveexec_b64 s[38:39], s[28:29]
; %bb.3588:                             ;   in Loop: Header=BB4_2956 Depth=3
	v_bfe_u32 v3, v2, 21, 1
	v_add_co_u32_e64 v3, s[28:29], v2, v3
	v_add_co_u32_e64 v3, s[28:29], -1, v3
; %bb.3589:                             ;   in Loop: Header=BB4_2956 Depth=3
	s_or_b64 exec, exec, s[38:39]
	v_add_u32_e32 v4, 0xffffff81, v22
	v_mov_b32_e32 v6, 0xffffff82
	v_cndmask_b32_e32 v4, v4, v6, vcc
	v_lshrrev_b32_e32 v6, 23, v2
	v_add3_u32 v22, v52, v4, v6
	v_add_u32_e32 v6, 14, v22
	v_and_b32_e32 v3, 0x1fffff, v3
	v_add_u32_e32 v60, v3, v2
	v_cmp_ne_u32_e32 vcc, 0, v6
                                        ; implicit-def: $vgpr2_vgpr3
                                        ; implicit-def: $vgpr4
	s_and_saveexec_b64 s[28:29], vcc
	s_xor_b64 s[28:29], exec, s[28:29]
; %bb.3590:                             ;   in Loop: Header=BB4_2956 Depth=3
	v_cmp_lt_u64_e32 vcc, s[88:89], v[60:61]
	v_add_u32_e32 v2, 15, v22
	v_cndmask_b32_e32 v4, v6, v2, vcc
	v_cndmask_b32_e64 v2, 0, 1, vcc
	v_lshrrev_b64 v[2:3], v2, v[60:61]
; %bb.3591:                             ;   in Loop: Header=BB4_2956 Depth=3
	s_andn2_saveexec_b64 s[28:29], s[28:29]
; %bb.3592:                             ;   in Loop: Header=BB4_2956 Depth=3
	v_mov_b32_e32 v2, v60
	v_mov_b32_e32 v3, v61
	v_bfe_u32 v4, v60, 23, 1
; %bb.3593:                             ;   in Loop: Header=BB4_2956 Depth=3
	s_or_b64 exec, exec, s[28:29]
	v_lshrrev_b64 v[2:3], 21, v[2:3]
	v_cmp_gt_i32_e32 vcc, 32, v4
	v_cndmask_b32_e32 v3, 0, v3, vcc
	v_cndmask_b32_e32 v2, 3, v2, vcc
	v_cmp_eq_u64_e64 s[28:29], 0, v[2:3]
	v_min_i32_e32 v3, 31, v4
	v_lshlrev_b32_e32 v3, 2, v3
	v_cmp_eq_u32_e32 vcc, 0, v4
	v_and_b32_e32 v3, 0xfc, v3
	v_and_or_b32 v2, v2, 3, v3
	s_and_b64 s[28:29], vcc, s[28:29]
	v_cndmask_b32_e64 v2, v2, 0, s[28:29]
	v_or_b32_e32 v22, v2, v23
.LBB4_3594:                             ;   in Loop: Header=BB4_2956 Depth=3
	s_or_b64 exec, exec, s[36:37]
                                        ; implicit-def: $vgpr23
.LBB4_3595:                             ;   in Loop: Header=BB4_2956 Depth=3
	s_andn2_saveexec_b64 s[28:29], s[34:35]
; %bb.3596:                             ;   in Loop: Header=BB4_2956 Depth=3
	v_or_b32_e32 v22, 0x7b, v23
; %bb.3597:                             ;   in Loop: Header=BB4_2956 Depth=3
	s_or_b64 exec, exec, s[28:29]
                                        ; implicit-def: $vgpr2
.LBB4_3598:                             ;   in Loop: Header=BB4_2956 Depth=3
	s_andn2_saveexec_b64 s[28:29], s[30:31]
	s_cbranch_execz .LBB4_3604
; %bb.3599:                             ;   in Loop: Header=BB4_2956 Depth=3
	v_cmp_ne_u64_e32 vcc, 0, v[60:61]
                                        ; implicit-def: $vgpr22
	s_and_saveexec_b64 s[30:31], vcc
	s_xor_b64 vcc, exec, s[30:31]
; %bb.3600:                             ;   in Loop: Header=BB4_2956 Depth=3
	v_or_b32_sdwa v22, v2, s44 dst_sel:DWORD dst_unused:UNUSED_PAD src0_sel:BYTE_3 src1_sel:DWORD
                                        ; implicit-def: $vgpr2
; %bb.3601:                             ;   in Loop: Header=BB4_2956 Depth=3
	s_andn2_saveexec_b64 s[30:31], vcc
; %bb.3602:                             ;   in Loop: Header=BB4_2956 Depth=3
	v_cmp_lt_i32_e32 vcc, -1, v2
	v_bfrev_b32_e32 v2, 0.5
	v_mov_b32_e32 v3, 0x7c
	v_cndmask_b32_e32 v22, v2, v3, vcc
; %bb.3603:                             ;   in Loop: Header=BB4_2956 Depth=3
	s_or_b64 exec, exec, s[30:31]
.LBB4_3604:                             ;   in Loop: Header=BB4_2956 Depth=3
	s_or_b64 exec, exec, s[28:29]
	v_lshrrev_b32_e32 v2, 16, v12
	v_cmp_ne_u16_sdwa vcc, v2, v61 src0_sel:BYTE_0 src1_sel:DWORD
	v_mov_b32_e32 v3, 0
	v_mov_b32_e32 v4, 0
	s_and_saveexec_b64 s[28:29], vcc
	s_cbranch_execz .LBB4_3612
; %bb.3605:                             ;   in Loop: Header=BB4_2956 Depth=3
	v_cmp_ne_u16_sdwa vcc, v2, s81 src0_sel:BYTE_0 src1_sel:DWORD
	v_bfrev_b32_e32 v4, 1
	s_and_saveexec_b64 s[30:31], vcc
	s_cbranch_execz .LBB4_3611
; %bb.3606:                             ;   in Loop: Header=BB4_2956 Depth=3
	v_and_b32_e32 v4, 0x7c0000, v12
	v_bfe_u32 v6, v12, 16, 2
	v_cmp_ne_u32_e32 vcc, s45, v4
                                        ; implicit-def: $vgpr4
	s_and_saveexec_b64 s[34:35], vcc
	s_xor_b64 s[34:35], exec, s[34:35]
	s_cbranch_execz .LBB4_3608
; %bb.3607:                             ;   in Loop: Header=BB4_2956 Depth=3
	v_ffbh_u32_e32 v7, v6
	v_min_u32_e32 v7, 32, v7
	v_subrev_u32_e32 v23, 29, v7
	v_lshlrev_b64 v[52:53], v23, v[2:3]
	v_bfe_u32 v4, v12, 18, 5
	v_sub_u32_e32 v2, 30, v7
	v_and_b32_e32 v7, 3, v52
	v_cmp_eq_u32_e32 vcc, 0, v4
	v_cndmask_b32_e32 v2, v4, v2, vcc
	v_cndmask_b32_e32 v4, v6, v7, vcc
	v_lshlrev_b32_e32 v6, 8, v12
	v_and_b32_e32 v6, 0x80000000, v6
	v_lshl_add_u32 v2, v2, 23, v6
	v_lshl_or_b32 v2, v4, 21, v2
	v_add_u32_e32 v4, 0x38000000, v2
                                        ; implicit-def: $vgpr6
                                        ; implicit-def: $vgpr2
.LBB4_3608:                             ;   in Loop: Header=BB4_2956 Depth=3
	s_andn2_saveexec_b64 s[34:35], s[34:35]
; %bb.3609:                             ;   in Loop: Header=BB4_2956 Depth=3
	v_mov_b32_e32 v4, -1
	v_cmp_gt_i16_sdwa vcc, sext(v2), v4 src0_sel:BYTE_0 src1_sel:DWORD
	v_mov_b32_e32 v2, 0xff800000
	v_cndmask_b32_e32 v2, v2, v47, vcc
	v_cmp_eq_u32_e32 vcc, 0, v6
	v_mov_b32_e32 v4, 0x7f800001
	v_cndmask_b32_e32 v4, v4, v2, vcc
; %bb.3610:                             ;   in Loop: Header=BB4_2956 Depth=3
	s_or_b64 exec, exec, s[34:35]
.LBB4_3611:                             ;   in Loop: Header=BB4_2956 Depth=3
	s_or_b64 exec, exec, s[30:31]
.LBB4_3612:                             ;   in Loop: Header=BB4_2956 Depth=3
	s_or_b64 exec, exec, s[28:29]
	v_lshrrev_b32_e32 v2, 16, v8
	v_cmp_ne_u16_sdwa vcc, v2, v61 src0_sel:BYTE_0 src1_sel:DWORD
	s_and_saveexec_b64 s[28:29], vcc
	s_cbranch_execz .LBB4_3620
; %bb.3613:                             ;   in Loop: Header=BB4_2956 Depth=3
	v_cmp_ne_u16_sdwa vcc, v2, s81 src0_sel:BYTE_0 src1_sel:DWORD
	v_bfrev_b32_e32 v3, 1
	s_and_saveexec_b64 s[30:31], vcc
	s_cbranch_execz .LBB4_3619
; %bb.3614:                             ;   in Loop: Header=BB4_2956 Depth=3
	v_and_b32_e32 v3, 0x7c0000, v8
	v_bfe_u32 v6, v8, 16, 2
	v_cmp_ne_u32_e32 vcc, s45, v3
                                        ; implicit-def: $vgpr3
	s_and_saveexec_b64 s[34:35], vcc
	s_xor_b64 s[34:35], exec, s[34:35]
	s_cbranch_execz .LBB4_3616
; %bb.3615:                             ;   in Loop: Header=BB4_2956 Depth=3
	v_ffbh_u32_e32 v3, v6
	v_min_u32_e32 v23, 32, v3
	v_subrev_u32_e32 v3, 29, v23
	v_lshlrev_b64 v[2:3], v3, v[2:3]
	v_bfe_u32 v7, v8, 18, 5
	v_and_b32_e32 v2, 3, v2
	v_cmp_eq_u32_e32 vcc, 0, v7
	v_sub_u32_e32 v3, 30, v23
	v_cndmask_b32_e32 v2, v6, v2, vcc
	v_lshlrev_b32_e32 v6, 8, v8
	v_cndmask_b32_e32 v3, v7, v3, vcc
	v_and_b32_e32 v6, 0x80000000, v6
	v_lshl_add_u32 v3, v3, 23, v6
	v_lshl_or_b32 v2, v2, 21, v3
	v_add_u32_e32 v3, 0x38000000, v2
                                        ; implicit-def: $vgpr6
                                        ; implicit-def: $vgpr2
.LBB4_3616:                             ;   in Loop: Header=BB4_2956 Depth=3
	s_andn2_saveexec_b64 s[34:35], s[34:35]
; %bb.3617:                             ;   in Loop: Header=BB4_2956 Depth=3
	v_mov_b32_e32 v3, -1
	v_cmp_gt_i16_sdwa vcc, sext(v2), v3 src0_sel:BYTE_0 src1_sel:DWORD
	v_mov_b32_e32 v2, 0xff800000
	v_cndmask_b32_e32 v2, v2, v47, vcc
	v_cmp_eq_u32_e32 vcc, 0, v6
	v_mov_b32_e32 v3, 0x7f800001
	v_cndmask_b32_e32 v3, v3, v2, vcc
; %bb.3618:                             ;   in Loop: Header=BB4_2956 Depth=3
	s_or_b64 exec, exec, s[34:35]
.LBB4_3619:                             ;   in Loop: Header=BB4_2956 Depth=3
	s_or_b64 exec, exec, s[30:31]
.LBB4_3620:                             ;   in Loop: Header=BB4_2956 Depth=3
	s_or_b64 exec, exec, s[28:29]
	v_mul_f32_e32 v2, v4, v3
	v_and_b32_e32 v3, 0x7f800000, v2
	v_mov_b32_e32 v4, v61
	v_cmp_ne_u64_e32 vcc, s[62:63], v[3:4]
	v_and_b32_e32 v60, 0x7fffff, v2
                                        ; implicit-def: $vgpr23
	s_and_saveexec_b64 s[28:29], vcc
	s_xor_b64 s[30:31], exec, s[28:29]
	s_cbranch_execz .LBB4_3634
; %bb.3621:                             ;   in Loop: Header=BB4_2956 Depth=3
	v_and_b32_e32 v3, 0x7fffffff, v2
	v_mov_b32_e32 v4, v61
	v_cmp_gt_u64_e32 vcc, s[78:79], v[3:4]
	v_and_b32_sdwa v52, v2, s81 dst_sel:DWORD dst_unused:UNUSED_PAD src0_sel:BYTE_3 src1_sel:DWORD
                                        ; implicit-def: $vgpr23
	s_and_saveexec_b64 s[28:29], vcc
	s_xor_b64 s[34:35], exec, s[28:29]
	s_cbranch_execz .LBB4_3631
; %bb.3622:                             ;   in Loop: Header=BB4_2956 Depth=3
	v_mov_b32_e32 v23, 0
	v_cmp_ne_u32_e32 vcc, 0, v2
	s_and_saveexec_b64 s[36:37], vcc
	s_cbranch_execz .LBB4_3630
; %bb.3623:                             ;   in Loop: Header=BB4_2956 Depth=3
	v_bfe_u32 v23, v2, 23, 8
	v_cmp_gt_u32_e64 s[28:29], s47, v23
	v_sub_u32_e32 v2, 0x71, v23
	v_cmp_eq_u32_e32 vcc, 0, v23
	v_cndmask_b32_e64 v2, 0, v2, s[28:29]
	v_mov_b32_e32 v4, 0x70
	v_cndmask_b32_e32 v53, v2, v4, vcc
	v_add_u32_e32 v4, 21, v53
	v_or_b32_e32 v3, 0x800000, v60
	v_lshlrev_b64 v[54:55], v4, -1
	v_cndmask_b32_e32 v2, v3, v60, vcc
	v_mov_b32_e32 v3, v61
	v_add_u32_e32 v4, 20, v53
	v_bfi_b32 v54, v54, 0, v2
	v_lshlrev_b64 v[42:43], v4, 1
	v_lshrrev_b64 v[2:3], v53, v[2:3]
	v_bfi_b32 v55, v55, 0, 0
	v_cmp_eq_u64_e64 s[28:29], v[54:55], v[42:43]
	v_mov_b32_e32 v4, v3
	v_mov_b32_e32 v3, v2
	s_and_saveexec_b64 s[38:39], s[28:29]
; %bb.3624:                             ;   in Loop: Header=BB4_2956 Depth=3
	v_bfe_u32 v3, v2, 21, 1
	v_add_co_u32_e64 v3, s[28:29], v2, v3
	v_add_co_u32_e64 v3, s[28:29], -1, v3
; %bb.3625:                             ;   in Loop: Header=BB4_2956 Depth=3
	s_or_b64 exec, exec, s[38:39]
	v_add_u32_e32 v4, 0xffffff81, v23
	v_mov_b32_e32 v6, 0xffffff82
	v_cndmask_b32_e32 v4, v4, v6, vcc
	v_lshrrev_b32_e32 v6, 23, v2
	v_add3_u32 v23, v53, v4, v6
	v_add_u32_e32 v6, 14, v23
	v_and_b32_e32 v3, 0x1fffff, v3
	v_add_u32_e32 v60, v3, v2
	v_cmp_ne_u32_e32 vcc, 0, v6
                                        ; implicit-def: $vgpr2_vgpr3
                                        ; implicit-def: $vgpr4
	s_and_saveexec_b64 s[28:29], vcc
	s_xor_b64 s[28:29], exec, s[28:29]
; %bb.3626:                             ;   in Loop: Header=BB4_2956 Depth=3
	v_cmp_lt_u64_e32 vcc, s[88:89], v[60:61]
	v_add_u32_e32 v2, 15, v23
	v_cndmask_b32_e32 v4, v6, v2, vcc
	v_cndmask_b32_e64 v2, 0, 1, vcc
	v_lshrrev_b64 v[2:3], v2, v[60:61]
; %bb.3627:                             ;   in Loop: Header=BB4_2956 Depth=3
	s_andn2_saveexec_b64 s[28:29], s[28:29]
; %bb.3628:                             ;   in Loop: Header=BB4_2956 Depth=3
	v_mov_b32_e32 v2, v60
	v_mov_b32_e32 v3, v61
	v_bfe_u32 v4, v60, 23, 1
; %bb.3629:                             ;   in Loop: Header=BB4_2956 Depth=3
	s_or_b64 exec, exec, s[28:29]
	v_lshrrev_b64 v[2:3], 21, v[2:3]
	v_cmp_gt_i32_e32 vcc, 32, v4
	v_cndmask_b32_e32 v3, 0, v3, vcc
	v_cndmask_b32_e32 v2, 3, v2, vcc
	v_cmp_eq_u64_e64 s[28:29], 0, v[2:3]
	v_min_i32_e32 v3, 31, v4
	v_lshlrev_b32_e32 v3, 2, v3
	v_cmp_eq_u32_e32 vcc, 0, v4
	v_and_b32_e32 v3, 0xfc, v3
	v_and_or_b32 v2, v2, 3, v3
	s_and_b64 s[28:29], vcc, s[28:29]
	v_cndmask_b32_e64 v2, v2, 0, s[28:29]
	v_or_b32_e32 v23, v2, v52
.LBB4_3630:                             ;   in Loop: Header=BB4_2956 Depth=3
	s_or_b64 exec, exec, s[36:37]
                                        ; implicit-def: $vgpr52
.LBB4_3631:                             ;   in Loop: Header=BB4_2956 Depth=3
	s_andn2_saveexec_b64 s[28:29], s[34:35]
; %bb.3632:                             ;   in Loop: Header=BB4_2956 Depth=3
	v_or_b32_e32 v23, 0x7b, v52
; %bb.3633:                             ;   in Loop: Header=BB4_2956 Depth=3
	s_or_b64 exec, exec, s[28:29]
                                        ; implicit-def: $vgpr2
.LBB4_3634:                             ;   in Loop: Header=BB4_2956 Depth=3
	s_andn2_saveexec_b64 s[28:29], s[30:31]
	s_cbranch_execz .LBB4_3640
; %bb.3635:                             ;   in Loop: Header=BB4_2956 Depth=3
	v_cmp_ne_u64_e32 vcc, 0, v[60:61]
                                        ; implicit-def: $vgpr23
	s_and_saveexec_b64 s[30:31], vcc
	s_xor_b64 vcc, exec, s[30:31]
; %bb.3636:                             ;   in Loop: Header=BB4_2956 Depth=3
	v_or_b32_sdwa v23, v2, s44 dst_sel:DWORD dst_unused:UNUSED_PAD src0_sel:BYTE_3 src1_sel:DWORD
                                        ; implicit-def: $vgpr2
; %bb.3637:                             ;   in Loop: Header=BB4_2956 Depth=3
	s_andn2_saveexec_b64 s[30:31], vcc
; %bb.3638:                             ;   in Loop: Header=BB4_2956 Depth=3
	v_cmp_lt_i32_e32 vcc, -1, v2
	v_bfrev_b32_e32 v2, 0.5
	v_mov_b32_e32 v3, 0x7c
	v_cndmask_b32_e32 v23, v2, v3, vcc
; %bb.3639:                             ;   in Loop: Header=BB4_2956 Depth=3
	s_or_b64 exec, exec, s[30:31]
.LBB4_3640:                             ;   in Loop: Header=BB4_2956 Depth=3
	s_or_b64 exec, exec, s[28:29]
	v_cmp_lt_u32_e32 vcc, s57, v12
	v_mov_b32_e32 v3, 0
	v_mov_b32_e32 v4, 0
	s_and_saveexec_b64 s[28:29], vcc
	s_cbranch_execz .LBB4_3648
; %bb.3641:                             ;   in Loop: Header=BB4_2956 Depth=3
	v_lshrrev_b32_e32 v2, 24, v12
	v_cmp_ne_u32_e32 vcc, s81, v2
	v_bfrev_b32_e32 v4, 1
	s_and_saveexec_b64 s[30:31], vcc
	s_cbranch_execz .LBB4_3647
; %bb.3642:                             ;   in Loop: Header=BB4_2956 Depth=3
	v_and_b32_e32 v4, 0x7c000000, v12
	v_bfe_u32 v6, v12, 24, 2
	v_cmp_ne_u32_e32 vcc, s82, v4
                                        ; implicit-def: $vgpr4
	s_and_saveexec_b64 s[34:35], vcc
	s_xor_b64 s[34:35], exec, s[34:35]
	s_cbranch_execz .LBB4_3644
; %bb.3643:                             ;   in Loop: Header=BB4_2956 Depth=3
	v_ffbh_u32_e32 v7, v6
	v_min_u32_e32 v7, 32, v7
	v_subrev_u32_e32 v24, 29, v7
	v_lshlrev_b64 v[52:53], v24, v[2:3]
	v_bfe_u32 v4, v12, 26, 5
	v_sub_u32_e32 v2, 30, v7
	v_and_b32_e32 v7, 3, v52
	v_cmp_eq_u32_e32 vcc, 0, v4
	v_cndmask_b32_e32 v2, v4, v2, vcc
	v_cndmask_b32_e32 v4, v6, v7, vcc
	v_and_b32_e32 v6, 0x80000000, v12
	v_lshl_add_u32 v2, v2, 23, v6
	v_lshl_or_b32 v2, v4, 21, v2
	v_add_u32_e32 v4, 0x38000000, v2
                                        ; implicit-def: $vgpr6
.LBB4_3644:                             ;   in Loop: Header=BB4_2956 Depth=3
	s_andn2_saveexec_b64 s[34:35], s[34:35]
; %bb.3645:                             ;   in Loop: Header=BB4_2956 Depth=3
	v_cmp_lt_i32_e32 vcc, -1, v12
	v_mov_b32_e32 v2, 0xff800000
	v_cndmask_b32_e32 v2, v2, v47, vcc
	v_cmp_eq_u32_e32 vcc, 0, v6
	v_mov_b32_e32 v4, 0x7f800001
	v_cndmask_b32_e32 v4, v4, v2, vcc
; %bb.3646:                             ;   in Loop: Header=BB4_2956 Depth=3
	s_or_b64 exec, exec, s[34:35]
.LBB4_3647:                             ;   in Loop: Header=BB4_2956 Depth=3
	s_or_b64 exec, exec, s[30:31]
.LBB4_3648:                             ;   in Loop: Header=BB4_2956 Depth=3
	s_or_b64 exec, exec, s[28:29]
	v_cmp_lt_u32_e32 vcc, s57, v8
	s_and_saveexec_b64 s[28:29], vcc
	s_cbranch_execz .LBB4_3656
; %bb.3649:                             ;   in Loop: Header=BB4_2956 Depth=3
	v_lshrrev_b32_e32 v2, 24, v8
	v_cmp_ne_u32_e32 vcc, s81, v2
	v_bfrev_b32_e32 v3, 1
	s_and_saveexec_b64 s[30:31], vcc
	s_cbranch_execz .LBB4_3655
; %bb.3650:                             ;   in Loop: Header=BB4_2956 Depth=3
	v_and_b32_e32 v3, 0x7c000000, v8
	v_bfe_u32 v6, v8, 24, 2
	v_cmp_ne_u32_e32 vcc, s82, v3
                                        ; implicit-def: $vgpr3
	s_and_saveexec_b64 s[34:35], vcc
	s_xor_b64 s[34:35], exec, s[34:35]
	s_cbranch_execz .LBB4_3652
; %bb.3651:                             ;   in Loop: Header=BB4_2956 Depth=3
	v_ffbh_u32_e32 v3, v6
	v_min_u32_e32 v24, 32, v3
	v_subrev_u32_e32 v3, 29, v24
	v_lshlrev_b64 v[2:3], v3, v[2:3]
	v_bfe_u32 v7, v8, 26, 5
	v_sub_u32_e32 v3, 30, v24
	v_and_b32_e32 v2, 3, v2
	v_cmp_eq_u32_e32 vcc, 0, v7
	v_cndmask_b32_e32 v3, v7, v3, vcc
	v_cndmask_b32_e32 v2, v6, v2, vcc
	v_and_b32_e32 v6, 0x80000000, v8
	v_lshl_add_u32 v3, v3, 23, v6
	v_lshl_or_b32 v2, v2, 21, v3
	v_add_u32_e32 v3, 0x38000000, v2
                                        ; implicit-def: $vgpr6
.LBB4_3652:                             ;   in Loop: Header=BB4_2956 Depth=3
	s_andn2_saveexec_b64 s[34:35], s[34:35]
; %bb.3653:                             ;   in Loop: Header=BB4_2956 Depth=3
	v_cmp_lt_i32_e32 vcc, -1, v8
	v_mov_b32_e32 v2, 0xff800000
	v_cndmask_b32_e32 v2, v2, v47, vcc
	v_cmp_eq_u32_e32 vcc, 0, v6
	v_mov_b32_e32 v3, 0x7f800001
	v_cndmask_b32_e32 v3, v3, v2, vcc
; %bb.3654:                             ;   in Loop: Header=BB4_2956 Depth=3
	s_or_b64 exec, exec, s[34:35]
.LBB4_3655:                             ;   in Loop: Header=BB4_2956 Depth=3
	s_or_b64 exec, exec, s[30:31]
.LBB4_3656:                             ;   in Loop: Header=BB4_2956 Depth=3
	s_or_b64 exec, exec, s[28:29]
	v_mul_f32_e32 v2, v4, v3
	v_and_b32_e32 v3, 0x7f800000, v2
	v_mov_b32_e32 v4, v61
	v_cmp_ne_u64_e32 vcc, s[62:63], v[3:4]
	v_and_b32_e32 v60, 0x7fffff, v2
                                        ; implicit-def: $vgpr52
	s_and_saveexec_b64 s[28:29], vcc
	s_xor_b64 s[30:31], exec, s[28:29]
	s_cbranch_execz .LBB4_3670
; %bb.3657:                             ;   in Loop: Header=BB4_2956 Depth=3
	v_and_b32_e32 v3, 0x7fffffff, v2
	v_mov_b32_e32 v4, v61
	v_cmp_gt_u64_e32 vcc, s[78:79], v[3:4]
	v_and_b32_sdwa v53, v2, s81 dst_sel:DWORD dst_unused:UNUSED_PAD src0_sel:BYTE_3 src1_sel:DWORD
                                        ; implicit-def: $vgpr52
	s_and_saveexec_b64 s[28:29], vcc
	s_xor_b64 s[34:35], exec, s[28:29]
	s_cbranch_execz .LBB4_3667
; %bb.3658:                             ;   in Loop: Header=BB4_2956 Depth=3
	v_mov_b32_e32 v52, 0
	v_cmp_ne_u32_e32 vcc, 0, v2
	s_and_saveexec_b64 s[36:37], vcc
	s_cbranch_execz .LBB4_3666
; %bb.3659:                             ;   in Loop: Header=BB4_2956 Depth=3
	v_bfe_u32 v52, v2, 23, 8
	v_cmp_gt_u32_e64 s[28:29], s47, v52
	v_sub_u32_e32 v2, 0x71, v52
	v_cmp_eq_u32_e32 vcc, 0, v52
	v_cndmask_b32_e64 v2, 0, v2, s[28:29]
	v_mov_b32_e32 v4, 0x70
	v_cndmask_b32_e32 v54, v2, v4, vcc
	v_add_u32_e32 v4, 21, v54
	v_or_b32_e32 v3, 0x800000, v60
	v_lshlrev_b64 v[42:43], v4, -1
	v_cndmask_b32_e32 v2, v3, v60, vcc
	v_mov_b32_e32 v3, v61
	v_add_u32_e32 v4, 20, v54
	v_bfi_b32 v42, v42, 0, v2
	v_lshlrev_b64 v[55:56], v4, 1
	v_lshrrev_b64 v[2:3], v54, v[2:3]
	v_bfi_b32 v43, v43, 0, 0
	v_cmp_eq_u64_e64 s[28:29], v[42:43], v[55:56]
	v_mov_b32_e32 v4, v3
	v_mov_b32_e32 v3, v2
	s_and_saveexec_b64 s[38:39], s[28:29]
; %bb.3660:                             ;   in Loop: Header=BB4_2956 Depth=3
	v_bfe_u32 v3, v2, 21, 1
	v_add_co_u32_e64 v3, s[28:29], v2, v3
	v_add_co_u32_e64 v3, s[28:29], -1, v3
; %bb.3661:                             ;   in Loop: Header=BB4_2956 Depth=3
	s_or_b64 exec, exec, s[38:39]
	v_add_u32_e32 v4, 0xffffff81, v52
	v_mov_b32_e32 v6, 0xffffff82
	v_cndmask_b32_e32 v4, v4, v6, vcc
	v_lshrrev_b32_e32 v6, 23, v2
	v_add3_u32 v52, v54, v4, v6
	v_add_u32_e32 v6, 14, v52
	v_and_b32_e32 v3, 0x1fffff, v3
	v_add_u32_e32 v60, v3, v2
	v_cmp_ne_u32_e32 vcc, 0, v6
                                        ; implicit-def: $vgpr2_vgpr3
                                        ; implicit-def: $vgpr4
	s_and_saveexec_b64 s[28:29], vcc
	s_xor_b64 s[28:29], exec, s[28:29]
; %bb.3662:                             ;   in Loop: Header=BB4_2956 Depth=3
	v_cmp_lt_u64_e32 vcc, s[88:89], v[60:61]
	v_add_u32_e32 v2, 15, v52
	v_cndmask_b32_e32 v4, v6, v2, vcc
	v_cndmask_b32_e64 v2, 0, 1, vcc
	v_lshrrev_b64 v[2:3], v2, v[60:61]
; %bb.3663:                             ;   in Loop: Header=BB4_2956 Depth=3
	s_andn2_saveexec_b64 s[28:29], s[28:29]
; %bb.3664:                             ;   in Loop: Header=BB4_2956 Depth=3
	v_mov_b32_e32 v2, v60
	v_mov_b32_e32 v3, v61
	v_bfe_u32 v4, v60, 23, 1
; %bb.3665:                             ;   in Loop: Header=BB4_2956 Depth=3
	s_or_b64 exec, exec, s[28:29]
	v_lshrrev_b64 v[2:3], 21, v[2:3]
	v_cmp_gt_i32_e32 vcc, 32, v4
	v_cndmask_b32_e32 v3, 0, v3, vcc
	v_cndmask_b32_e32 v2, 3, v2, vcc
	v_cmp_eq_u64_e64 s[28:29], 0, v[2:3]
	v_min_i32_e32 v3, 31, v4
	v_lshlrev_b32_e32 v3, 2, v3
	v_cmp_eq_u32_e32 vcc, 0, v4
	v_and_b32_e32 v3, 0xfc, v3
	v_and_or_b32 v2, v2, 3, v3
	s_and_b64 s[28:29], vcc, s[28:29]
	v_cndmask_b32_e64 v2, v2, 0, s[28:29]
	v_or_b32_e32 v52, v2, v53
.LBB4_3666:                             ;   in Loop: Header=BB4_2956 Depth=3
	s_or_b64 exec, exec, s[36:37]
                                        ; implicit-def: $vgpr53
.LBB4_3667:                             ;   in Loop: Header=BB4_2956 Depth=3
	s_andn2_saveexec_b64 s[28:29], s[34:35]
; %bb.3668:                             ;   in Loop: Header=BB4_2956 Depth=3
	v_or_b32_e32 v52, 0x7b, v53
; %bb.3669:                             ;   in Loop: Header=BB4_2956 Depth=3
	s_or_b64 exec, exec, s[28:29]
                                        ; implicit-def: $vgpr2
.LBB4_3670:                             ;   in Loop: Header=BB4_2956 Depth=3
	s_andn2_saveexec_b64 s[28:29], s[30:31]
	s_cbranch_execz .LBB4_3676
; %bb.3671:                             ;   in Loop: Header=BB4_2956 Depth=3
	v_cmp_ne_u64_e32 vcc, 0, v[60:61]
                                        ; implicit-def: $vgpr52
	s_and_saveexec_b64 s[30:31], vcc
	s_xor_b64 vcc, exec, s[30:31]
; %bb.3672:                             ;   in Loop: Header=BB4_2956 Depth=3
	v_or_b32_sdwa v52, v2, s44 dst_sel:DWORD dst_unused:UNUSED_PAD src0_sel:BYTE_3 src1_sel:DWORD
                                        ; implicit-def: $vgpr2
; %bb.3673:                             ;   in Loop: Header=BB4_2956 Depth=3
	s_andn2_saveexec_b64 s[30:31], vcc
; %bb.3674:                             ;   in Loop: Header=BB4_2956 Depth=3
	v_cmp_lt_i32_e32 vcc, -1, v2
	v_bfrev_b32_e32 v2, 0.5
	v_mov_b32_e32 v3, 0x7c
	v_cndmask_b32_e32 v52, v2, v3, vcc
; %bb.3675:                             ;   in Loop: Header=BB4_2956 Depth=3
	s_or_b64 exec, exec, s[30:31]
.LBB4_3676:                             ;   in Loop: Header=BB4_2956 Depth=3
	s_or_b64 exec, exec, s[28:29]
	v_mov_b32_e32 v60, v13
	v_cmp_ne_u16_sdwa vcc, v13, v61 src0_sel:BYTE_0 src1_sel:DWORD
	v_mov_b32_e32 v3, 0
	v_mov_b32_e32 v2, 0
	s_and_saveexec_b64 s[28:29], vcc
	s_cbranch_execz .LBB4_3684
; %bb.3677:                             ;   in Loop: Header=BB4_2956 Depth=3
	v_cmp_ne_u16_sdwa vcc, v13, s81 src0_sel:BYTE_0 src1_sel:DWORD
	v_bfrev_b32_e32 v2, 1
	s_and_saveexec_b64 s[30:31], vcc
	s_cbranch_execz .LBB4_3683
; %bb.3678:                             ;   in Loop: Header=BB4_2956 Depth=3
	v_and_b32_e32 v2, 0x7c, v13
	v_and_b32_e32 v4, 3, v13
	v_cmp_ne_u32_e32 vcc, s71, v2
                                        ; implicit-def: $vgpr2
	s_and_saveexec_b64 s[34:35], vcc
	s_xor_b64 s[34:35], exec, s[34:35]
	s_cbranch_execz .LBB4_3680
; %bb.3679:                             ;   in Loop: Header=BB4_2956 Depth=3
	v_ffbh_u32_e32 v6, v4
	v_min_u32_e32 v6, 32, v6
	v_bfe_u32 v2, v13, 2, 5
	v_subrev_u32_e32 v7, 29, v6
	v_lshlrev_b64 v[53:54], v7, v[60:61]
	v_sub_u32_e32 v6, 30, v6
	v_cmp_eq_u32_e32 vcc, 0, v2
	v_cndmask_b32_e32 v2, v2, v6, vcc
	v_lshlrev_b32_e32 v6, 24, v13
	v_and_b32_e32 v7, 3, v53
	v_and_b32_e32 v6, 0x80000000, v6
	v_cndmask_b32_e32 v4, v4, v7, vcc
	v_lshl_add_u32 v2, v2, 23, v6
	v_lshl_or_b32 v2, v4, 21, v2
	v_add_u32_e32 v2, 0x38000000, v2
                                        ; implicit-def: $vgpr4
.LBB4_3680:                             ;   in Loop: Header=BB4_2956 Depth=3
	s_andn2_saveexec_b64 s[34:35], s[34:35]
; %bb.3681:                             ;   in Loop: Header=BB4_2956 Depth=3
	v_mov_b32_e32 v2, -1
	v_cmp_gt_i16_sdwa vcc, sext(v13), v2 src0_sel:BYTE_0 src1_sel:DWORD
	v_mov_b32_e32 v2, 0xff800000
	v_cndmask_b32_e32 v2, v2, v47, vcc
	v_cmp_eq_u32_e32 vcc, 0, v4
	v_mov_b32_e32 v4, 0x7f800001
	v_cndmask_b32_e32 v2, v4, v2, vcc
; %bb.3682:                             ;   in Loop: Header=BB4_2956 Depth=3
	s_or_b64 exec, exec, s[34:35]
.LBB4_3683:                             ;   in Loop: Header=BB4_2956 Depth=3
	s_or_b64 exec, exec, s[30:31]
.LBB4_3684:                             ;   in Loop: Header=BB4_2956 Depth=3
	s_or_b64 exec, exec, s[28:29]
	v_cmp_ne_u16_sdwa vcc, v9, v61 src0_sel:BYTE_0 src1_sel:DWORD
	s_and_saveexec_b64 s[28:29], vcc
	s_cbranch_execz .LBB4_3692
; %bb.3685:                             ;   in Loop: Header=BB4_2956 Depth=3
	v_cmp_ne_u16_sdwa vcc, v9, s81 src0_sel:BYTE_0 src1_sel:DWORD
	v_bfrev_b32_e32 v3, 1
	s_and_saveexec_b64 s[30:31], vcc
	s_cbranch_execz .LBB4_3691
; %bb.3686:                             ;   in Loop: Header=BB4_2956 Depth=3
	v_and_b32_e32 v3, 0x7c, v9
	v_and_b32_e32 v4, 3, v9
	v_cmp_ne_u32_e32 vcc, s71, v3
                                        ; implicit-def: $vgpr3
	s_and_saveexec_b64 s[34:35], vcc
	s_xor_b64 s[34:35], exec, s[34:35]
	s_cbranch_execz .LBB4_3688
; %bb.3687:                             ;   in Loop: Header=BB4_2956 Depth=3
	v_ffbh_u32_e32 v6, v4
	v_min_u32_e32 v6, 32, v6
	v_mov_b32_e32 v53, v9
	v_mov_b32_e32 v54, v61
	v_bfe_u32 v3, v9, 2, 5
	v_subrev_u32_e32 v7, 29, v6
	v_lshlrev_b64 v[53:54], v7, v[53:54]
	v_sub_u32_e32 v6, 30, v6
	v_cmp_eq_u32_e32 vcc, 0, v3
	v_cndmask_b32_e32 v3, v3, v6, vcc
	v_lshlrev_b32_e32 v6, 24, v9
	v_and_b32_e32 v7, 3, v53
	v_and_b32_e32 v6, 0x80000000, v6
	v_cndmask_b32_e32 v4, v4, v7, vcc
	v_lshl_add_u32 v3, v3, 23, v6
	v_lshl_or_b32 v3, v4, 21, v3
	v_add_u32_e32 v3, 0x38000000, v3
                                        ; implicit-def: $vgpr4
.LBB4_3688:                             ;   in Loop: Header=BB4_2956 Depth=3
	s_andn2_saveexec_b64 s[34:35], s[34:35]
; %bb.3689:                             ;   in Loop: Header=BB4_2956 Depth=3
	v_mov_b32_e32 v3, -1
	v_cmp_gt_i16_sdwa vcc, sext(v9), v3 src0_sel:BYTE_0 src1_sel:DWORD
	v_mov_b32_e32 v3, 0xff800000
	v_cndmask_b32_e32 v3, v3, v47, vcc
	v_cmp_eq_u32_e32 vcc, 0, v4
	v_mov_b32_e32 v4, 0x7f800001
	v_cndmask_b32_e32 v3, v4, v3, vcc
; %bb.3690:                             ;   in Loop: Header=BB4_2956 Depth=3
	s_or_b64 exec, exec, s[34:35]
.LBB4_3691:                             ;   in Loop: Header=BB4_2956 Depth=3
	s_or_b64 exec, exec, s[30:31]
.LBB4_3692:                             ;   in Loop: Header=BB4_2956 Depth=3
	s_or_b64 exec, exec, s[28:29]
	v_mul_f32_e32 v4, v2, v3
	v_and_b32_e32 v53, 0x7f800000, v4
	v_mov_b32_e32 v54, v61
	v_cmp_ne_u64_e32 vcc, s[62:63], v[53:54]
	v_and_b32_e32 v2, 0x7fffff, v4
	v_mov_b32_e32 v3, v61
                                        ; implicit-def: $vgpr53
	s_and_saveexec_b64 s[28:29], vcc
	s_xor_b64 s[30:31], exec, s[28:29]
	s_cbranch_execz .LBB4_3706
; %bb.3693:                             ;   in Loop: Header=BB4_2956 Depth=3
	v_and_b32_e32 v53, 0x7fffffff, v4
	v_mov_b32_e32 v54, v61
	v_cmp_gt_u64_e32 vcc, s[78:79], v[53:54]
	v_and_b32_sdwa v54, v4, s81 dst_sel:DWORD dst_unused:UNUSED_PAD src0_sel:BYTE_3 src1_sel:DWORD
                                        ; implicit-def: $vgpr53
	s_and_saveexec_b64 s[28:29], vcc
	s_xor_b64 s[34:35], exec, s[28:29]
	s_cbranch_execz .LBB4_3703
; %bb.3694:                             ;   in Loop: Header=BB4_2956 Depth=3
	v_mov_b32_e32 v53, 0
	v_cmp_ne_u32_e32 vcc, 0, v4
	s_and_saveexec_b64 s[36:37], vcc
	s_cbranch_execz .LBB4_3702
; %bb.3695:                             ;   in Loop: Header=BB4_2956 Depth=3
	v_bfe_u32 v53, v4, 23, 8
	v_cmp_gt_u32_e64 s[28:29], s47, v53
	v_sub_u32_e32 v4, 0x71, v53
	v_cmp_eq_u32_e32 vcc, 0, v53
	v_cndmask_b32_e64 v4, 0, v4, s[28:29]
	v_mov_b32_e32 v7, 0x70
	v_cndmask_b32_e32 v55, v4, v7, vcc
	v_add_u32_e32 v4, 21, v55
	v_or_b32_e32 v6, 0x800000, v2
	v_lshlrev_b64 v[42:43], v4, -1
	v_cndmask_b32_e32 v2, v6, v2, vcc
	v_add_u32_e32 v4, 20, v55
	v_bfi_b32 v42, v42, 0, v2
	v_lshlrev_b64 v[56:57], v4, 1
	v_lshrrev_b64 v[2:3], v55, v[2:3]
	v_bfi_b32 v43, v43, 0, 0
	v_cmp_eq_u64_e64 s[28:29], v[42:43], v[56:57]
	v_mov_b32_e32 v4, v3
	v_mov_b32_e32 v3, v2
	s_and_saveexec_b64 s[38:39], s[28:29]
; %bb.3696:                             ;   in Loop: Header=BB4_2956 Depth=3
	v_bfe_u32 v3, v2, 21, 1
	v_add_co_u32_e64 v3, s[28:29], v2, v3
	v_add_co_u32_e64 v3, s[28:29], -1, v3
; %bb.3697:                             ;   in Loop: Header=BB4_2956 Depth=3
	s_or_b64 exec, exec, s[38:39]
	v_add_u32_e32 v4, 0xffffff81, v53
	v_mov_b32_e32 v6, 0xffffff82
	v_cndmask_b32_e32 v4, v4, v6, vcc
	v_lshrrev_b32_e32 v6, 23, v2
	v_add3_u32 v53, v55, v4, v6
	v_add_u32_e32 v6, 14, v53
	v_and_b32_e32 v3, 0x1fffff, v3
	v_add_u32_e32 v2, v3, v2
	v_mov_b32_e32 v3, v61
	v_cmp_ne_u32_e32 vcc, 0, v6
                                        ; implicit-def: $vgpr4
	s_and_saveexec_b64 s[28:29], vcc
	s_xor_b64 s[28:29], exec, s[28:29]
; %bb.3698:                             ;   in Loop: Header=BB4_2956 Depth=3
	v_cmp_lt_u64_e32 vcc, s[88:89], v[2:3]
	v_add_u32_e32 v4, 15, v53
	v_cndmask_b32_e32 v4, v6, v4, vcc
	v_cndmask_b32_e64 v6, 0, 1, vcc
	v_lshrrev_b64 v[2:3], v6, v[2:3]
; %bb.3699:                             ;   in Loop: Header=BB4_2956 Depth=3
	s_andn2_saveexec_b64 s[28:29], s[28:29]
; %bb.3700:                             ;   in Loop: Header=BB4_2956 Depth=3
	v_bfe_u32 v4, v2, 23, 1
; %bb.3701:                             ;   in Loop: Header=BB4_2956 Depth=3
	s_or_b64 exec, exec, s[28:29]
	v_lshrrev_b64 v[2:3], 21, v[2:3]
	v_cmp_gt_i32_e32 vcc, 32, v4
	v_cndmask_b32_e32 v3, 0, v3, vcc
	v_cndmask_b32_e32 v2, 3, v2, vcc
	v_cmp_eq_u64_e64 s[28:29], 0, v[2:3]
	v_min_i32_e32 v3, 31, v4
	v_lshlrev_b32_e32 v3, 2, v3
	v_cmp_eq_u32_e32 vcc, 0, v4
	v_and_b32_e32 v3, 0xfc, v3
	v_and_or_b32 v2, v2, 3, v3
	s_and_b64 s[28:29], vcc, s[28:29]
	v_cndmask_b32_e64 v2, v2, 0, s[28:29]
	v_or_b32_e32 v53, v2, v54
.LBB4_3702:                             ;   in Loop: Header=BB4_2956 Depth=3
	s_or_b64 exec, exec, s[36:37]
                                        ; implicit-def: $vgpr54
.LBB4_3703:                             ;   in Loop: Header=BB4_2956 Depth=3
	s_andn2_saveexec_b64 s[28:29], s[34:35]
; %bb.3704:                             ;   in Loop: Header=BB4_2956 Depth=3
	v_or_b32_e32 v53, 0x7b, v54
; %bb.3705:                             ;   in Loop: Header=BB4_2956 Depth=3
	s_or_b64 exec, exec, s[28:29]
                                        ; implicit-def: $vgpr4
                                        ; implicit-def: $vgpr2_vgpr3
.LBB4_3706:                             ;   in Loop: Header=BB4_2956 Depth=3
	s_andn2_saveexec_b64 s[28:29], s[30:31]
	s_cbranch_execz .LBB4_3712
; %bb.3707:                             ;   in Loop: Header=BB4_2956 Depth=3
	v_cmp_ne_u64_e32 vcc, 0, v[2:3]
                                        ; implicit-def: $vgpr53
	s_and_saveexec_b64 s[30:31], vcc
	s_xor_b64 vcc, exec, s[30:31]
; %bb.3708:                             ;   in Loop: Header=BB4_2956 Depth=3
	v_or_b32_sdwa v53, v4, s44 dst_sel:DWORD dst_unused:UNUSED_PAD src0_sel:BYTE_3 src1_sel:DWORD
                                        ; implicit-def: $vgpr4
; %bb.3709:                             ;   in Loop: Header=BB4_2956 Depth=3
	s_andn2_saveexec_b64 s[30:31], vcc
; %bb.3710:                             ;   in Loop: Header=BB4_2956 Depth=3
	v_cmp_lt_i32_e32 vcc, -1, v4
	v_bfrev_b32_e32 v2, 0.5
	v_mov_b32_e32 v3, 0x7c
	v_cndmask_b32_e32 v53, v2, v3, vcc
; %bb.3711:                             ;   in Loop: Header=BB4_2956 Depth=3
	s_or_b64 exec, exec, s[30:31]
.LBB4_3712:                             ;   in Loop: Header=BB4_2956 Depth=3
	s_or_b64 exec, exec, s[28:29]
	v_lshrrev_b16_e32 v2, 8, v60
	v_cmp_ne_u16_e32 vcc, 0, v2
	v_mov_b32_e32 v4, 0
	v_mov_b32_e32 v54, 0
	s_and_saveexec_b64 s[28:29], vcc
	s_cbranch_execz .LBB4_3720
; %bb.3713:                             ;   in Loop: Header=BB4_2956 Depth=3
	v_cmp_ne_u16_e32 vcc, s81, v2
	v_bfrev_b32_e32 v54, 1
	s_and_saveexec_b64 s[30:31], vcc
	s_cbranch_execz .LBB4_3719
; %bb.3714:                             ;   in Loop: Header=BB4_2956 Depth=3
	v_and_b32_e32 v3, 0x7c, v2
	v_and_b32_e32 v6, 3, v2
	v_cmp_ne_u32_e32 vcc, s71, v3
                                        ; implicit-def: $vgpr54
	s_and_saveexec_b64 s[34:35], vcc
	s_xor_b64 s[34:35], exec, s[34:35]
	s_cbranch_execz .LBB4_3716
; %bb.3715:                             ;   in Loop: Header=BB4_2956 Depth=3
	v_ffbh_u32_e32 v24, v6
	v_min_u32_e32 v24, 32, v24
	v_mov_b32_e32 v3, v61
	v_subrev_u32_e32 v25, 29, v24
	v_bfe_u32 v7, v2, 2, 5
	v_lshlrev_b64 v[2:3], v25, v[2:3]
	v_cmp_eq_u32_e32 vcc, 0, v7
	v_and_b32_e32 v2, 3, v2
	v_sub_u32_e32 v3, 30, v24
	v_cndmask_b32_e32 v2, v6, v2, vcc
	v_lshlrev_b32_e32 v6, 16, v60
	v_cndmask_b32_e32 v3, v7, v3, vcc
	v_and_b32_e32 v6, 0x80000000, v6
	v_lshl_add_u32 v3, v3, 23, v6
	v_lshl_or_b32 v2, v2, 21, v3
	v_add_u32_e32 v54, 0x38000000, v2
                                        ; implicit-def: $vgpr6
.LBB4_3716:                             ;   in Loop: Header=BB4_2956 Depth=3
	s_andn2_saveexec_b64 s[34:35], s[34:35]
; %bb.3717:                             ;   in Loop: Header=BB4_2956 Depth=3
	v_cmp_lt_i16_e32 vcc, -1, v60
	v_mov_b32_e32 v2, 0xff800000
	v_cndmask_b32_e32 v2, v2, v47, vcc
	v_cmp_eq_u32_e32 vcc, 0, v6
	v_mov_b32_e32 v3, 0x7f800001
	v_cndmask_b32_e32 v54, v3, v2, vcc
; %bb.3718:                             ;   in Loop: Header=BB4_2956 Depth=3
	s_or_b64 exec, exec, s[34:35]
.LBB4_3719:                             ;   in Loop: Header=BB4_2956 Depth=3
	s_or_b64 exec, exec, s[30:31]
.LBB4_3720:                             ;   in Loop: Header=BB4_2956 Depth=3
	s_or_b64 exec, exec, s[28:29]
	v_lshrrev_b16_e32 v2, 8, v9
	v_cmp_ne_u16_e32 vcc, 0, v2
	s_and_saveexec_b64 s[28:29], vcc
	s_cbranch_execz .LBB4_3728
; %bb.3721:                             ;   in Loop: Header=BB4_2956 Depth=3
	v_cmp_ne_u16_e32 vcc, s81, v2
	v_bfrev_b32_e32 v4, 1
	s_and_saveexec_b64 s[30:31], vcc
	s_cbranch_execz .LBB4_3727
; %bb.3722:                             ;   in Loop: Header=BB4_2956 Depth=3
	v_and_b32_e32 v3, 0x7c, v2
	v_and_b32_e32 v6, 3, v2
	v_cmp_ne_u32_e32 vcc, s71, v3
                                        ; implicit-def: $vgpr4
	s_and_saveexec_b64 s[34:35], vcc
	s_xor_b64 s[34:35], exec, s[34:35]
	s_cbranch_execz .LBB4_3724
; %bb.3723:                             ;   in Loop: Header=BB4_2956 Depth=3
	v_ffbh_u32_e32 v7, v6
	v_min_u32_e32 v7, 32, v7
	v_mov_b32_e32 v3, v61
	v_subrev_u32_e32 v24, 29, v7
	v_bfe_u32 v4, v2, 2, 5
	v_lshlrev_b64 v[2:3], v24, v[2:3]
	v_sub_u32_e32 v3, 30, v7
	v_cmp_eq_u32_e32 vcc, 0, v4
	v_cndmask_b32_e32 v3, v4, v3, vcc
	v_lshlrev_b32_e32 v4, 16, v9
	v_and_b32_e32 v2, 3, v2
	v_and_b32_e32 v4, 0x80000000, v4
	v_cndmask_b32_e32 v2, v6, v2, vcc
	v_lshl_add_u32 v3, v3, 23, v4
	v_lshl_or_b32 v2, v2, 21, v3
	v_add_u32_e32 v4, 0x38000000, v2
                                        ; implicit-def: $vgpr6
.LBB4_3724:                             ;   in Loop: Header=BB4_2956 Depth=3
	s_andn2_saveexec_b64 s[34:35], s[34:35]
; %bb.3725:                             ;   in Loop: Header=BB4_2956 Depth=3
	v_cmp_lt_i16_e32 vcc, -1, v9
	v_mov_b32_e32 v2, 0xff800000
	v_cndmask_b32_e32 v2, v2, v47, vcc
	v_cmp_eq_u32_e32 vcc, 0, v6
	v_mov_b32_e32 v3, 0x7f800001
	v_cndmask_b32_e32 v4, v3, v2, vcc
; %bb.3726:                             ;   in Loop: Header=BB4_2956 Depth=3
	s_or_b64 exec, exec, s[34:35]
.LBB4_3727:                             ;   in Loop: Header=BB4_2956 Depth=3
	s_or_b64 exec, exec, s[30:31]
.LBB4_3728:                             ;   in Loop: Header=BB4_2956 Depth=3
	s_or_b64 exec, exec, s[28:29]
	v_mul_f32_e32 v2, v54, v4
	v_and_b32_e32 v3, 0x7f800000, v2
	v_mov_b32_e32 v4, v61
	v_cmp_ne_u64_e32 vcc, s[62:63], v[3:4]
	v_and_b32_e32 v60, 0x7fffff, v2
                                        ; implicit-def: $vgpr54
	s_and_saveexec_b64 s[28:29], vcc
	s_xor_b64 s[30:31], exec, s[28:29]
	s_cbranch_execz .LBB4_3742
; %bb.3729:                             ;   in Loop: Header=BB4_2956 Depth=3
	v_and_b32_e32 v3, 0x7fffffff, v2
	v_mov_b32_e32 v4, v61
	v_cmp_gt_u64_e32 vcc, s[78:79], v[3:4]
	v_and_b32_sdwa v55, v2, s81 dst_sel:DWORD dst_unused:UNUSED_PAD src0_sel:BYTE_3 src1_sel:DWORD
                                        ; implicit-def: $vgpr54
	s_and_saveexec_b64 s[28:29], vcc
	s_xor_b64 s[34:35], exec, s[28:29]
	s_cbranch_execz .LBB4_3739
; %bb.3730:                             ;   in Loop: Header=BB4_2956 Depth=3
	v_mov_b32_e32 v54, 0
	v_cmp_ne_u32_e32 vcc, 0, v2
	s_and_saveexec_b64 s[36:37], vcc
	s_cbranch_execz .LBB4_3738
; %bb.3731:                             ;   in Loop: Header=BB4_2956 Depth=3
	v_bfe_u32 v54, v2, 23, 8
	v_cmp_gt_u32_e64 s[28:29], s47, v54
	v_sub_u32_e32 v2, 0x71, v54
	v_cmp_eq_u32_e32 vcc, 0, v54
	v_cndmask_b32_e64 v2, 0, v2, s[28:29]
	v_mov_b32_e32 v4, 0x70
	v_cndmask_b32_e32 v42, v2, v4, vcc
	v_add_u32_e32 v4, 21, v42
	v_or_b32_e32 v3, 0x800000, v60
	v_lshlrev_b64 v[43:44], v4, -1
	v_cndmask_b32_e32 v2, v3, v60, vcc
	v_mov_b32_e32 v3, v61
	v_add_u32_e32 v4, 20, v42
	v_bfi_b32 v43, v43, 0, v2
	v_lshlrev_b64 v[56:57], v4, 1
	v_lshrrev_b64 v[2:3], v42, v[2:3]
	v_bfi_b32 v44, v44, 0, 0
	v_cmp_eq_u64_e64 s[28:29], v[43:44], v[56:57]
	v_mov_b32_e32 v4, v3
	v_mov_b32_e32 v3, v2
	s_and_saveexec_b64 s[38:39], s[28:29]
; %bb.3732:                             ;   in Loop: Header=BB4_2956 Depth=3
	v_bfe_u32 v3, v2, 21, 1
	v_add_co_u32_e64 v3, s[28:29], v2, v3
	v_add_co_u32_e64 v3, s[28:29], -1, v3
; %bb.3733:                             ;   in Loop: Header=BB4_2956 Depth=3
	s_or_b64 exec, exec, s[38:39]
	v_add_u32_e32 v4, 0xffffff81, v54
	v_mov_b32_e32 v6, 0xffffff82
	v_cndmask_b32_e32 v4, v4, v6, vcc
	v_lshrrev_b32_e32 v6, 23, v2
	v_add3_u32 v54, v42, v4, v6
	v_add_u32_e32 v6, 14, v54
	v_and_b32_e32 v3, 0x1fffff, v3
	v_add_u32_e32 v60, v3, v2
	v_cmp_ne_u32_e32 vcc, 0, v6
                                        ; implicit-def: $vgpr2_vgpr3
                                        ; implicit-def: $vgpr4
	s_and_saveexec_b64 s[28:29], vcc
	s_xor_b64 s[28:29], exec, s[28:29]
; %bb.3734:                             ;   in Loop: Header=BB4_2956 Depth=3
	v_cmp_lt_u64_e32 vcc, s[88:89], v[60:61]
	v_add_u32_e32 v2, 15, v54
	v_cndmask_b32_e32 v4, v6, v2, vcc
	v_cndmask_b32_e64 v2, 0, 1, vcc
	v_lshrrev_b64 v[2:3], v2, v[60:61]
; %bb.3735:                             ;   in Loop: Header=BB4_2956 Depth=3
	s_andn2_saveexec_b64 s[28:29], s[28:29]
; %bb.3736:                             ;   in Loop: Header=BB4_2956 Depth=3
	v_mov_b32_e32 v2, v60
	v_mov_b32_e32 v3, v61
	v_bfe_u32 v4, v60, 23, 1
; %bb.3737:                             ;   in Loop: Header=BB4_2956 Depth=3
	s_or_b64 exec, exec, s[28:29]
	v_lshrrev_b64 v[2:3], 21, v[2:3]
	v_cmp_gt_i32_e32 vcc, 32, v4
	v_cndmask_b32_e32 v3, 0, v3, vcc
	v_cndmask_b32_e32 v2, 3, v2, vcc
	v_cmp_eq_u64_e64 s[28:29], 0, v[2:3]
	v_min_i32_e32 v3, 31, v4
	v_lshlrev_b32_e32 v3, 2, v3
	v_cmp_eq_u32_e32 vcc, 0, v4
	v_and_b32_e32 v3, 0xfc, v3
	v_and_or_b32 v2, v2, 3, v3
	s_and_b64 s[28:29], vcc, s[28:29]
	v_cndmask_b32_e64 v2, v2, 0, s[28:29]
	v_or_b32_e32 v54, v2, v55
.LBB4_3738:                             ;   in Loop: Header=BB4_2956 Depth=3
	s_or_b64 exec, exec, s[36:37]
                                        ; implicit-def: $vgpr55
.LBB4_3739:                             ;   in Loop: Header=BB4_2956 Depth=3
	s_andn2_saveexec_b64 s[28:29], s[34:35]
; %bb.3740:                             ;   in Loop: Header=BB4_2956 Depth=3
	v_or_b32_e32 v54, 0x7b, v55
; %bb.3741:                             ;   in Loop: Header=BB4_2956 Depth=3
	s_or_b64 exec, exec, s[28:29]
                                        ; implicit-def: $vgpr2
.LBB4_3742:                             ;   in Loop: Header=BB4_2956 Depth=3
	s_andn2_saveexec_b64 s[28:29], s[30:31]
	s_cbranch_execz .LBB4_3748
; %bb.3743:                             ;   in Loop: Header=BB4_2956 Depth=3
	v_cmp_ne_u64_e32 vcc, 0, v[60:61]
                                        ; implicit-def: $vgpr54
	s_and_saveexec_b64 s[30:31], vcc
	s_xor_b64 vcc, exec, s[30:31]
; %bb.3744:                             ;   in Loop: Header=BB4_2956 Depth=3
	v_or_b32_sdwa v54, v2, s44 dst_sel:DWORD dst_unused:UNUSED_PAD src0_sel:BYTE_3 src1_sel:DWORD
                                        ; implicit-def: $vgpr2
; %bb.3745:                             ;   in Loop: Header=BB4_2956 Depth=3
	s_andn2_saveexec_b64 s[30:31], vcc
; %bb.3746:                             ;   in Loop: Header=BB4_2956 Depth=3
	v_cmp_lt_i32_e32 vcc, -1, v2
	v_bfrev_b32_e32 v2, 0.5
	v_mov_b32_e32 v3, 0x7c
	v_cndmask_b32_e32 v54, v2, v3, vcc
; %bb.3747:                             ;   in Loop: Header=BB4_2956 Depth=3
	s_or_b64 exec, exec, s[30:31]
.LBB4_3748:                             ;   in Loop: Header=BB4_2956 Depth=3
	s_or_b64 exec, exec, s[28:29]
	v_lshrrev_b32_e32 v2, 16, v13
	v_cmp_ne_u16_sdwa vcc, v2, v61 src0_sel:BYTE_0 src1_sel:DWORD
	v_mov_b32_e32 v3, 0
	v_mov_b32_e32 v4, 0
	s_and_saveexec_b64 s[28:29], vcc
	s_cbranch_execz .LBB4_3756
; %bb.3749:                             ;   in Loop: Header=BB4_2956 Depth=3
	v_cmp_ne_u16_sdwa vcc, v2, s81 src0_sel:BYTE_0 src1_sel:DWORD
	v_bfrev_b32_e32 v4, 1
	s_and_saveexec_b64 s[30:31], vcc
	s_cbranch_execz .LBB4_3755
; %bb.3750:                             ;   in Loop: Header=BB4_2956 Depth=3
	v_and_b32_e32 v4, 0x7c0000, v13
	v_bfe_u32 v6, v13, 16, 2
	v_cmp_ne_u32_e32 vcc, s45, v4
                                        ; implicit-def: $vgpr4
	s_and_saveexec_b64 s[34:35], vcc
	s_xor_b64 s[34:35], exec, s[34:35]
	s_cbranch_execz .LBB4_3752
; %bb.3751:                             ;   in Loop: Header=BB4_2956 Depth=3
	v_ffbh_u32_e32 v7, v6
	v_min_u32_e32 v7, 32, v7
	v_subrev_u32_e32 v24, 29, v7
	v_lshlrev_b64 v[42:43], v24, v[2:3]
	v_bfe_u32 v4, v13, 18, 5
	v_sub_u32_e32 v2, 30, v7
	v_and_b32_e32 v7, 3, v42
	v_cmp_eq_u32_e32 vcc, 0, v4
	v_cndmask_b32_e32 v2, v4, v2, vcc
	v_cndmask_b32_e32 v4, v6, v7, vcc
	v_lshlrev_b32_e32 v6, 8, v13
	v_and_b32_e32 v6, 0x80000000, v6
	v_lshl_add_u32 v2, v2, 23, v6
	v_lshl_or_b32 v2, v4, 21, v2
	v_add_u32_e32 v4, 0x38000000, v2
                                        ; implicit-def: $vgpr6
                                        ; implicit-def: $vgpr2
.LBB4_3752:                             ;   in Loop: Header=BB4_2956 Depth=3
	s_andn2_saveexec_b64 s[34:35], s[34:35]
; %bb.3753:                             ;   in Loop: Header=BB4_2956 Depth=3
	v_mov_b32_e32 v4, -1
	v_cmp_gt_i16_sdwa vcc, sext(v2), v4 src0_sel:BYTE_0 src1_sel:DWORD
	v_mov_b32_e32 v2, 0xff800000
	v_cndmask_b32_e32 v2, v2, v47, vcc
	v_cmp_eq_u32_e32 vcc, 0, v6
	v_mov_b32_e32 v4, 0x7f800001
	v_cndmask_b32_e32 v4, v4, v2, vcc
; %bb.3754:                             ;   in Loop: Header=BB4_2956 Depth=3
	s_or_b64 exec, exec, s[34:35]
.LBB4_3755:                             ;   in Loop: Header=BB4_2956 Depth=3
	s_or_b64 exec, exec, s[30:31]
.LBB4_3756:                             ;   in Loop: Header=BB4_2956 Depth=3
	s_or_b64 exec, exec, s[28:29]
	v_lshrrev_b32_e32 v2, 16, v9
	v_cmp_ne_u16_sdwa vcc, v2, v61 src0_sel:BYTE_0 src1_sel:DWORD
	s_and_saveexec_b64 s[28:29], vcc
	s_cbranch_execz .LBB4_3764
; %bb.3757:                             ;   in Loop: Header=BB4_2956 Depth=3
	v_cmp_ne_u16_sdwa vcc, v2, s81 src0_sel:BYTE_0 src1_sel:DWORD
	v_bfrev_b32_e32 v3, 1
	s_and_saveexec_b64 s[30:31], vcc
	s_cbranch_execz .LBB4_3763
; %bb.3758:                             ;   in Loop: Header=BB4_2956 Depth=3
	v_and_b32_e32 v3, 0x7c0000, v9
	v_bfe_u32 v6, v9, 16, 2
	v_cmp_ne_u32_e32 vcc, s45, v3
                                        ; implicit-def: $vgpr3
	s_and_saveexec_b64 s[34:35], vcc
	s_xor_b64 s[34:35], exec, s[34:35]
	s_cbranch_execz .LBB4_3760
; %bb.3759:                             ;   in Loop: Header=BB4_2956 Depth=3
	v_ffbh_u32_e32 v3, v6
	v_min_u32_e32 v24, 32, v3
	v_subrev_u32_e32 v3, 29, v24
	v_lshlrev_b64 v[2:3], v3, v[2:3]
	v_bfe_u32 v7, v9, 18, 5
	v_and_b32_e32 v2, 3, v2
	v_cmp_eq_u32_e32 vcc, 0, v7
	v_sub_u32_e32 v3, 30, v24
	v_cndmask_b32_e32 v2, v6, v2, vcc
	v_lshlrev_b32_e32 v6, 8, v9
	v_cndmask_b32_e32 v3, v7, v3, vcc
	v_and_b32_e32 v6, 0x80000000, v6
	v_lshl_add_u32 v3, v3, 23, v6
	v_lshl_or_b32 v2, v2, 21, v3
	v_add_u32_e32 v3, 0x38000000, v2
                                        ; implicit-def: $vgpr6
                                        ; implicit-def: $vgpr2
.LBB4_3760:                             ;   in Loop: Header=BB4_2956 Depth=3
	s_andn2_saveexec_b64 s[34:35], s[34:35]
; %bb.3761:                             ;   in Loop: Header=BB4_2956 Depth=3
	v_mov_b32_e32 v3, -1
	v_cmp_gt_i16_sdwa vcc, sext(v2), v3 src0_sel:BYTE_0 src1_sel:DWORD
	v_mov_b32_e32 v2, 0xff800000
	v_cndmask_b32_e32 v2, v2, v47, vcc
	v_cmp_eq_u32_e32 vcc, 0, v6
	v_mov_b32_e32 v3, 0x7f800001
	v_cndmask_b32_e32 v3, v3, v2, vcc
; %bb.3762:                             ;   in Loop: Header=BB4_2956 Depth=3
	s_or_b64 exec, exec, s[34:35]
.LBB4_3763:                             ;   in Loop: Header=BB4_2956 Depth=3
	s_or_b64 exec, exec, s[30:31]
.LBB4_3764:                             ;   in Loop: Header=BB4_2956 Depth=3
	s_or_b64 exec, exec, s[28:29]
	v_mul_f32_e32 v2, v4, v3
	v_and_b32_e32 v3, 0x7f800000, v2
	v_mov_b32_e32 v4, v61
	v_cmp_ne_u64_e32 vcc, s[62:63], v[3:4]
	v_and_b32_e32 v60, 0x7fffff, v2
                                        ; implicit-def: $vgpr55
	s_and_saveexec_b64 s[28:29], vcc
	s_xor_b64 s[30:31], exec, s[28:29]
	s_cbranch_execz .LBB4_3778
; %bb.3765:                             ;   in Loop: Header=BB4_2956 Depth=3
	v_and_b32_e32 v3, 0x7fffffff, v2
	v_mov_b32_e32 v4, v61
	v_cmp_gt_u64_e32 vcc, s[78:79], v[3:4]
	v_and_b32_sdwa v42, v2, s81 dst_sel:DWORD dst_unused:UNUSED_PAD src0_sel:BYTE_3 src1_sel:DWORD
                                        ; implicit-def: $vgpr55
	s_and_saveexec_b64 s[28:29], vcc
	s_xor_b64 s[34:35], exec, s[28:29]
	s_cbranch_execz .LBB4_3775
; %bb.3766:                             ;   in Loop: Header=BB4_2956 Depth=3
	v_mov_b32_e32 v55, 0
	v_cmp_ne_u32_e32 vcc, 0, v2
	s_and_saveexec_b64 s[36:37], vcc
	s_cbranch_execz .LBB4_3774
; %bb.3767:                             ;   in Loop: Header=BB4_2956 Depth=3
	v_bfe_u32 v55, v2, 23, 8
	v_cmp_gt_u32_e64 s[28:29], s47, v55
	v_sub_u32_e32 v2, 0x71, v55
	v_cmp_eq_u32_e32 vcc, 0, v55
	v_cndmask_b32_e64 v2, 0, v2, s[28:29]
	v_mov_b32_e32 v4, 0x70
	v_cndmask_b32_e32 v43, v2, v4, vcc
	v_add_u32_e32 v4, 21, v43
	v_or_b32_e32 v3, 0x800000, v60
	v_lshlrev_b64 v[56:57], v4, -1
	v_cndmask_b32_e32 v2, v3, v60, vcc
	v_mov_b32_e32 v3, v61
	v_add_u32_e32 v4, 20, v43
	v_mov_b32_e32 v7, v59
	v_bfi_b32 v56, v56, 0, v2
	v_lshlrev_b64 v[58:59], v4, 1
	v_lshrrev_b64 v[2:3], v43, v[2:3]
	v_bfi_b32 v57, v57, 0, 0
	v_cmp_eq_u64_e64 s[28:29], v[56:57], v[58:59]
	v_mov_b32_e32 v4, v3
	v_mov_b32_e32 v3, v2
	s_and_saveexec_b64 s[38:39], s[28:29]
; %bb.3768:                             ;   in Loop: Header=BB4_2956 Depth=3
	v_bfe_u32 v3, v2, 21, 1
	v_add_co_u32_e64 v3, s[28:29], v2, v3
	v_add_co_u32_e64 v3, s[28:29], -1, v3
; %bb.3769:                             ;   in Loop: Header=BB4_2956 Depth=3
	s_or_b64 exec, exec, s[38:39]
	v_add_u32_e32 v4, 0xffffff81, v55
	v_mov_b32_e32 v6, 0xffffff82
	v_cndmask_b32_e32 v4, v4, v6, vcc
	v_lshrrev_b32_e32 v6, 23, v2
	v_add3_u32 v55, v43, v4, v6
	v_add_u32_e32 v6, 14, v55
	v_and_b32_e32 v3, 0x1fffff, v3
	v_add_u32_e32 v60, v3, v2
	v_cmp_ne_u32_e32 vcc, 0, v6
                                        ; implicit-def: $vgpr2_vgpr3
                                        ; implicit-def: $vgpr4
	s_and_saveexec_b64 s[28:29], vcc
	s_xor_b64 s[28:29], exec, s[28:29]
; %bb.3770:                             ;   in Loop: Header=BB4_2956 Depth=3
	v_cmp_lt_u64_e32 vcc, s[88:89], v[60:61]
	v_add_u32_e32 v2, 15, v55
	v_cndmask_b32_e32 v4, v6, v2, vcc
	v_cndmask_b32_e64 v2, 0, 1, vcc
	v_lshrrev_b64 v[2:3], v2, v[60:61]
; %bb.3771:                             ;   in Loop: Header=BB4_2956 Depth=3
	s_or_saveexec_b64 s[28:29], s[28:29]
	v_mov_b32_e32 v59, v7
	s_xor_b64 exec, exec, s[28:29]
; %bb.3772:                             ;   in Loop: Header=BB4_2956 Depth=3
	v_mov_b32_e32 v2, v60
	v_mov_b32_e32 v3, v61
	v_bfe_u32 v4, v60, 23, 1
; %bb.3773:                             ;   in Loop: Header=BB4_2956 Depth=3
	s_or_b64 exec, exec, s[28:29]
	v_lshrrev_b64 v[2:3], 21, v[2:3]
	v_cmp_gt_i32_e32 vcc, 32, v4
	v_cndmask_b32_e32 v3, 0, v3, vcc
	v_cndmask_b32_e32 v2, 3, v2, vcc
	v_cmp_eq_u64_e64 s[28:29], 0, v[2:3]
	v_min_i32_e32 v3, 31, v4
	v_lshlrev_b32_e32 v3, 2, v3
	v_cmp_eq_u32_e32 vcc, 0, v4
	v_and_b32_e32 v3, 0xfc, v3
	v_and_or_b32 v2, v2, 3, v3
	s_and_b64 s[28:29], vcc, s[28:29]
	v_cndmask_b32_e64 v2, v2, 0, s[28:29]
	v_or_b32_e32 v55, v2, v42
.LBB4_3774:                             ;   in Loop: Header=BB4_2956 Depth=3
	s_or_b64 exec, exec, s[36:37]
                                        ; implicit-def: $vgpr42
.LBB4_3775:                             ;   in Loop: Header=BB4_2956 Depth=3
	s_andn2_saveexec_b64 s[28:29], s[34:35]
; %bb.3776:                             ;   in Loop: Header=BB4_2956 Depth=3
	v_or_b32_e32 v55, 0x7b, v42
; %bb.3777:                             ;   in Loop: Header=BB4_2956 Depth=3
	s_or_b64 exec, exec, s[28:29]
                                        ; implicit-def: $vgpr2
.LBB4_3778:                             ;   in Loop: Header=BB4_2956 Depth=3
	s_andn2_saveexec_b64 s[28:29], s[30:31]
	s_cbranch_execz .LBB4_3784
; %bb.3779:                             ;   in Loop: Header=BB4_2956 Depth=3
	v_cmp_ne_u64_e32 vcc, 0, v[60:61]
                                        ; implicit-def: $vgpr55
	s_and_saveexec_b64 s[30:31], vcc
	s_xor_b64 vcc, exec, s[30:31]
; %bb.3780:                             ;   in Loop: Header=BB4_2956 Depth=3
	v_or_b32_sdwa v55, v2, s44 dst_sel:DWORD dst_unused:UNUSED_PAD src0_sel:BYTE_3 src1_sel:DWORD
                                        ; implicit-def: $vgpr2
; %bb.3781:                             ;   in Loop: Header=BB4_2956 Depth=3
	s_andn2_saveexec_b64 s[30:31], vcc
; %bb.3782:                             ;   in Loop: Header=BB4_2956 Depth=3
	v_cmp_lt_i32_e32 vcc, -1, v2
	v_bfrev_b32_e32 v2, 0.5
	v_mov_b32_e32 v3, 0x7c
	v_cndmask_b32_e32 v55, v2, v3, vcc
; %bb.3783:                             ;   in Loop: Header=BB4_2956 Depth=3
	s_or_b64 exec, exec, s[30:31]
.LBB4_3784:                             ;   in Loop: Header=BB4_2956 Depth=3
	s_or_b64 exec, exec, s[28:29]
	v_cmp_lt_u64_e32 vcc, s[56:57], v[12:13]
	v_mov_b32_e32 v3, 0
	v_mov_b32_e32 v4, 0
	s_and_saveexec_b64 s[28:29], vcc
	s_cbranch_execz .LBB4_3792
; %bb.3785:                             ;   in Loop: Header=BB4_2956 Depth=3
	v_lshrrev_b32_e32 v2, 24, v13
	v_cmp_ne_u32_e32 vcc, s81, v2
	v_bfrev_b32_e32 v4, 1
	s_and_saveexec_b64 s[30:31], vcc
	s_cbranch_execz .LBB4_3791
; %bb.3786:                             ;   in Loop: Header=BB4_2956 Depth=3
	v_and_b32_e32 v4, 0x7c000000, v13
	v_bfe_u32 v6, v13, 24, 2
	v_cmp_ne_u32_e32 vcc, s82, v4
                                        ; implicit-def: $vgpr4
	s_and_saveexec_b64 s[34:35], vcc
	s_xor_b64 s[34:35], exec, s[34:35]
	s_cbranch_execz .LBB4_3788
; %bb.3787:                             ;   in Loop: Header=BB4_2956 Depth=3
	v_ffbh_u32_e32 v7, v6
	v_min_u32_e32 v7, 32, v7
	v_subrev_u32_e32 v24, 29, v7
	v_lshlrev_b64 v[42:43], v24, v[2:3]
	v_bfe_u32 v4, v13, 26, 5
	v_sub_u32_e32 v2, 30, v7
	v_and_b32_e32 v7, 3, v42
	v_cmp_eq_u32_e32 vcc, 0, v4
	v_cndmask_b32_e32 v2, v4, v2, vcc
	v_cndmask_b32_e32 v4, v6, v7, vcc
	v_and_b32_e32 v6, 0x80000000, v13
	v_lshl_add_u32 v2, v2, 23, v6
	v_lshl_or_b32 v2, v4, 21, v2
	v_add_u32_e32 v4, 0x38000000, v2
                                        ; implicit-def: $vgpr6
.LBB4_3788:                             ;   in Loop: Header=BB4_2956 Depth=3
	s_andn2_saveexec_b64 s[34:35], s[34:35]
; %bb.3789:                             ;   in Loop: Header=BB4_2956 Depth=3
	v_cmp_lt_i64_e32 vcc, -1, v[12:13]
	v_mov_b32_e32 v2, 0xff800000
	v_cndmask_b32_e32 v2, v2, v47, vcc
	v_cmp_eq_u32_e32 vcc, 0, v6
	v_mov_b32_e32 v4, 0x7f800001
	v_cndmask_b32_e32 v4, v4, v2, vcc
; %bb.3790:                             ;   in Loop: Header=BB4_2956 Depth=3
	s_or_b64 exec, exec, s[34:35]
.LBB4_3791:                             ;   in Loop: Header=BB4_2956 Depth=3
	s_or_b64 exec, exec, s[30:31]
.LBB4_3792:                             ;   in Loop: Header=BB4_2956 Depth=3
	s_or_b64 exec, exec, s[28:29]
	v_cmp_lt_u64_e32 vcc, s[56:57], v[8:9]
	s_and_saveexec_b64 s[28:29], vcc
	s_cbranch_execz .LBB4_3800
; %bb.3793:                             ;   in Loop: Header=BB4_2956 Depth=3
	v_lshrrev_b32_e32 v2, 24, v9
	v_cmp_ne_u32_e32 vcc, s81, v2
	v_bfrev_b32_e32 v3, 1
	s_and_saveexec_b64 s[30:31], vcc
	s_cbranch_execz .LBB4_3799
; %bb.3794:                             ;   in Loop: Header=BB4_2956 Depth=3
	v_and_b32_e32 v3, 0x7c000000, v9
	v_bfe_u32 v6, v9, 24, 2
	v_cmp_ne_u32_e32 vcc, s82, v3
                                        ; implicit-def: $vgpr3
	s_and_saveexec_b64 s[34:35], vcc
	s_xor_b64 s[34:35], exec, s[34:35]
	s_cbranch_execz .LBB4_3796
; %bb.3795:                             ;   in Loop: Header=BB4_2956 Depth=3
	v_ffbh_u32_e32 v3, v6
	v_min_u32_e32 v12, 32, v3
	v_subrev_u32_e32 v3, 29, v12
	v_lshlrev_b64 v[2:3], v3, v[2:3]
	v_bfe_u32 v7, v9, 26, 5
	v_sub_u32_e32 v3, 30, v12
	v_and_b32_e32 v2, 3, v2
	v_cmp_eq_u32_e32 vcc, 0, v7
	v_cndmask_b32_e32 v3, v7, v3, vcc
	v_cndmask_b32_e32 v2, v6, v2, vcc
	v_and_b32_e32 v6, 0x80000000, v9
	v_lshl_add_u32 v3, v3, 23, v6
	v_lshl_or_b32 v2, v2, 21, v3
	v_add_u32_e32 v3, 0x38000000, v2
                                        ; implicit-def: $vgpr6
.LBB4_3796:                             ;   in Loop: Header=BB4_2956 Depth=3
	s_andn2_saveexec_b64 s[34:35], s[34:35]
; %bb.3797:                             ;   in Loop: Header=BB4_2956 Depth=3
	v_cmp_lt_i64_e32 vcc, -1, v[8:9]
	v_mov_b32_e32 v2, 0xff800000
	v_cndmask_b32_e32 v2, v2, v47, vcc
	v_cmp_eq_u32_e32 vcc, 0, v6
	v_mov_b32_e32 v3, 0x7f800001
	v_cndmask_b32_e32 v3, v3, v2, vcc
; %bb.3798:                             ;   in Loop: Header=BB4_2956 Depth=3
	s_or_b64 exec, exec, s[34:35]
.LBB4_3799:                             ;   in Loop: Header=BB4_2956 Depth=3
	s_or_b64 exec, exec, s[30:31]
.LBB4_3800:                             ;   in Loop: Header=BB4_2956 Depth=3
	s_or_b64 exec, exec, s[28:29]
	v_mul_f32_e32 v2, v4, v3
	v_and_b32_e32 v3, 0x7f800000, v2
	v_mov_b32_e32 v4, v61
	v_cmp_ne_u64_e32 vcc, s[62:63], v[3:4]
	v_and_b32_e32 v60, 0x7fffff, v2
                                        ; implicit-def: $vgpr8
	s_and_saveexec_b64 s[28:29], vcc
	s_xor_b64 s[30:31], exec, s[28:29]
	s_cbranch_execz .LBB4_3814
; %bb.3801:                             ;   in Loop: Header=BB4_2956 Depth=3
	v_and_b32_e32 v3, 0x7fffffff, v2
	v_mov_b32_e32 v4, v61
	v_cmp_gt_u64_e32 vcc, s[78:79], v[3:4]
	v_and_b32_sdwa v9, v2, s81 dst_sel:DWORD dst_unused:UNUSED_PAD src0_sel:BYTE_3 src1_sel:DWORD
                                        ; implicit-def: $vgpr8
	s_and_saveexec_b64 s[28:29], vcc
	s_xor_b64 s[34:35], exec, s[28:29]
	s_cbranch_execz .LBB4_3811
; %bb.3802:                             ;   in Loop: Header=BB4_2956 Depth=3
	v_mov_b32_e32 v8, 0
	v_cmp_ne_u32_e32 vcc, 0, v2
	s_and_saveexec_b64 s[36:37], vcc
	s_cbranch_execz .LBB4_3810
; %bb.3803:                             ;   in Loop: Header=BB4_2956 Depth=3
	v_bfe_u32 v8, v2, 23, 8
	v_cmp_gt_u32_e64 s[28:29], s47, v8
	v_sub_u32_e32 v2, 0x71, v8
	v_cmp_eq_u32_e32 vcc, 0, v8
	v_cndmask_b32_e64 v2, 0, v2, s[28:29]
	v_mov_b32_e32 v4, 0x70
	v_cndmask_b32_e32 v12, v2, v4, vcc
	v_add_u32_e32 v4, 21, v12
	v_or_b32_e32 v3, 0x800000, v60
	v_lshlrev_b64 v[42:43], v4, -1
	v_cndmask_b32_e32 v2, v3, v60, vcc
	v_mov_b32_e32 v3, v61
	v_add_u32_e32 v4, 20, v12
	v_bfi_b32 v42, v42, 0, v2
	v_lshlrev_b64 v[56:57], v4, 1
	v_lshrrev_b64 v[2:3], v12, v[2:3]
	v_bfi_b32 v43, v43, 0, 0
	v_cmp_eq_u64_e64 s[28:29], v[42:43], v[56:57]
	v_mov_b32_e32 v4, v3
	v_mov_b32_e32 v3, v2
	s_and_saveexec_b64 s[38:39], s[28:29]
; %bb.3804:                             ;   in Loop: Header=BB4_2956 Depth=3
	v_bfe_u32 v3, v2, 21, 1
	v_add_co_u32_e64 v3, s[28:29], v2, v3
	v_add_co_u32_e64 v3, s[28:29], -1, v3
; %bb.3805:                             ;   in Loop: Header=BB4_2956 Depth=3
	s_or_b64 exec, exec, s[38:39]
	v_add_u32_e32 v4, 0xffffff81, v8
	v_mov_b32_e32 v6, 0xffffff82
	v_cndmask_b32_e32 v4, v4, v6, vcc
	v_lshrrev_b32_e32 v6, 23, v2
	v_add3_u32 v8, v12, v4, v6
	v_add_u32_e32 v6, 14, v8
	v_and_b32_e32 v3, 0x1fffff, v3
	v_add_u32_e32 v60, v3, v2
	v_cmp_ne_u32_e32 vcc, 0, v6
                                        ; implicit-def: $vgpr2_vgpr3
                                        ; implicit-def: $vgpr4
	s_and_saveexec_b64 s[28:29], vcc
	s_xor_b64 s[28:29], exec, s[28:29]
; %bb.3806:                             ;   in Loop: Header=BB4_2956 Depth=3
	v_cmp_lt_u64_e32 vcc, s[88:89], v[60:61]
	v_add_u32_e32 v2, 15, v8
	v_cndmask_b32_e32 v4, v6, v2, vcc
	v_cndmask_b32_e64 v2, 0, 1, vcc
	v_lshrrev_b64 v[2:3], v2, v[60:61]
; %bb.3807:                             ;   in Loop: Header=BB4_2956 Depth=3
	s_andn2_saveexec_b64 s[28:29], s[28:29]
; %bb.3808:                             ;   in Loop: Header=BB4_2956 Depth=3
	v_mov_b32_e32 v2, v60
	v_mov_b32_e32 v3, v61
	v_bfe_u32 v4, v60, 23, 1
; %bb.3809:                             ;   in Loop: Header=BB4_2956 Depth=3
	s_or_b64 exec, exec, s[28:29]
	v_lshrrev_b64 v[2:3], 21, v[2:3]
	v_cmp_gt_i32_e32 vcc, 32, v4
	v_cndmask_b32_e32 v3, 0, v3, vcc
	v_cndmask_b32_e32 v2, 3, v2, vcc
	v_cmp_eq_u64_e64 s[28:29], 0, v[2:3]
	v_min_i32_e32 v3, 31, v4
	v_lshlrev_b32_e32 v3, 2, v3
	v_cmp_eq_u32_e32 vcc, 0, v4
	v_and_b32_e32 v3, 0xfc, v3
	v_and_or_b32 v2, v2, 3, v3
	s_and_b64 s[28:29], vcc, s[28:29]
	v_cndmask_b32_e64 v2, v2, 0, s[28:29]
	v_or_b32_e32 v8, v2, v9
.LBB4_3810:                             ;   in Loop: Header=BB4_2956 Depth=3
	s_or_b64 exec, exec, s[36:37]
                                        ; implicit-def: $vgpr9
.LBB4_3811:                             ;   in Loop: Header=BB4_2956 Depth=3
	s_andn2_saveexec_b64 s[28:29], s[34:35]
; %bb.3812:                             ;   in Loop: Header=BB4_2956 Depth=3
	v_or_b32_e32 v8, 0x7b, v9
; %bb.3813:                             ;   in Loop: Header=BB4_2956 Depth=3
	s_or_b64 exec, exec, s[28:29]
                                        ; implicit-def: $vgpr2
.LBB4_3814:                             ;   in Loop: Header=BB4_2956 Depth=3
	s_andn2_saveexec_b64 s[28:29], s[30:31]
	s_cbranch_execz .LBB4_3820
; %bb.3815:                             ;   in Loop: Header=BB4_2956 Depth=3
	v_cmp_ne_u64_e32 vcc, 0, v[60:61]
                                        ; implicit-def: $vgpr8
	s_and_saveexec_b64 s[30:31], vcc
	s_xor_b64 vcc, exec, s[30:31]
; %bb.3816:                             ;   in Loop: Header=BB4_2956 Depth=3
	v_or_b32_sdwa v8, v2, s44 dst_sel:DWORD dst_unused:UNUSED_PAD src0_sel:BYTE_3 src1_sel:DWORD
                                        ; implicit-def: $vgpr2
; %bb.3817:                             ;   in Loop: Header=BB4_2956 Depth=3
	s_andn2_saveexec_b64 s[30:31], vcc
; %bb.3818:                             ;   in Loop: Header=BB4_2956 Depth=3
	v_cmp_lt_i32_e32 vcc, -1, v2
	v_bfrev_b32_e32 v2, 0.5
	v_mov_b32_e32 v3, 0x7c
	v_cndmask_b32_e32 v8, v2, v3, vcc
; %bb.3819:                             ;   in Loop: Header=BB4_2956 Depth=3
	s_or_b64 exec, exec, s[30:31]
.LBB4_3820:                             ;   in Loop: Header=BB4_2956 Depth=3
	s_or_b64 exec, exec, s[28:29]
	v_cmp_ne_u16_sdwa vcc, v14, v61 src0_sel:BYTE_0 src1_sel:DWORD
	v_mov_b32_e32 v2, 0
	v_mov_b32_e32 v3, 0
	s_and_saveexec_b64 s[28:29], vcc
	s_cbranch_execz .LBB4_3828
; %bb.3821:                             ;   in Loop: Header=BB4_2956 Depth=3
	v_cmp_ne_u16_sdwa vcc, sext(v14), s70 src0_sel:BYTE_0 src1_sel:DWORD
	v_bfrev_b32_e32 v3, 1
	s_and_saveexec_b64 s[30:31], vcc
	s_cbranch_execz .LBB4_3827
; %bb.3822:                             ;   in Loop: Header=BB4_2956 Depth=3
	v_and_b32_e32 v3, 0x7c, v14
	v_and_b32_e32 v4, 3, v14
	v_cmp_ne_u32_e32 vcc, s71, v3
                                        ; implicit-def: $vgpr3
	s_and_saveexec_b64 s[34:35], vcc
	s_xor_b64 s[34:35], exec, s[34:35]
	s_cbranch_execz .LBB4_3824
; %bb.3823:                             ;   in Loop: Header=BB4_2956 Depth=3
	v_ffbh_u32_e32 v6, v4
	v_min_u32_e32 v6, 32, v6
	v_bfe_u32 v3, v14, 2, 5
	v_subrev_u32_e32 v7, 29, v6
	v_lshlrev_b64 v[12:13], v7, v[14:15]
	v_sub_u32_e32 v6, 30, v6
	v_cmp_eq_u32_e32 vcc, 0, v3
	v_cndmask_b32_e32 v3, v3, v6, vcc
	v_lshlrev_b32_e32 v6, 24, v14
	v_and_b32_e32 v7, 3, v12
	v_and_b32_e32 v6, 0x80000000, v6
	v_cndmask_b32_e32 v4, v4, v7, vcc
	v_lshl_add_u32 v3, v3, 23, v6
	v_lshl_or_b32 v3, v4, 21, v3
	v_add_u32_e32 v3, 0x38000000, v3
                                        ; implicit-def: $vgpr4
.LBB4_3824:                             ;   in Loop: Header=BB4_2956 Depth=3
	s_andn2_saveexec_b64 s[34:35], s[34:35]
; %bb.3825:                             ;   in Loop: Header=BB4_2956 Depth=3
	v_mov_b32_e32 v3, -1
	v_cmp_gt_i16_sdwa vcc, sext(v14), v3 src0_sel:BYTE_0 src1_sel:DWORD
	v_mov_b32_e32 v3, 0xff800000
	v_cndmask_b32_e32 v3, v3, v47, vcc
	v_cmp_eq_u32_e32 vcc, 0, v4
	v_mov_b32_e32 v4, 0x7f800001
	v_cndmask_b32_e32 v3, v4, v3, vcc
; %bb.3826:                             ;   in Loop: Header=BB4_2956 Depth=3
	s_or_b64 exec, exec, s[34:35]
.LBB4_3827:                             ;   in Loop: Header=BB4_2956 Depth=3
	s_or_b64 exec, exec, s[30:31]
.LBB4_3828:                             ;   in Loop: Header=BB4_2956 Depth=3
	s_or_b64 exec, exec, s[28:29]
	v_cmp_ne_u16_sdwa vcc, v10, v61 src0_sel:BYTE_0 src1_sel:DWORD
	s_and_saveexec_b64 s[28:29], vcc
	s_cbranch_execz .LBB4_3836
; %bb.3829:                             ;   in Loop: Header=BB4_2956 Depth=3
	v_cmp_ne_u16_sdwa vcc, sext(v10), s70 src0_sel:BYTE_0 src1_sel:DWORD
	v_bfrev_b32_e32 v2, 1
	s_and_saveexec_b64 s[30:31], vcc
	s_cbranch_execz .LBB4_3835
; %bb.3830:                             ;   in Loop: Header=BB4_2956 Depth=3
	v_and_b32_e32 v2, 0x7c, v10
	v_and_b32_e32 v4, 3, v10
	v_cmp_ne_u32_e32 vcc, s71, v2
                                        ; implicit-def: $vgpr2
	s_and_saveexec_b64 s[34:35], vcc
	s_xor_b64 s[34:35], exec, s[34:35]
	s_cbranch_execz .LBB4_3832
; %bb.3831:                             ;   in Loop: Header=BB4_2956 Depth=3
	v_ffbh_u32_e32 v6, v4
	v_min_u32_e32 v6, 32, v6
	v_bfe_u32 v2, v10, 2, 5
	v_subrev_u32_e32 v7, 29, v6
	v_lshlrev_b64 v[12:13], v7, v[10:11]
	v_sub_u32_e32 v6, 30, v6
	v_cmp_eq_u32_e32 vcc, 0, v2
	v_cndmask_b32_e32 v2, v2, v6, vcc
	v_lshlrev_b32_e32 v6, 24, v10
	v_and_b32_e32 v7, 3, v12
	v_and_b32_e32 v6, 0x80000000, v6
	v_cndmask_b32_e32 v4, v4, v7, vcc
	v_lshl_add_u32 v2, v2, 23, v6
	v_lshl_or_b32 v2, v4, 21, v2
	v_add_u32_e32 v2, 0x38000000, v2
                                        ; implicit-def: $vgpr4
.LBB4_3832:                             ;   in Loop: Header=BB4_2956 Depth=3
	s_andn2_saveexec_b64 s[34:35], s[34:35]
; %bb.3833:                             ;   in Loop: Header=BB4_2956 Depth=3
	v_mov_b32_e32 v2, -1
	v_cmp_gt_i16_sdwa vcc, sext(v10), v2 src0_sel:BYTE_0 src1_sel:DWORD
	v_mov_b32_e32 v2, 0xff800000
	v_cndmask_b32_e32 v2, v2, v47, vcc
	v_cmp_eq_u32_e32 vcc, 0, v4
	v_mov_b32_e32 v4, 0x7f800001
	v_cndmask_b32_e32 v2, v4, v2, vcc
; %bb.3834:                             ;   in Loop: Header=BB4_2956 Depth=3
	s_or_b64 exec, exec, s[34:35]
.LBB4_3835:                             ;   in Loop: Header=BB4_2956 Depth=3
	s_or_b64 exec, exec, s[30:31]
.LBB4_3836:                             ;   in Loop: Header=BB4_2956 Depth=3
	s_or_b64 exec, exec, s[28:29]
	v_mul_f32_e32 v2, v3, v2
	v_and_b32_e32 v3, 0x7f800000, v2
	v_mov_b32_e32 v4, v61
	v_cmp_ne_u64_e32 vcc, s[62:63], v[3:4]
	v_and_b32_e32 v60, 0x7fffff, v2
                                        ; implicit-def: $vgpr9
	s_and_saveexec_b64 s[28:29], vcc
	s_xor_b64 s[30:31], exec, s[28:29]
	s_cbranch_execz .LBB4_3850
; %bb.3837:                             ;   in Loop: Header=BB4_2956 Depth=3
	v_and_b32_e32 v3, 0x7fffffff, v2
	v_mov_b32_e32 v4, v61
	v_cmp_gt_u64_e32 vcc, s[78:79], v[3:4]
	v_and_b32_sdwa v12, v2, s81 dst_sel:DWORD dst_unused:UNUSED_PAD src0_sel:BYTE_3 src1_sel:DWORD
                                        ; implicit-def: $vgpr9
	s_and_saveexec_b64 s[28:29], vcc
	s_xor_b64 s[34:35], exec, s[28:29]
	s_cbranch_execz .LBB4_3847
; %bb.3838:                             ;   in Loop: Header=BB4_2956 Depth=3
	v_mov_b32_e32 v9, 0
	v_cmp_ne_u32_e32 vcc, 0, v2
	s_and_saveexec_b64 s[36:37], vcc
	s_cbranch_execz .LBB4_3846
; %bb.3839:                             ;   in Loop: Header=BB4_2956 Depth=3
	v_bfe_u32 v9, v2, 23, 8
	v_cmp_gt_u32_e64 s[28:29], s47, v9
	v_sub_u32_e32 v2, 0x71, v9
	v_cmp_eq_u32_e32 vcc, 0, v9
	v_cndmask_b32_e64 v2, 0, v2, s[28:29]
	v_mov_b32_e32 v4, 0x70
	v_cndmask_b32_e32 v13, v2, v4, vcc
	v_add_u32_e32 v4, 21, v13
	v_or_b32_e32 v3, 0x800000, v60
	v_lshlrev_b64 v[42:43], v4, -1
	v_cndmask_b32_e32 v2, v3, v60, vcc
	v_mov_b32_e32 v3, v61
	v_add_u32_e32 v4, 20, v13
	v_bfi_b32 v42, v42, 0, v2
	v_lshlrev_b64 v[56:57], v4, 1
	v_lshrrev_b64 v[2:3], v13, v[2:3]
	v_bfi_b32 v43, v43, 0, 0
	v_cmp_eq_u64_e64 s[28:29], v[42:43], v[56:57]
	v_mov_b32_e32 v4, v3
	v_mov_b32_e32 v3, v2
	s_and_saveexec_b64 s[38:39], s[28:29]
; %bb.3840:                             ;   in Loop: Header=BB4_2956 Depth=3
	v_bfe_u32 v3, v2, 21, 1
	v_add_co_u32_e64 v3, s[28:29], v2, v3
	v_add_co_u32_e64 v3, s[28:29], -1, v3
; %bb.3841:                             ;   in Loop: Header=BB4_2956 Depth=3
	s_or_b64 exec, exec, s[38:39]
	v_add_u32_e32 v4, 0xffffff81, v9
	v_mov_b32_e32 v6, 0xffffff82
	v_cndmask_b32_e32 v4, v4, v6, vcc
	v_lshrrev_b32_e32 v6, 23, v2
	v_add3_u32 v9, v13, v4, v6
	v_add_u32_e32 v6, 14, v9
	v_and_b32_e32 v3, 0x1fffff, v3
	v_add_u32_e32 v60, v3, v2
	v_cmp_ne_u32_e32 vcc, 0, v6
                                        ; implicit-def: $vgpr2_vgpr3
                                        ; implicit-def: $vgpr4
	s_and_saveexec_b64 s[28:29], vcc
	s_xor_b64 s[28:29], exec, s[28:29]
; %bb.3842:                             ;   in Loop: Header=BB4_2956 Depth=3
	v_cmp_lt_u64_e32 vcc, s[88:89], v[60:61]
	v_add_u32_e32 v2, 15, v9
	v_cndmask_b32_e32 v4, v6, v2, vcc
	v_cndmask_b32_e64 v2, 0, 1, vcc
	v_lshrrev_b64 v[2:3], v2, v[60:61]
; %bb.3843:                             ;   in Loop: Header=BB4_2956 Depth=3
	s_andn2_saveexec_b64 s[28:29], s[28:29]
; %bb.3844:                             ;   in Loop: Header=BB4_2956 Depth=3
	v_mov_b32_e32 v2, v60
	v_mov_b32_e32 v3, v61
	v_bfe_u32 v4, v60, 23, 1
; %bb.3845:                             ;   in Loop: Header=BB4_2956 Depth=3
	s_or_b64 exec, exec, s[28:29]
	v_lshrrev_b64 v[2:3], 21, v[2:3]
	v_cmp_gt_i32_e32 vcc, 32, v4
	v_cndmask_b32_e32 v3, 0, v3, vcc
	v_cndmask_b32_e32 v2, 3, v2, vcc
	v_cmp_eq_u64_e64 s[28:29], 0, v[2:3]
	v_min_i32_e32 v3, 31, v4
	v_lshlrev_b32_e32 v3, 2, v3
	v_cmp_eq_u32_e32 vcc, 0, v4
	v_and_b32_e32 v3, 0xfc, v3
	v_and_or_b32 v2, v2, 3, v3
	s_and_b64 s[28:29], vcc, s[28:29]
	v_cndmask_b32_e64 v2, v2, 0, s[28:29]
	v_or_b32_e32 v9, v2, v12
.LBB4_3846:                             ;   in Loop: Header=BB4_2956 Depth=3
	s_or_b64 exec, exec, s[36:37]
                                        ; implicit-def: $vgpr12
.LBB4_3847:                             ;   in Loop: Header=BB4_2956 Depth=3
	s_andn2_saveexec_b64 s[28:29], s[34:35]
; %bb.3848:                             ;   in Loop: Header=BB4_2956 Depth=3
	v_or_b32_e32 v9, 0x7b, v12
; %bb.3849:                             ;   in Loop: Header=BB4_2956 Depth=3
	s_or_b64 exec, exec, s[28:29]
                                        ; implicit-def: $vgpr2
.LBB4_3850:                             ;   in Loop: Header=BB4_2956 Depth=3
	s_andn2_saveexec_b64 s[28:29], s[30:31]
	s_cbranch_execz .LBB4_3856
; %bb.3851:                             ;   in Loop: Header=BB4_2956 Depth=3
	v_cmp_ne_u64_e32 vcc, 0, v[60:61]
                                        ; implicit-def: $vgpr9
	s_and_saveexec_b64 s[30:31], vcc
	s_xor_b64 vcc, exec, s[30:31]
; %bb.3852:                             ;   in Loop: Header=BB4_2956 Depth=3
	v_or_b32_sdwa v9, v2, s44 dst_sel:DWORD dst_unused:UNUSED_PAD src0_sel:BYTE_3 src1_sel:DWORD
                                        ; implicit-def: $vgpr2
; %bb.3853:                             ;   in Loop: Header=BB4_2956 Depth=3
	s_andn2_saveexec_b64 s[30:31], vcc
; %bb.3854:                             ;   in Loop: Header=BB4_2956 Depth=3
	v_cmp_lt_i32_e32 vcc, -1, v2
	v_bfrev_b32_e32 v2, 0.5
	v_mov_b32_e32 v3, 0x7c
	v_cndmask_b32_e32 v9, v2, v3, vcc
; %bb.3855:                             ;   in Loop: Header=BB4_2956 Depth=3
	s_or_b64 exec, exec, s[30:31]
.LBB4_3856:                             ;   in Loop: Header=BB4_2956 Depth=3
	s_or_b64 exec, exec, s[28:29]
	v_lshrrev_b16_e32 v2, 8, v14
	v_cmp_ne_u16_e32 vcc, 0, v2
	v_mov_b32_e32 v4, 0
	v_mov_b32_e32 v12, 0
	s_and_saveexec_b64 s[28:29], vcc
	s_cbranch_execz .LBB4_3864
; %bb.3857:                             ;   in Loop: Header=BB4_2956 Depth=3
	v_cmp_ne_u16_e32 vcc, s81, v2
	v_bfrev_b32_e32 v12, 1
	s_and_saveexec_b64 s[30:31], vcc
	s_cbranch_execz .LBB4_3863
; %bb.3858:                             ;   in Loop: Header=BB4_2956 Depth=3
	v_and_b32_e32 v3, 0x7c, v2
	v_and_b32_e32 v6, 3, v2
	v_cmp_ne_u32_e32 vcc, s71, v3
                                        ; implicit-def: $vgpr12
	s_and_saveexec_b64 s[34:35], vcc
	s_xor_b64 s[34:35], exec, s[34:35]
	s_cbranch_execz .LBB4_3860
; %bb.3859:                             ;   in Loop: Header=BB4_2956 Depth=3
	v_ffbh_u32_e32 v12, v6
	v_min_u32_e32 v12, 32, v12
	v_mov_b32_e32 v3, v61
	v_subrev_u32_e32 v13, 29, v12
	v_bfe_u32 v7, v2, 2, 5
	v_lshlrev_b64 v[2:3], v13, v[2:3]
	v_cmp_eq_u32_e32 vcc, 0, v7
	v_and_b32_e32 v2, 3, v2
	v_sub_u32_e32 v3, 30, v12
	v_cndmask_b32_e32 v2, v6, v2, vcc
	v_lshlrev_b32_e32 v6, 16, v14
	v_cndmask_b32_e32 v3, v7, v3, vcc
	v_and_b32_e32 v6, 0x80000000, v6
	v_lshl_add_u32 v3, v3, 23, v6
	v_lshl_or_b32 v2, v2, 21, v3
	v_add_u32_e32 v12, 0x38000000, v2
                                        ; implicit-def: $vgpr6
.LBB4_3860:                             ;   in Loop: Header=BB4_2956 Depth=3
	s_andn2_saveexec_b64 s[34:35], s[34:35]
; %bb.3861:                             ;   in Loop: Header=BB4_2956 Depth=3
	v_cmp_lt_i16_e32 vcc, -1, v14
	v_mov_b32_e32 v2, 0xff800000
	v_cndmask_b32_e32 v2, v2, v47, vcc
	v_cmp_eq_u32_e32 vcc, 0, v6
	v_mov_b32_e32 v3, 0x7f800001
	v_cndmask_b32_e32 v12, v3, v2, vcc
; %bb.3862:                             ;   in Loop: Header=BB4_2956 Depth=3
	s_or_b64 exec, exec, s[34:35]
.LBB4_3863:                             ;   in Loop: Header=BB4_2956 Depth=3
	s_or_b64 exec, exec, s[30:31]
.LBB4_3864:                             ;   in Loop: Header=BB4_2956 Depth=3
	s_or_b64 exec, exec, s[28:29]
	v_lshrrev_b16_e32 v2, 8, v10
	v_cmp_ne_u16_e32 vcc, 0, v2
	s_and_saveexec_b64 s[28:29], vcc
	s_cbranch_execz .LBB4_3872
; %bb.3865:                             ;   in Loop: Header=BB4_2956 Depth=3
	v_cmp_ne_u16_e32 vcc, s81, v2
	v_bfrev_b32_e32 v4, 1
	s_and_saveexec_b64 s[30:31], vcc
	s_cbranch_execz .LBB4_3871
; %bb.3866:                             ;   in Loop: Header=BB4_2956 Depth=3
	v_and_b32_e32 v3, 0x7c, v2
	v_and_b32_e32 v6, 3, v2
	v_cmp_ne_u32_e32 vcc, s71, v3
                                        ; implicit-def: $vgpr4
	s_and_saveexec_b64 s[34:35], vcc
	s_xor_b64 s[34:35], exec, s[34:35]
	s_cbranch_execz .LBB4_3868
; %bb.3867:                             ;   in Loop: Header=BB4_2956 Depth=3
	v_ffbh_u32_e32 v7, v6
	v_min_u32_e32 v7, 32, v7
	v_mov_b32_e32 v3, v61
	v_subrev_u32_e32 v13, 29, v7
	v_bfe_u32 v4, v2, 2, 5
	v_lshlrev_b64 v[2:3], v13, v[2:3]
	v_sub_u32_e32 v3, 30, v7
	v_cmp_eq_u32_e32 vcc, 0, v4
	v_cndmask_b32_e32 v3, v4, v3, vcc
	v_lshlrev_b32_e32 v4, 16, v10
	v_and_b32_e32 v2, 3, v2
	v_and_b32_e32 v4, 0x80000000, v4
	v_cndmask_b32_e32 v2, v6, v2, vcc
	v_lshl_add_u32 v3, v3, 23, v4
	v_lshl_or_b32 v2, v2, 21, v3
	v_add_u32_e32 v4, 0x38000000, v2
                                        ; implicit-def: $vgpr6
.LBB4_3868:                             ;   in Loop: Header=BB4_2956 Depth=3
	s_andn2_saveexec_b64 s[34:35], s[34:35]
; %bb.3869:                             ;   in Loop: Header=BB4_2956 Depth=3
	v_cmp_lt_i16_e32 vcc, -1, v10
	v_mov_b32_e32 v2, 0xff800000
	v_cndmask_b32_e32 v2, v2, v47, vcc
	v_cmp_eq_u32_e32 vcc, 0, v6
	v_mov_b32_e32 v3, 0x7f800001
	v_cndmask_b32_e32 v4, v3, v2, vcc
; %bb.3870:                             ;   in Loop: Header=BB4_2956 Depth=3
	s_or_b64 exec, exec, s[34:35]
.LBB4_3871:                             ;   in Loop: Header=BB4_2956 Depth=3
	s_or_b64 exec, exec, s[30:31]
.LBB4_3872:                             ;   in Loop: Header=BB4_2956 Depth=3
	s_or_b64 exec, exec, s[28:29]
	v_mul_f32_e32 v2, v12, v4
	v_and_b32_e32 v3, 0x7f800000, v2
	v_mov_b32_e32 v4, v61
	v_cmp_ne_u64_e32 vcc, s[62:63], v[3:4]
	v_and_b32_e32 v60, 0x7fffff, v2
                                        ; implicit-def: $vgpr12
	s_and_saveexec_b64 s[28:29], vcc
	s_xor_b64 s[30:31], exec, s[28:29]
	s_cbranch_execz .LBB4_3886
; %bb.3873:                             ;   in Loop: Header=BB4_2956 Depth=3
	v_and_b32_e32 v3, 0x7fffffff, v2
	v_mov_b32_e32 v4, v61
	v_cmp_gt_u64_e32 vcc, s[78:79], v[3:4]
	v_and_b32_sdwa v13, v2, s81 dst_sel:DWORD dst_unused:UNUSED_PAD src0_sel:BYTE_3 src1_sel:DWORD
                                        ; implicit-def: $vgpr12
	s_and_saveexec_b64 s[28:29], vcc
	s_xor_b64 s[34:35], exec, s[28:29]
	s_cbranch_execz .LBB4_3883
; %bb.3874:                             ;   in Loop: Header=BB4_2956 Depth=3
	v_mov_b32_e32 v12, 0
	v_cmp_ne_u32_e32 vcc, 0, v2
	s_and_saveexec_b64 s[36:37], vcc
	s_cbranch_execz .LBB4_3882
; %bb.3875:                             ;   in Loop: Header=BB4_2956 Depth=3
	v_bfe_u32 v12, v2, 23, 8
	v_cmp_gt_u32_e64 s[28:29], s47, v12
	v_sub_u32_e32 v2, 0x71, v12
	v_cmp_eq_u32_e32 vcc, 0, v12
	v_cndmask_b32_e64 v2, 0, v2, s[28:29]
	v_mov_b32_e32 v4, 0x70
	v_cndmask_b32_e32 v42, v2, v4, vcc
	v_add_u32_e32 v4, 21, v42
	v_or_b32_e32 v3, 0x800000, v60
	v_lshlrev_b64 v[43:44], v4, -1
	v_cndmask_b32_e32 v2, v3, v60, vcc
	v_mov_b32_e32 v3, v61
	v_add_u32_e32 v4, 20, v42
	v_bfi_b32 v43, v43, 0, v2
	v_lshlrev_b64 v[56:57], v4, 1
	v_lshrrev_b64 v[2:3], v42, v[2:3]
	v_bfi_b32 v44, v44, 0, 0
	v_cmp_eq_u64_e64 s[28:29], v[43:44], v[56:57]
	v_mov_b32_e32 v4, v3
	v_mov_b32_e32 v3, v2
	s_and_saveexec_b64 s[38:39], s[28:29]
; %bb.3876:                             ;   in Loop: Header=BB4_2956 Depth=3
	v_bfe_u32 v3, v2, 21, 1
	v_add_co_u32_e64 v3, s[28:29], v2, v3
	v_add_co_u32_e64 v3, s[28:29], -1, v3
; %bb.3877:                             ;   in Loop: Header=BB4_2956 Depth=3
	s_or_b64 exec, exec, s[38:39]
	v_add_u32_e32 v4, 0xffffff81, v12
	v_mov_b32_e32 v6, 0xffffff82
	v_cndmask_b32_e32 v4, v4, v6, vcc
	v_lshrrev_b32_e32 v6, 23, v2
	v_add3_u32 v12, v42, v4, v6
	v_add_u32_e32 v6, 14, v12
	v_and_b32_e32 v3, 0x1fffff, v3
	v_add_u32_e32 v60, v3, v2
	v_cmp_ne_u32_e32 vcc, 0, v6
                                        ; implicit-def: $vgpr2_vgpr3
                                        ; implicit-def: $vgpr4
	s_and_saveexec_b64 s[28:29], vcc
	s_xor_b64 s[28:29], exec, s[28:29]
; %bb.3878:                             ;   in Loop: Header=BB4_2956 Depth=3
	v_cmp_lt_u64_e32 vcc, s[88:89], v[60:61]
	v_add_u32_e32 v2, 15, v12
	v_cndmask_b32_e32 v4, v6, v2, vcc
	v_cndmask_b32_e64 v2, 0, 1, vcc
	v_lshrrev_b64 v[2:3], v2, v[60:61]
; %bb.3879:                             ;   in Loop: Header=BB4_2956 Depth=3
	s_andn2_saveexec_b64 s[28:29], s[28:29]
; %bb.3880:                             ;   in Loop: Header=BB4_2956 Depth=3
	v_mov_b32_e32 v2, v60
	v_mov_b32_e32 v3, v61
	v_bfe_u32 v4, v60, 23, 1
; %bb.3881:                             ;   in Loop: Header=BB4_2956 Depth=3
	s_or_b64 exec, exec, s[28:29]
	v_lshrrev_b64 v[2:3], 21, v[2:3]
	v_cmp_gt_i32_e32 vcc, 32, v4
	v_cndmask_b32_e32 v3, 0, v3, vcc
	v_cndmask_b32_e32 v2, 3, v2, vcc
	v_cmp_eq_u64_e64 s[28:29], 0, v[2:3]
	v_min_i32_e32 v3, 31, v4
	v_lshlrev_b32_e32 v3, 2, v3
	v_cmp_eq_u32_e32 vcc, 0, v4
	v_and_b32_e32 v3, 0xfc, v3
	v_and_or_b32 v2, v2, 3, v3
	s_and_b64 s[28:29], vcc, s[28:29]
	v_cndmask_b32_e64 v2, v2, 0, s[28:29]
	v_or_b32_e32 v12, v2, v13
.LBB4_3882:                             ;   in Loop: Header=BB4_2956 Depth=3
	s_or_b64 exec, exec, s[36:37]
                                        ; implicit-def: $vgpr13
.LBB4_3883:                             ;   in Loop: Header=BB4_2956 Depth=3
	s_andn2_saveexec_b64 s[28:29], s[34:35]
; %bb.3884:                             ;   in Loop: Header=BB4_2956 Depth=3
	v_or_b32_e32 v12, 0x7b, v13
; %bb.3885:                             ;   in Loop: Header=BB4_2956 Depth=3
	s_or_b64 exec, exec, s[28:29]
                                        ; implicit-def: $vgpr2
.LBB4_3886:                             ;   in Loop: Header=BB4_2956 Depth=3
	s_andn2_saveexec_b64 s[28:29], s[30:31]
	s_cbranch_execz .LBB4_3892
; %bb.3887:                             ;   in Loop: Header=BB4_2956 Depth=3
	v_cmp_ne_u64_e32 vcc, 0, v[60:61]
                                        ; implicit-def: $vgpr12
	s_and_saveexec_b64 s[30:31], vcc
	s_xor_b64 vcc, exec, s[30:31]
; %bb.3888:                             ;   in Loop: Header=BB4_2956 Depth=3
	v_or_b32_sdwa v12, v2, s44 dst_sel:DWORD dst_unused:UNUSED_PAD src0_sel:BYTE_3 src1_sel:DWORD
                                        ; implicit-def: $vgpr2
; %bb.3889:                             ;   in Loop: Header=BB4_2956 Depth=3
	s_andn2_saveexec_b64 s[30:31], vcc
; %bb.3890:                             ;   in Loop: Header=BB4_2956 Depth=3
	v_cmp_lt_i32_e32 vcc, -1, v2
	v_bfrev_b32_e32 v2, 0.5
	v_mov_b32_e32 v3, 0x7c
	v_cndmask_b32_e32 v12, v2, v3, vcc
; %bb.3891:                             ;   in Loop: Header=BB4_2956 Depth=3
	s_or_b64 exec, exec, s[30:31]
.LBB4_3892:                             ;   in Loop: Header=BB4_2956 Depth=3
	s_or_b64 exec, exec, s[28:29]
	v_lshrrev_b32_e32 v2, 16, v14
	v_cmp_ne_u16_sdwa vcc, v2, v61 src0_sel:BYTE_0 src1_sel:DWORD
	v_mov_b32_e32 v3, 0
	v_mov_b32_e32 v4, 0
	s_and_saveexec_b64 s[28:29], vcc
	s_cbranch_execz .LBB4_3900
; %bb.3893:                             ;   in Loop: Header=BB4_2956 Depth=3
	v_cmp_ne_u16_sdwa vcc, v2, s81 src0_sel:BYTE_0 src1_sel:DWORD
	v_bfrev_b32_e32 v4, 1
	s_and_saveexec_b64 s[30:31], vcc
	s_cbranch_execz .LBB4_3899
; %bb.3894:                             ;   in Loop: Header=BB4_2956 Depth=3
	v_and_b32_e32 v4, 0x7c0000, v14
	v_bfe_u32 v6, v14, 16, 2
	v_cmp_ne_u32_e32 vcc, s45, v4
                                        ; implicit-def: $vgpr4
	s_and_saveexec_b64 s[34:35], vcc
	s_xor_b64 s[34:35], exec, s[34:35]
	s_cbranch_execz .LBB4_3896
; %bb.3895:                             ;   in Loop: Header=BB4_2956 Depth=3
	v_ffbh_u32_e32 v7, v6
	v_min_u32_e32 v7, 32, v7
	v_subrev_u32_e32 v13, 29, v7
	v_lshlrev_b64 v[42:43], v13, v[2:3]
	v_bfe_u32 v4, v14, 18, 5
	v_sub_u32_e32 v2, 30, v7
	v_and_b32_e32 v7, 3, v42
	v_cmp_eq_u32_e32 vcc, 0, v4
	v_cndmask_b32_e32 v2, v4, v2, vcc
	v_cndmask_b32_e32 v4, v6, v7, vcc
	v_lshlrev_b32_e32 v6, 8, v14
	v_and_b32_e32 v6, 0x80000000, v6
	v_lshl_add_u32 v2, v2, 23, v6
	v_lshl_or_b32 v2, v4, 21, v2
	v_add_u32_e32 v4, 0x38000000, v2
                                        ; implicit-def: $vgpr6
                                        ; implicit-def: $vgpr2
.LBB4_3896:                             ;   in Loop: Header=BB4_2956 Depth=3
	s_andn2_saveexec_b64 s[34:35], s[34:35]
; %bb.3897:                             ;   in Loop: Header=BB4_2956 Depth=3
	v_mov_b32_e32 v4, -1
	v_cmp_gt_i16_sdwa vcc, sext(v2), v4 src0_sel:BYTE_0 src1_sel:DWORD
	v_mov_b32_e32 v2, 0xff800000
	v_cndmask_b32_e32 v2, v2, v47, vcc
	v_cmp_eq_u32_e32 vcc, 0, v6
	v_mov_b32_e32 v4, 0x7f800001
	v_cndmask_b32_e32 v4, v4, v2, vcc
; %bb.3898:                             ;   in Loop: Header=BB4_2956 Depth=3
	s_or_b64 exec, exec, s[34:35]
.LBB4_3899:                             ;   in Loop: Header=BB4_2956 Depth=3
	s_or_b64 exec, exec, s[30:31]
.LBB4_3900:                             ;   in Loop: Header=BB4_2956 Depth=3
	s_or_b64 exec, exec, s[28:29]
	v_lshrrev_b32_e32 v2, 16, v10
	v_cmp_ne_u16_sdwa vcc, v2, v61 src0_sel:BYTE_0 src1_sel:DWORD
	s_and_saveexec_b64 s[28:29], vcc
	s_cbranch_execz .LBB4_3908
; %bb.3901:                             ;   in Loop: Header=BB4_2956 Depth=3
	v_cmp_ne_u16_sdwa vcc, v2, s81 src0_sel:BYTE_0 src1_sel:DWORD
	v_bfrev_b32_e32 v3, 1
	s_and_saveexec_b64 s[30:31], vcc
	s_cbranch_execz .LBB4_3907
; %bb.3902:                             ;   in Loop: Header=BB4_2956 Depth=3
	v_and_b32_e32 v3, 0x7c0000, v10
	v_bfe_u32 v6, v10, 16, 2
	v_cmp_ne_u32_e32 vcc, s45, v3
                                        ; implicit-def: $vgpr3
	s_and_saveexec_b64 s[34:35], vcc
	s_xor_b64 s[34:35], exec, s[34:35]
	s_cbranch_execz .LBB4_3904
; %bb.3903:                             ;   in Loop: Header=BB4_2956 Depth=3
	v_ffbh_u32_e32 v3, v6
	v_min_u32_e32 v13, 32, v3
	v_subrev_u32_e32 v3, 29, v13
	v_lshlrev_b64 v[2:3], v3, v[2:3]
	v_bfe_u32 v7, v10, 18, 5
	v_and_b32_e32 v2, 3, v2
	v_cmp_eq_u32_e32 vcc, 0, v7
	v_sub_u32_e32 v3, 30, v13
	v_cndmask_b32_e32 v2, v6, v2, vcc
	v_lshlrev_b32_e32 v6, 8, v10
	v_cndmask_b32_e32 v3, v7, v3, vcc
	v_and_b32_e32 v6, 0x80000000, v6
	v_lshl_add_u32 v3, v3, 23, v6
	v_lshl_or_b32 v2, v2, 21, v3
	v_add_u32_e32 v3, 0x38000000, v2
                                        ; implicit-def: $vgpr6
                                        ; implicit-def: $vgpr2
.LBB4_3904:                             ;   in Loop: Header=BB4_2956 Depth=3
	s_andn2_saveexec_b64 s[34:35], s[34:35]
; %bb.3905:                             ;   in Loop: Header=BB4_2956 Depth=3
	v_mov_b32_e32 v3, -1
	v_cmp_gt_i16_sdwa vcc, sext(v2), v3 src0_sel:BYTE_0 src1_sel:DWORD
	v_mov_b32_e32 v2, 0xff800000
	v_cndmask_b32_e32 v2, v2, v47, vcc
	v_cmp_eq_u32_e32 vcc, 0, v6
	v_mov_b32_e32 v3, 0x7f800001
	v_cndmask_b32_e32 v3, v3, v2, vcc
; %bb.3906:                             ;   in Loop: Header=BB4_2956 Depth=3
	s_or_b64 exec, exec, s[34:35]
.LBB4_3907:                             ;   in Loop: Header=BB4_2956 Depth=3
	s_or_b64 exec, exec, s[30:31]
.LBB4_3908:                             ;   in Loop: Header=BB4_2956 Depth=3
	s_or_b64 exec, exec, s[28:29]
	v_mul_f32_e32 v2, v4, v3
	v_and_b32_e32 v3, 0x7f800000, v2
	v_mov_b32_e32 v4, v61
	v_cmp_ne_u64_e32 vcc, s[62:63], v[3:4]
	v_and_b32_e32 v60, 0x7fffff, v2
                                        ; implicit-def: $vgpr13
	s_and_saveexec_b64 s[28:29], vcc
	s_xor_b64 s[30:31], exec, s[28:29]
	s_cbranch_execz .LBB4_3922
; %bb.3909:                             ;   in Loop: Header=BB4_2956 Depth=3
	v_and_b32_e32 v3, 0x7fffffff, v2
	v_mov_b32_e32 v4, v61
	v_cmp_gt_u64_e32 vcc, s[78:79], v[3:4]
	v_and_b32_sdwa v42, v2, s81 dst_sel:DWORD dst_unused:UNUSED_PAD src0_sel:BYTE_3 src1_sel:DWORD
                                        ; implicit-def: $vgpr13
	s_and_saveexec_b64 s[28:29], vcc
	s_xor_b64 s[34:35], exec, s[28:29]
	s_cbranch_execz .LBB4_3919
; %bb.3910:                             ;   in Loop: Header=BB4_2956 Depth=3
	v_mov_b32_e32 v13, 0
	v_cmp_ne_u32_e32 vcc, 0, v2
	s_and_saveexec_b64 s[36:37], vcc
	s_cbranch_execz .LBB4_3918
; %bb.3911:                             ;   in Loop: Header=BB4_2956 Depth=3
	v_bfe_u32 v13, v2, 23, 8
	v_cmp_gt_u32_e64 s[28:29], s47, v13
	v_sub_u32_e32 v2, 0x71, v13
	v_cmp_eq_u32_e32 vcc, 0, v13
	v_cndmask_b32_e64 v2, 0, v2, s[28:29]
	v_mov_b32_e32 v4, 0x70
	v_cndmask_b32_e32 v43, v2, v4, vcc
	v_add_u32_e32 v4, 21, v43
	v_or_b32_e32 v3, 0x800000, v60
	v_lshlrev_b64 v[56:57], v4, -1
	v_cndmask_b32_e32 v2, v3, v60, vcc
	v_mov_b32_e32 v3, v61
	v_add_u32_e32 v4, 20, v43
	v_mov_b32_e32 v7, v59
	v_bfi_b32 v56, v56, 0, v2
	v_lshlrev_b64 v[58:59], v4, 1
	v_lshrrev_b64 v[2:3], v43, v[2:3]
	v_bfi_b32 v57, v57, 0, 0
	v_cmp_eq_u64_e64 s[28:29], v[56:57], v[58:59]
	v_mov_b32_e32 v4, v3
	v_mov_b32_e32 v3, v2
	s_and_saveexec_b64 s[38:39], s[28:29]
; %bb.3912:                             ;   in Loop: Header=BB4_2956 Depth=3
	v_bfe_u32 v3, v2, 21, 1
	v_add_co_u32_e64 v3, s[28:29], v2, v3
	v_add_co_u32_e64 v3, s[28:29], -1, v3
; %bb.3913:                             ;   in Loop: Header=BB4_2956 Depth=3
	s_or_b64 exec, exec, s[38:39]
	v_add_u32_e32 v4, 0xffffff81, v13
	v_mov_b32_e32 v6, 0xffffff82
	v_cndmask_b32_e32 v4, v4, v6, vcc
	v_lshrrev_b32_e32 v6, 23, v2
	v_add3_u32 v13, v43, v4, v6
	v_add_u32_e32 v6, 14, v13
	v_and_b32_e32 v3, 0x1fffff, v3
	v_add_u32_e32 v60, v3, v2
	v_cmp_ne_u32_e32 vcc, 0, v6
                                        ; implicit-def: $vgpr2_vgpr3
                                        ; implicit-def: $vgpr4
	s_and_saveexec_b64 s[28:29], vcc
	s_xor_b64 s[28:29], exec, s[28:29]
; %bb.3914:                             ;   in Loop: Header=BB4_2956 Depth=3
	v_cmp_lt_u64_e32 vcc, s[88:89], v[60:61]
	v_add_u32_e32 v2, 15, v13
	v_cndmask_b32_e32 v4, v6, v2, vcc
	v_cndmask_b32_e64 v2, 0, 1, vcc
	v_lshrrev_b64 v[2:3], v2, v[60:61]
; %bb.3915:                             ;   in Loop: Header=BB4_2956 Depth=3
	s_or_saveexec_b64 s[28:29], s[28:29]
	v_mov_b32_e32 v59, v7
	s_xor_b64 exec, exec, s[28:29]
; %bb.3916:                             ;   in Loop: Header=BB4_2956 Depth=3
	v_mov_b32_e32 v2, v60
	v_mov_b32_e32 v3, v61
	v_bfe_u32 v4, v60, 23, 1
; %bb.3917:                             ;   in Loop: Header=BB4_2956 Depth=3
	s_or_b64 exec, exec, s[28:29]
	v_lshrrev_b64 v[2:3], 21, v[2:3]
	v_cmp_gt_i32_e32 vcc, 32, v4
	v_cndmask_b32_e32 v3, 0, v3, vcc
	v_cndmask_b32_e32 v2, 3, v2, vcc
	v_cmp_eq_u64_e64 s[28:29], 0, v[2:3]
	v_min_i32_e32 v3, 31, v4
	v_lshlrev_b32_e32 v3, 2, v3
	v_cmp_eq_u32_e32 vcc, 0, v4
	v_and_b32_e32 v3, 0xfc, v3
	v_and_or_b32 v2, v2, 3, v3
	s_and_b64 s[28:29], vcc, s[28:29]
	v_cndmask_b32_e64 v2, v2, 0, s[28:29]
	v_or_b32_e32 v13, v2, v42
.LBB4_3918:                             ;   in Loop: Header=BB4_2956 Depth=3
	s_or_b64 exec, exec, s[36:37]
                                        ; implicit-def: $vgpr42
.LBB4_3919:                             ;   in Loop: Header=BB4_2956 Depth=3
	s_andn2_saveexec_b64 s[28:29], s[34:35]
; %bb.3920:                             ;   in Loop: Header=BB4_2956 Depth=3
	v_or_b32_e32 v13, 0x7b, v42
; %bb.3921:                             ;   in Loop: Header=BB4_2956 Depth=3
	s_or_b64 exec, exec, s[28:29]
                                        ; implicit-def: $vgpr2
.LBB4_3922:                             ;   in Loop: Header=BB4_2956 Depth=3
	s_andn2_saveexec_b64 s[28:29], s[30:31]
	s_cbranch_execz .LBB4_3928
; %bb.3923:                             ;   in Loop: Header=BB4_2956 Depth=3
	v_cmp_ne_u64_e32 vcc, 0, v[60:61]
                                        ; implicit-def: $vgpr13
	s_and_saveexec_b64 s[30:31], vcc
	s_xor_b64 vcc, exec, s[30:31]
; %bb.3924:                             ;   in Loop: Header=BB4_2956 Depth=3
	v_or_b32_sdwa v13, v2, s44 dst_sel:DWORD dst_unused:UNUSED_PAD src0_sel:BYTE_3 src1_sel:DWORD
                                        ; implicit-def: $vgpr2
; %bb.3925:                             ;   in Loop: Header=BB4_2956 Depth=3
	s_andn2_saveexec_b64 s[30:31], vcc
; %bb.3926:                             ;   in Loop: Header=BB4_2956 Depth=3
	v_cmp_lt_i32_e32 vcc, -1, v2
	v_bfrev_b32_e32 v2, 0.5
	v_mov_b32_e32 v3, 0x7c
	v_cndmask_b32_e32 v13, v2, v3, vcc
; %bb.3927:                             ;   in Loop: Header=BB4_2956 Depth=3
	s_or_b64 exec, exec, s[30:31]
.LBB4_3928:                             ;   in Loop: Header=BB4_2956 Depth=3
	s_or_b64 exec, exec, s[28:29]
	v_cmp_lt_u32_e32 vcc, s57, v14
	v_mov_b32_e32 v3, 0
	v_mov_b32_e32 v4, 0
	s_and_saveexec_b64 s[28:29], vcc
	s_cbranch_execz .LBB4_3936
; %bb.3929:                             ;   in Loop: Header=BB4_2956 Depth=3
	v_lshrrev_b32_e32 v2, 24, v14
	v_cmp_ne_u32_e32 vcc, s81, v2
	v_bfrev_b32_e32 v4, 1
	s_and_saveexec_b64 s[30:31], vcc
	s_cbranch_execz .LBB4_3935
; %bb.3930:                             ;   in Loop: Header=BB4_2956 Depth=3
	v_and_b32_e32 v4, 0x7c000000, v14
	v_bfe_u32 v6, v14, 24, 2
	v_cmp_ne_u32_e32 vcc, s82, v4
                                        ; implicit-def: $vgpr4
	s_and_saveexec_b64 s[34:35], vcc
	s_xor_b64 s[34:35], exec, s[34:35]
	s_cbranch_execz .LBB4_3932
; %bb.3931:                             ;   in Loop: Header=BB4_2956 Depth=3
	v_ffbh_u32_e32 v7, v6
	v_min_u32_e32 v7, 32, v7
	v_subrev_u32_e32 v24, 29, v7
	v_lshlrev_b64 v[42:43], v24, v[2:3]
	v_bfe_u32 v4, v14, 26, 5
	v_sub_u32_e32 v2, 30, v7
	v_and_b32_e32 v7, 3, v42
	v_cmp_eq_u32_e32 vcc, 0, v4
	v_cndmask_b32_e32 v2, v4, v2, vcc
	v_cndmask_b32_e32 v4, v6, v7, vcc
	v_and_b32_e32 v6, 0x80000000, v14
	v_lshl_add_u32 v2, v2, 23, v6
	v_lshl_or_b32 v2, v4, 21, v2
	v_add_u32_e32 v4, 0x38000000, v2
                                        ; implicit-def: $vgpr6
.LBB4_3932:                             ;   in Loop: Header=BB4_2956 Depth=3
	s_andn2_saveexec_b64 s[34:35], s[34:35]
; %bb.3933:                             ;   in Loop: Header=BB4_2956 Depth=3
	v_cmp_lt_i32_e32 vcc, -1, v14
	v_mov_b32_e32 v2, 0xff800000
	v_cndmask_b32_e32 v2, v2, v47, vcc
	v_cmp_eq_u32_e32 vcc, 0, v6
	v_mov_b32_e32 v4, 0x7f800001
	v_cndmask_b32_e32 v4, v4, v2, vcc
; %bb.3934:                             ;   in Loop: Header=BB4_2956 Depth=3
	s_or_b64 exec, exec, s[34:35]
.LBB4_3935:                             ;   in Loop: Header=BB4_2956 Depth=3
	s_or_b64 exec, exec, s[30:31]
.LBB4_3936:                             ;   in Loop: Header=BB4_2956 Depth=3
	s_or_b64 exec, exec, s[28:29]
	v_cmp_lt_u32_e32 vcc, s57, v10
	s_and_saveexec_b64 s[28:29], vcc
	s_cbranch_execz .LBB4_3944
; %bb.3937:                             ;   in Loop: Header=BB4_2956 Depth=3
	v_lshrrev_b32_e32 v2, 24, v10
	v_cmp_ne_u32_e32 vcc, s81, v2
	v_bfrev_b32_e32 v3, 1
	s_and_saveexec_b64 s[30:31], vcc
	s_cbranch_execz .LBB4_3943
; %bb.3938:                             ;   in Loop: Header=BB4_2956 Depth=3
	v_and_b32_e32 v3, 0x7c000000, v10
	v_bfe_u32 v6, v10, 24, 2
	v_cmp_ne_u32_e32 vcc, s82, v3
                                        ; implicit-def: $vgpr3
	s_and_saveexec_b64 s[34:35], vcc
	s_xor_b64 s[34:35], exec, s[34:35]
	s_cbranch_execz .LBB4_3940
; %bb.3939:                             ;   in Loop: Header=BB4_2956 Depth=3
	v_ffbh_u32_e32 v3, v6
	v_min_u32_e32 v24, 32, v3
	v_subrev_u32_e32 v3, 29, v24
	v_lshlrev_b64 v[2:3], v3, v[2:3]
	v_bfe_u32 v7, v10, 26, 5
	v_sub_u32_e32 v3, 30, v24
	v_and_b32_e32 v2, 3, v2
	v_cmp_eq_u32_e32 vcc, 0, v7
	v_cndmask_b32_e32 v3, v7, v3, vcc
	v_cndmask_b32_e32 v2, v6, v2, vcc
	v_and_b32_e32 v6, 0x80000000, v10
	v_lshl_add_u32 v3, v3, 23, v6
	v_lshl_or_b32 v2, v2, 21, v3
	v_add_u32_e32 v3, 0x38000000, v2
                                        ; implicit-def: $vgpr6
.LBB4_3940:                             ;   in Loop: Header=BB4_2956 Depth=3
	s_andn2_saveexec_b64 s[34:35], s[34:35]
; %bb.3941:                             ;   in Loop: Header=BB4_2956 Depth=3
	v_cmp_lt_i32_e32 vcc, -1, v10
	v_mov_b32_e32 v2, 0xff800000
	v_cndmask_b32_e32 v2, v2, v47, vcc
	v_cmp_eq_u32_e32 vcc, 0, v6
	v_mov_b32_e32 v3, 0x7f800001
	v_cndmask_b32_e32 v3, v3, v2, vcc
; %bb.3942:                             ;   in Loop: Header=BB4_2956 Depth=3
	s_or_b64 exec, exec, s[34:35]
.LBB4_3943:                             ;   in Loop: Header=BB4_2956 Depth=3
	s_or_b64 exec, exec, s[30:31]
.LBB4_3944:                             ;   in Loop: Header=BB4_2956 Depth=3
	s_or_b64 exec, exec, s[28:29]
	v_mul_f32_e32 v2, v4, v3
	v_and_b32_e32 v3, 0x7f800000, v2
	v_mov_b32_e32 v4, v61
	v_cmp_ne_u64_e32 vcc, s[62:63], v[3:4]
	v_and_b32_e32 v60, 0x7fffff, v2
                                        ; implicit-def: $vgpr42
	s_and_saveexec_b64 s[28:29], vcc
	s_xor_b64 s[30:31], exec, s[28:29]
	s_cbranch_execz .LBB4_3958
; %bb.3945:                             ;   in Loop: Header=BB4_2956 Depth=3
	v_and_b32_e32 v3, 0x7fffffff, v2
	v_mov_b32_e32 v4, v61
	v_cmp_gt_u64_e32 vcc, s[78:79], v[3:4]
	v_and_b32_sdwa v43, v2, s81 dst_sel:DWORD dst_unused:UNUSED_PAD src0_sel:BYTE_3 src1_sel:DWORD
                                        ; implicit-def: $vgpr42
	s_and_saveexec_b64 s[28:29], vcc
	s_xor_b64 s[34:35], exec, s[28:29]
	s_cbranch_execz .LBB4_3955
; %bb.3946:                             ;   in Loop: Header=BB4_2956 Depth=3
	v_mov_b32_e32 v42, 0
	v_cmp_ne_u32_e32 vcc, 0, v2
	s_and_saveexec_b64 s[36:37], vcc
	s_cbranch_execz .LBB4_3954
; %bb.3947:                             ;   in Loop: Header=BB4_2956 Depth=3
	v_bfe_u32 v42, v2, 23, 8
	v_cmp_gt_u32_e64 s[28:29], s47, v42
	v_sub_u32_e32 v2, 0x71, v42
	v_cmp_eq_u32_e32 vcc, 0, v42
	v_cndmask_b32_e64 v2, 0, v2, s[28:29]
	v_mov_b32_e32 v4, 0x70
	v_cndmask_b32_e32 v44, v2, v4, vcc
	v_add_u32_e32 v4, 21, v44
	v_or_b32_e32 v3, 0x800000, v60
	v_lshlrev_b64 v[56:57], v4, -1
	v_cndmask_b32_e32 v2, v3, v60, vcc
	v_mov_b32_e32 v3, v61
	v_add_u32_e32 v4, 20, v44
	v_mov_b32_e32 v7, v59
	v_bfi_b32 v56, v56, 0, v2
	v_lshlrev_b64 v[58:59], v4, 1
	v_lshrrev_b64 v[2:3], v44, v[2:3]
	v_bfi_b32 v57, v57, 0, 0
	v_cmp_eq_u64_e64 s[28:29], v[56:57], v[58:59]
	v_mov_b32_e32 v4, v3
	v_mov_b32_e32 v3, v2
	s_and_saveexec_b64 s[38:39], s[28:29]
; %bb.3948:                             ;   in Loop: Header=BB4_2956 Depth=3
	v_bfe_u32 v3, v2, 21, 1
	v_add_co_u32_e64 v3, s[28:29], v2, v3
	v_add_co_u32_e64 v3, s[28:29], -1, v3
; %bb.3949:                             ;   in Loop: Header=BB4_2956 Depth=3
	s_or_b64 exec, exec, s[38:39]
	v_add_u32_e32 v4, 0xffffff81, v42
	v_mov_b32_e32 v6, 0xffffff82
	v_cndmask_b32_e32 v4, v4, v6, vcc
	v_lshrrev_b32_e32 v6, 23, v2
	v_add3_u32 v42, v44, v4, v6
	v_add_u32_e32 v6, 14, v42
	v_and_b32_e32 v3, 0x1fffff, v3
	v_add_u32_e32 v60, v3, v2
	v_cmp_ne_u32_e32 vcc, 0, v6
                                        ; implicit-def: $vgpr2_vgpr3
                                        ; implicit-def: $vgpr4
	s_and_saveexec_b64 s[28:29], vcc
	s_xor_b64 s[28:29], exec, s[28:29]
; %bb.3950:                             ;   in Loop: Header=BB4_2956 Depth=3
	v_cmp_lt_u64_e32 vcc, s[88:89], v[60:61]
	v_add_u32_e32 v2, 15, v42
	v_cndmask_b32_e32 v4, v6, v2, vcc
	v_cndmask_b32_e64 v2, 0, 1, vcc
	v_lshrrev_b64 v[2:3], v2, v[60:61]
; %bb.3951:                             ;   in Loop: Header=BB4_2956 Depth=3
	s_or_saveexec_b64 s[28:29], s[28:29]
	v_mov_b32_e32 v59, v7
	s_xor_b64 exec, exec, s[28:29]
; %bb.3952:                             ;   in Loop: Header=BB4_2956 Depth=3
	v_mov_b32_e32 v2, v60
	v_mov_b32_e32 v3, v61
	v_bfe_u32 v4, v60, 23, 1
; %bb.3953:                             ;   in Loop: Header=BB4_2956 Depth=3
	s_or_b64 exec, exec, s[28:29]
	v_lshrrev_b64 v[2:3], 21, v[2:3]
	v_cmp_gt_i32_e32 vcc, 32, v4
	v_cndmask_b32_e32 v3, 0, v3, vcc
	v_cndmask_b32_e32 v2, 3, v2, vcc
	v_cmp_eq_u64_e64 s[28:29], 0, v[2:3]
	v_min_i32_e32 v3, 31, v4
	v_lshlrev_b32_e32 v3, 2, v3
	v_cmp_eq_u32_e32 vcc, 0, v4
	v_and_b32_e32 v3, 0xfc, v3
	v_and_or_b32 v2, v2, 3, v3
	s_and_b64 s[28:29], vcc, s[28:29]
	v_cndmask_b32_e64 v2, v2, 0, s[28:29]
	v_or_b32_e32 v42, v2, v43
.LBB4_3954:                             ;   in Loop: Header=BB4_2956 Depth=3
	s_or_b64 exec, exec, s[36:37]
                                        ; implicit-def: $vgpr43
.LBB4_3955:                             ;   in Loop: Header=BB4_2956 Depth=3
	s_andn2_saveexec_b64 s[28:29], s[34:35]
; %bb.3956:                             ;   in Loop: Header=BB4_2956 Depth=3
	v_or_b32_e32 v42, 0x7b, v43
; %bb.3957:                             ;   in Loop: Header=BB4_2956 Depth=3
	s_or_b64 exec, exec, s[28:29]
                                        ; implicit-def: $vgpr2
.LBB4_3958:                             ;   in Loop: Header=BB4_2956 Depth=3
	s_andn2_saveexec_b64 s[28:29], s[30:31]
	s_cbranch_execz .LBB4_3964
; %bb.3959:                             ;   in Loop: Header=BB4_2956 Depth=3
	v_cmp_ne_u64_e32 vcc, 0, v[60:61]
                                        ; implicit-def: $vgpr42
	s_and_saveexec_b64 s[30:31], vcc
	s_xor_b64 vcc, exec, s[30:31]
; %bb.3960:                             ;   in Loop: Header=BB4_2956 Depth=3
	v_or_b32_sdwa v42, v2, s44 dst_sel:DWORD dst_unused:UNUSED_PAD src0_sel:BYTE_3 src1_sel:DWORD
                                        ; implicit-def: $vgpr2
; %bb.3961:                             ;   in Loop: Header=BB4_2956 Depth=3
	s_andn2_saveexec_b64 s[30:31], vcc
; %bb.3962:                             ;   in Loop: Header=BB4_2956 Depth=3
	v_cmp_lt_i32_e32 vcc, -1, v2
	v_bfrev_b32_e32 v2, 0.5
	v_mov_b32_e32 v3, 0x7c
	v_cndmask_b32_e32 v42, v2, v3, vcc
; %bb.3963:                             ;   in Loop: Header=BB4_2956 Depth=3
	s_or_b64 exec, exec, s[30:31]
.LBB4_3964:                             ;   in Loop: Header=BB4_2956 Depth=3
	s_or_b64 exec, exec, s[28:29]
	v_mov_b32_e32 v60, v15
	v_cmp_ne_u16_sdwa vcc, v15, v61 src0_sel:BYTE_0 src1_sel:DWORD
	v_mov_b32_e32 v3, 0
	v_mov_b32_e32 v2, 0
	s_and_saveexec_b64 s[28:29], vcc
	s_cbranch_execz .LBB4_3972
; %bb.3965:                             ;   in Loop: Header=BB4_2956 Depth=3
	v_cmp_ne_u16_sdwa vcc, v15, s81 src0_sel:BYTE_0 src1_sel:DWORD
	v_bfrev_b32_e32 v2, 1
	s_and_saveexec_b64 s[30:31], vcc
	s_cbranch_execz .LBB4_3971
; %bb.3966:                             ;   in Loop: Header=BB4_2956 Depth=3
	v_and_b32_e32 v2, 0x7c, v15
	v_and_b32_e32 v4, 3, v15
	v_cmp_ne_u32_e32 vcc, s71, v2
                                        ; implicit-def: $vgpr2
	s_and_saveexec_b64 s[34:35], vcc
	s_xor_b64 s[34:35], exec, s[34:35]
	s_cbranch_execz .LBB4_3968
; %bb.3967:                             ;   in Loop: Header=BB4_2956 Depth=3
	v_ffbh_u32_e32 v6, v4
	v_min_u32_e32 v6, 32, v6
	v_bfe_u32 v2, v15, 2, 5
	v_subrev_u32_e32 v7, 29, v6
	v_lshlrev_b64 v[43:44], v7, v[60:61]
	v_sub_u32_e32 v6, 30, v6
	v_cmp_eq_u32_e32 vcc, 0, v2
	v_cndmask_b32_e32 v2, v2, v6, vcc
	v_lshlrev_b32_e32 v6, 24, v15
	v_and_b32_e32 v7, 3, v43
	v_and_b32_e32 v6, 0x80000000, v6
	v_cndmask_b32_e32 v4, v4, v7, vcc
	v_lshl_add_u32 v2, v2, 23, v6
	v_lshl_or_b32 v2, v4, 21, v2
	v_add_u32_e32 v2, 0x38000000, v2
                                        ; implicit-def: $vgpr4
.LBB4_3968:                             ;   in Loop: Header=BB4_2956 Depth=3
	s_andn2_saveexec_b64 s[34:35], s[34:35]
; %bb.3969:                             ;   in Loop: Header=BB4_2956 Depth=3
	v_mov_b32_e32 v2, -1
	v_cmp_gt_i16_sdwa vcc, sext(v15), v2 src0_sel:BYTE_0 src1_sel:DWORD
	v_mov_b32_e32 v2, 0xff800000
	v_cndmask_b32_e32 v2, v2, v47, vcc
	v_cmp_eq_u32_e32 vcc, 0, v4
	v_mov_b32_e32 v4, 0x7f800001
	v_cndmask_b32_e32 v2, v4, v2, vcc
; %bb.3970:                             ;   in Loop: Header=BB4_2956 Depth=3
	s_or_b64 exec, exec, s[34:35]
.LBB4_3971:                             ;   in Loop: Header=BB4_2956 Depth=3
	s_or_b64 exec, exec, s[30:31]
.LBB4_3972:                             ;   in Loop: Header=BB4_2956 Depth=3
	s_or_b64 exec, exec, s[28:29]
	v_cmp_ne_u16_sdwa vcc, v11, v61 src0_sel:BYTE_0 src1_sel:DWORD
	s_and_saveexec_b64 s[28:29], vcc
	s_cbranch_execz .LBB4_3980
; %bb.3973:                             ;   in Loop: Header=BB4_2956 Depth=3
	v_cmp_ne_u16_sdwa vcc, v11, s81 src0_sel:BYTE_0 src1_sel:DWORD
	v_bfrev_b32_e32 v3, 1
	s_and_saveexec_b64 s[30:31], vcc
	s_cbranch_execz .LBB4_3979
; %bb.3974:                             ;   in Loop: Header=BB4_2956 Depth=3
	v_and_b32_e32 v3, 0x7c, v11
	v_and_b32_e32 v4, 3, v11
	v_cmp_ne_u32_e32 vcc, s71, v3
                                        ; implicit-def: $vgpr3
	s_and_saveexec_b64 s[34:35], vcc
	s_xor_b64 s[34:35], exec, s[34:35]
	s_cbranch_execz .LBB4_3976
; %bb.3975:                             ;   in Loop: Header=BB4_2956 Depth=3
	v_ffbh_u32_e32 v6, v4
	v_min_u32_e32 v6, 32, v6
	v_mov_b32_e32 v43, v11
	v_mov_b32_e32 v44, v61
	v_bfe_u32 v3, v11, 2, 5
	v_subrev_u32_e32 v7, 29, v6
	v_lshlrev_b64 v[43:44], v7, v[43:44]
	v_sub_u32_e32 v6, 30, v6
	v_cmp_eq_u32_e32 vcc, 0, v3
	v_cndmask_b32_e32 v3, v3, v6, vcc
	v_lshlrev_b32_e32 v6, 24, v11
	v_and_b32_e32 v7, 3, v43
	v_and_b32_e32 v6, 0x80000000, v6
	v_cndmask_b32_e32 v4, v4, v7, vcc
	v_lshl_add_u32 v3, v3, 23, v6
	v_lshl_or_b32 v3, v4, 21, v3
	v_add_u32_e32 v3, 0x38000000, v3
                                        ; implicit-def: $vgpr4
.LBB4_3976:                             ;   in Loop: Header=BB4_2956 Depth=3
	s_andn2_saveexec_b64 s[34:35], s[34:35]
; %bb.3977:                             ;   in Loop: Header=BB4_2956 Depth=3
	v_mov_b32_e32 v3, -1
	v_cmp_gt_i16_sdwa vcc, sext(v11), v3 src0_sel:BYTE_0 src1_sel:DWORD
	v_mov_b32_e32 v3, 0xff800000
	v_cndmask_b32_e32 v3, v3, v47, vcc
	v_cmp_eq_u32_e32 vcc, 0, v4
	v_mov_b32_e32 v4, 0x7f800001
	v_cndmask_b32_e32 v3, v4, v3, vcc
; %bb.3978:                             ;   in Loop: Header=BB4_2956 Depth=3
	s_or_b64 exec, exec, s[34:35]
.LBB4_3979:                             ;   in Loop: Header=BB4_2956 Depth=3
	s_or_b64 exec, exec, s[30:31]
.LBB4_3980:                             ;   in Loop: Header=BB4_2956 Depth=3
	s_or_b64 exec, exec, s[28:29]
	v_mul_f32_e32 v4, v2, v3
	v_and_b32_e32 v43, 0x7f800000, v4
	v_mov_b32_e32 v44, v61
	v_cmp_ne_u64_e32 vcc, s[62:63], v[43:44]
	v_and_b32_e32 v2, 0x7fffff, v4
	v_mov_b32_e32 v3, v61
                                        ; implicit-def: $vgpr43
	s_and_saveexec_b64 s[28:29], vcc
	s_xor_b64 s[30:31], exec, s[28:29]
	s_cbranch_execz .LBB4_3994
; %bb.3981:                             ;   in Loop: Header=BB4_2956 Depth=3
	v_and_b32_e32 v43, 0x7fffffff, v4
	v_mov_b32_e32 v44, v61
	v_cmp_gt_u64_e32 vcc, s[78:79], v[43:44]
	v_and_b32_sdwa v44, v4, s81 dst_sel:DWORD dst_unused:UNUSED_PAD src0_sel:BYTE_3 src1_sel:DWORD
                                        ; implicit-def: $vgpr43
	s_and_saveexec_b64 s[28:29], vcc
	s_xor_b64 s[34:35], exec, s[28:29]
	s_cbranch_execz .LBB4_3991
; %bb.3982:                             ;   in Loop: Header=BB4_2956 Depth=3
	v_mov_b32_e32 v43, 0
	v_cmp_ne_u32_e32 vcc, 0, v4
	s_and_saveexec_b64 s[36:37], vcc
	s_cbranch_execz .LBB4_3990
; %bb.3983:                             ;   in Loop: Header=BB4_2956 Depth=3
	v_bfe_u32 v43, v4, 23, 8
	v_cmp_gt_u32_e64 s[28:29], s47, v43
	v_sub_u32_e32 v4, 0x71, v43
	v_cmp_eq_u32_e32 vcc, 0, v43
	v_cndmask_b32_e64 v4, 0, v4, s[28:29]
	v_mov_b32_e32 v7, 0x70
	v_cndmask_b32_e32 v56, v4, v7, vcc
	v_add_u32_e32 v4, 21, v56
	v_or_b32_e32 v6, 0x800000, v2
	v_lshlrev_b64 v[57:58], v4, -1
	v_cndmask_b32_e32 v2, v6, v2, vcc
	v_add_u32_e32 v4, 20, v56
	v_bfi_b32 v57, v57, 0, v2
	v_lshlrev_b64 v[6:7], v4, 1
	v_lshrrev_b64 v[2:3], v56, v[2:3]
	v_bfi_b32 v58, v58, 0, 0
	v_cmp_eq_u64_e64 s[28:29], v[57:58], v[6:7]
	v_mov_b32_e32 v4, v3
	v_mov_b32_e32 v3, v2
	s_and_saveexec_b64 s[38:39], s[28:29]
; %bb.3984:                             ;   in Loop: Header=BB4_2956 Depth=3
	v_bfe_u32 v3, v2, 21, 1
	v_add_co_u32_e64 v3, s[28:29], v2, v3
	v_add_co_u32_e64 v3, s[28:29], -1, v3
; %bb.3985:                             ;   in Loop: Header=BB4_2956 Depth=3
	s_or_b64 exec, exec, s[38:39]
	v_add_u32_e32 v4, 0xffffff81, v43
	v_mov_b32_e32 v6, 0xffffff82
	v_cndmask_b32_e32 v4, v4, v6, vcc
	v_lshrrev_b32_e32 v6, 23, v2
	v_add3_u32 v43, v56, v4, v6
	v_add_u32_e32 v6, 14, v43
	v_and_b32_e32 v3, 0x1fffff, v3
	v_add_u32_e32 v2, v3, v2
	v_mov_b32_e32 v3, v61
	v_cmp_ne_u32_e32 vcc, 0, v6
                                        ; implicit-def: $vgpr4
	s_and_saveexec_b64 s[28:29], vcc
	s_xor_b64 s[28:29], exec, s[28:29]
; %bb.3986:                             ;   in Loop: Header=BB4_2956 Depth=3
	v_cmp_lt_u64_e32 vcc, s[88:89], v[2:3]
	v_add_u32_e32 v4, 15, v43
	v_cndmask_b32_e32 v4, v6, v4, vcc
	v_cndmask_b32_e64 v6, 0, 1, vcc
	v_lshrrev_b64 v[2:3], v6, v[2:3]
; %bb.3987:                             ;   in Loop: Header=BB4_2956 Depth=3
	s_andn2_saveexec_b64 s[28:29], s[28:29]
; %bb.3988:                             ;   in Loop: Header=BB4_2956 Depth=3
	v_bfe_u32 v4, v2, 23, 1
; %bb.3989:                             ;   in Loop: Header=BB4_2956 Depth=3
	s_or_b64 exec, exec, s[28:29]
	v_lshrrev_b64 v[2:3], 21, v[2:3]
	v_cmp_gt_i32_e32 vcc, 32, v4
	v_cndmask_b32_e32 v3, 0, v3, vcc
	v_cndmask_b32_e32 v2, 3, v2, vcc
	v_cmp_eq_u64_e64 s[28:29], 0, v[2:3]
	v_min_i32_e32 v3, 31, v4
	v_lshlrev_b32_e32 v3, 2, v3
	v_cmp_eq_u32_e32 vcc, 0, v4
	v_and_b32_e32 v3, 0xfc, v3
	v_and_or_b32 v2, v2, 3, v3
	s_and_b64 s[28:29], vcc, s[28:29]
	v_cndmask_b32_e64 v2, v2, 0, s[28:29]
	v_or_b32_e32 v43, v2, v44
.LBB4_3990:                             ;   in Loop: Header=BB4_2956 Depth=3
	s_or_b64 exec, exec, s[36:37]
                                        ; implicit-def: $vgpr44
.LBB4_3991:                             ;   in Loop: Header=BB4_2956 Depth=3
	s_andn2_saveexec_b64 s[28:29], s[34:35]
; %bb.3992:                             ;   in Loop: Header=BB4_2956 Depth=3
	v_or_b32_e32 v43, 0x7b, v44
; %bb.3993:                             ;   in Loop: Header=BB4_2956 Depth=3
	s_or_b64 exec, exec, s[28:29]
                                        ; implicit-def: $vgpr4
                                        ; implicit-def: $vgpr2_vgpr3
.LBB4_3994:                             ;   in Loop: Header=BB4_2956 Depth=3
	s_andn2_saveexec_b64 s[28:29], s[30:31]
	s_cbranch_execz .LBB4_4000
; %bb.3995:                             ;   in Loop: Header=BB4_2956 Depth=3
	v_cmp_ne_u64_e32 vcc, 0, v[2:3]
                                        ; implicit-def: $vgpr43
	s_and_saveexec_b64 s[30:31], vcc
	s_xor_b64 vcc, exec, s[30:31]
; %bb.3996:                             ;   in Loop: Header=BB4_2956 Depth=3
	v_or_b32_sdwa v43, v4, s44 dst_sel:DWORD dst_unused:UNUSED_PAD src0_sel:BYTE_3 src1_sel:DWORD
                                        ; implicit-def: $vgpr4
; %bb.3997:                             ;   in Loop: Header=BB4_2956 Depth=3
	s_andn2_saveexec_b64 s[30:31], vcc
; %bb.3998:                             ;   in Loop: Header=BB4_2956 Depth=3
	v_cmp_lt_i32_e32 vcc, -1, v4
	v_bfrev_b32_e32 v2, 0.5
	v_mov_b32_e32 v3, 0x7c
	v_cndmask_b32_e32 v43, v2, v3, vcc
; %bb.3999:                             ;   in Loop: Header=BB4_2956 Depth=3
	s_or_b64 exec, exec, s[30:31]
.LBB4_4000:                             ;   in Loop: Header=BB4_2956 Depth=3
	s_or_b64 exec, exec, s[28:29]
	v_lshrrev_b16_e32 v2, 8, v60
	v_cmp_ne_u16_e32 vcc, 0, v2
	v_mov_b32_e32 v4, 0
	v_mov_b32_e32 v44, 0
	s_and_saveexec_b64 s[28:29], vcc
	s_cbranch_execz .LBB4_4008
; %bb.4001:                             ;   in Loop: Header=BB4_2956 Depth=3
	v_cmp_ne_u16_e32 vcc, s81, v2
	v_bfrev_b32_e32 v44, 1
	s_and_saveexec_b64 s[30:31], vcc
	s_cbranch_execz .LBB4_4007
; %bb.4002:                             ;   in Loop: Header=BB4_2956 Depth=3
	v_and_b32_e32 v3, 0x7c, v2
	v_and_b32_e32 v6, 3, v2
	v_cmp_ne_u32_e32 vcc, s71, v3
                                        ; implicit-def: $vgpr44
	s_and_saveexec_b64 s[34:35], vcc
	s_xor_b64 s[34:35], exec, s[34:35]
	s_cbranch_execz .LBB4_4004
; %bb.4003:                             ;   in Loop: Header=BB4_2956 Depth=3
	v_ffbh_u32_e32 v24, v6
	v_min_u32_e32 v24, 32, v24
	v_mov_b32_e32 v3, v61
	v_subrev_u32_e32 v25, 29, v24
	v_bfe_u32 v7, v2, 2, 5
	v_lshlrev_b64 v[2:3], v25, v[2:3]
	v_cmp_eq_u32_e32 vcc, 0, v7
	v_and_b32_e32 v2, 3, v2
	v_sub_u32_e32 v3, 30, v24
	v_cndmask_b32_e32 v2, v6, v2, vcc
	v_lshlrev_b32_e32 v6, 16, v60
	v_cndmask_b32_e32 v3, v7, v3, vcc
	v_and_b32_e32 v6, 0x80000000, v6
	v_lshl_add_u32 v3, v3, 23, v6
	v_lshl_or_b32 v2, v2, 21, v3
	v_add_u32_e32 v44, 0x38000000, v2
                                        ; implicit-def: $vgpr6
.LBB4_4004:                             ;   in Loop: Header=BB4_2956 Depth=3
	s_andn2_saveexec_b64 s[34:35], s[34:35]
; %bb.4005:                             ;   in Loop: Header=BB4_2956 Depth=3
	v_cmp_lt_i16_e32 vcc, -1, v60
	v_mov_b32_e32 v2, 0xff800000
	v_cndmask_b32_e32 v2, v2, v47, vcc
	v_cmp_eq_u32_e32 vcc, 0, v6
	v_mov_b32_e32 v3, 0x7f800001
	v_cndmask_b32_e32 v44, v3, v2, vcc
; %bb.4006:                             ;   in Loop: Header=BB4_2956 Depth=3
	s_or_b64 exec, exec, s[34:35]
.LBB4_4007:                             ;   in Loop: Header=BB4_2956 Depth=3
	s_or_b64 exec, exec, s[30:31]
.LBB4_4008:                             ;   in Loop: Header=BB4_2956 Depth=3
	s_or_b64 exec, exec, s[28:29]
	v_lshrrev_b16_e32 v2, 8, v11
	v_cmp_ne_u16_e32 vcc, 0, v2
	s_and_saveexec_b64 s[28:29], vcc
	s_cbranch_execz .LBB4_4016
; %bb.4009:                             ;   in Loop: Header=BB4_2956 Depth=3
	v_cmp_ne_u16_e32 vcc, s81, v2
	v_bfrev_b32_e32 v4, 1
	s_and_saveexec_b64 s[30:31], vcc
	s_cbranch_execz .LBB4_4015
; %bb.4010:                             ;   in Loop: Header=BB4_2956 Depth=3
	v_and_b32_e32 v3, 0x7c, v2
	v_and_b32_e32 v6, 3, v2
	v_cmp_ne_u32_e32 vcc, s71, v3
                                        ; implicit-def: $vgpr4
	s_and_saveexec_b64 s[34:35], vcc
	s_xor_b64 s[34:35], exec, s[34:35]
	s_cbranch_execz .LBB4_4012
; %bb.4011:                             ;   in Loop: Header=BB4_2956 Depth=3
	v_ffbh_u32_e32 v7, v6
	v_min_u32_e32 v7, 32, v7
	v_mov_b32_e32 v3, v61
	v_subrev_u32_e32 v24, 29, v7
	v_bfe_u32 v4, v2, 2, 5
	v_lshlrev_b64 v[2:3], v24, v[2:3]
	v_sub_u32_e32 v3, 30, v7
	v_cmp_eq_u32_e32 vcc, 0, v4
	v_cndmask_b32_e32 v3, v4, v3, vcc
	v_lshlrev_b32_e32 v4, 16, v11
	v_and_b32_e32 v2, 3, v2
	v_and_b32_e32 v4, 0x80000000, v4
	v_cndmask_b32_e32 v2, v6, v2, vcc
	v_lshl_add_u32 v3, v3, 23, v4
	v_lshl_or_b32 v2, v2, 21, v3
	v_add_u32_e32 v4, 0x38000000, v2
                                        ; implicit-def: $vgpr6
.LBB4_4012:                             ;   in Loop: Header=BB4_2956 Depth=3
	s_andn2_saveexec_b64 s[34:35], s[34:35]
; %bb.4013:                             ;   in Loop: Header=BB4_2956 Depth=3
	v_cmp_lt_i16_e32 vcc, -1, v11
	v_mov_b32_e32 v2, 0xff800000
	v_cndmask_b32_e32 v2, v2, v47, vcc
	v_cmp_eq_u32_e32 vcc, 0, v6
	v_mov_b32_e32 v3, 0x7f800001
	v_cndmask_b32_e32 v4, v3, v2, vcc
; %bb.4014:                             ;   in Loop: Header=BB4_2956 Depth=3
	s_or_b64 exec, exec, s[34:35]
.LBB4_4015:                             ;   in Loop: Header=BB4_2956 Depth=3
	s_or_b64 exec, exec, s[30:31]
.LBB4_4016:                             ;   in Loop: Header=BB4_2956 Depth=3
	s_or_b64 exec, exec, s[28:29]
	v_mul_f32_e32 v2, v44, v4
	v_and_b32_e32 v3, 0x7f800000, v2
	v_mov_b32_e32 v4, v61
	v_cmp_ne_u64_e32 vcc, s[62:63], v[3:4]
	v_and_b32_e32 v60, 0x7fffff, v2
                                        ; implicit-def: $vgpr44
	s_and_saveexec_b64 s[28:29], vcc
	s_xor_b64 s[30:31], exec, s[28:29]
	s_cbranch_execz .LBB4_4030
; %bb.4017:                             ;   in Loop: Header=BB4_2956 Depth=3
	v_and_b32_e32 v3, 0x7fffffff, v2
	v_mov_b32_e32 v4, v61
	v_cmp_gt_u64_e32 vcc, s[78:79], v[3:4]
	v_and_b32_sdwa v56, v2, s81 dst_sel:DWORD dst_unused:UNUSED_PAD src0_sel:BYTE_3 src1_sel:DWORD
                                        ; implicit-def: $vgpr44
	s_and_saveexec_b64 s[28:29], vcc
	s_xor_b64 s[34:35], exec, s[28:29]
	s_cbranch_execz .LBB4_4027
; %bb.4018:                             ;   in Loop: Header=BB4_2956 Depth=3
	v_mov_b32_e32 v44, 0
	v_cmp_ne_u32_e32 vcc, 0, v2
	s_and_saveexec_b64 s[36:37], vcc
	s_cbranch_execz .LBB4_4026
; %bb.4019:                             ;   in Loop: Header=BB4_2956 Depth=3
	v_bfe_u32 v44, v2, 23, 8
	v_cmp_gt_u32_e64 s[28:29], s47, v44
	v_sub_u32_e32 v2, 0x71, v44
	v_cmp_eq_u32_e32 vcc, 0, v44
	v_cndmask_b32_e64 v2, 0, v2, s[28:29]
	v_mov_b32_e32 v4, 0x70
	v_cndmask_b32_e32 v57, v2, v4, vcc
	v_add_u32_e32 v4, 21, v57
	v_or_b32_e32 v3, 0x800000, v60
	v_lshlrev_b64 v[6:7], v4, -1
	v_cndmask_b32_e32 v2, v3, v60, vcc
	v_mov_b32_e32 v3, v61
	v_add_u32_e32 v4, 20, v57
	v_mov_b32_e32 v24, v59
	v_bfi_b32 v6, v6, 0, v2
	v_lshlrev_b64 v[58:59], v4, 1
	v_lshrrev_b64 v[2:3], v57, v[2:3]
	v_bfi_b32 v7, v7, 0, 0
	v_cmp_eq_u64_e64 s[28:29], v[6:7], v[58:59]
	v_mov_b32_e32 v4, v3
	v_mov_b32_e32 v3, v2
	s_and_saveexec_b64 s[38:39], s[28:29]
; %bb.4020:                             ;   in Loop: Header=BB4_2956 Depth=3
	v_bfe_u32 v3, v2, 21, 1
	v_add_co_u32_e64 v3, s[28:29], v2, v3
	v_add_co_u32_e64 v3, s[28:29], -1, v3
; %bb.4021:                             ;   in Loop: Header=BB4_2956 Depth=3
	s_or_b64 exec, exec, s[38:39]
	v_add_u32_e32 v4, 0xffffff81, v44
	v_mov_b32_e32 v6, 0xffffff82
	v_cndmask_b32_e32 v4, v4, v6, vcc
	v_lshrrev_b32_e32 v6, 23, v2
	v_add3_u32 v44, v57, v4, v6
	v_add_u32_e32 v6, 14, v44
	v_and_b32_e32 v3, 0x1fffff, v3
	v_add_u32_e32 v60, v3, v2
	v_cmp_ne_u32_e32 vcc, 0, v6
                                        ; implicit-def: $vgpr2_vgpr3
                                        ; implicit-def: $vgpr4
	s_and_saveexec_b64 s[28:29], vcc
	s_xor_b64 s[28:29], exec, s[28:29]
; %bb.4022:                             ;   in Loop: Header=BB4_2956 Depth=3
	v_cmp_lt_u64_e32 vcc, s[88:89], v[60:61]
	v_add_u32_e32 v2, 15, v44
	v_cndmask_b32_e32 v4, v6, v2, vcc
	v_cndmask_b32_e64 v2, 0, 1, vcc
	v_lshrrev_b64 v[2:3], v2, v[60:61]
; %bb.4023:                             ;   in Loop: Header=BB4_2956 Depth=3
	s_or_saveexec_b64 s[28:29], s[28:29]
	v_mov_b32_e32 v59, v24
	s_xor_b64 exec, exec, s[28:29]
; %bb.4024:                             ;   in Loop: Header=BB4_2956 Depth=3
	v_mov_b32_e32 v2, v60
	v_mov_b32_e32 v3, v61
	v_bfe_u32 v4, v60, 23, 1
; %bb.4025:                             ;   in Loop: Header=BB4_2956 Depth=3
	s_or_b64 exec, exec, s[28:29]
	v_lshrrev_b64 v[2:3], 21, v[2:3]
	v_cmp_gt_i32_e32 vcc, 32, v4
	v_cndmask_b32_e32 v3, 0, v3, vcc
	v_cndmask_b32_e32 v2, 3, v2, vcc
	v_cmp_eq_u64_e64 s[28:29], 0, v[2:3]
	v_min_i32_e32 v3, 31, v4
	v_lshlrev_b32_e32 v3, 2, v3
	v_cmp_eq_u32_e32 vcc, 0, v4
	v_and_b32_e32 v3, 0xfc, v3
	v_and_or_b32 v2, v2, 3, v3
	s_and_b64 s[28:29], vcc, s[28:29]
	v_cndmask_b32_e64 v2, v2, 0, s[28:29]
	v_or_b32_e32 v44, v2, v56
.LBB4_4026:                             ;   in Loop: Header=BB4_2956 Depth=3
	s_or_b64 exec, exec, s[36:37]
                                        ; implicit-def: $vgpr56
.LBB4_4027:                             ;   in Loop: Header=BB4_2956 Depth=3
	s_andn2_saveexec_b64 s[28:29], s[34:35]
; %bb.4028:                             ;   in Loop: Header=BB4_2956 Depth=3
	v_or_b32_e32 v44, 0x7b, v56
; %bb.4029:                             ;   in Loop: Header=BB4_2956 Depth=3
	s_or_b64 exec, exec, s[28:29]
                                        ; implicit-def: $vgpr2
.LBB4_4030:                             ;   in Loop: Header=BB4_2956 Depth=3
	s_andn2_saveexec_b64 s[28:29], s[30:31]
	s_cbranch_execz .LBB4_4036
; %bb.4031:                             ;   in Loop: Header=BB4_2956 Depth=3
	v_cmp_ne_u64_e32 vcc, 0, v[60:61]
                                        ; implicit-def: $vgpr44
	s_and_saveexec_b64 s[30:31], vcc
	s_xor_b64 vcc, exec, s[30:31]
; %bb.4032:                             ;   in Loop: Header=BB4_2956 Depth=3
	v_or_b32_sdwa v44, v2, s44 dst_sel:DWORD dst_unused:UNUSED_PAD src0_sel:BYTE_3 src1_sel:DWORD
                                        ; implicit-def: $vgpr2
; %bb.4033:                             ;   in Loop: Header=BB4_2956 Depth=3
	s_andn2_saveexec_b64 s[30:31], vcc
; %bb.4034:                             ;   in Loop: Header=BB4_2956 Depth=3
	v_cmp_lt_i32_e32 vcc, -1, v2
	v_bfrev_b32_e32 v2, 0.5
	v_mov_b32_e32 v3, 0x7c
	v_cndmask_b32_e32 v44, v2, v3, vcc
; %bb.4035:                             ;   in Loop: Header=BB4_2956 Depth=3
	s_or_b64 exec, exec, s[30:31]
.LBB4_4036:                             ;   in Loop: Header=BB4_2956 Depth=3
	s_or_b64 exec, exec, s[28:29]
	v_lshrrev_b32_e32 v2, 16, v15
	v_cmp_ne_u16_sdwa vcc, v2, v61 src0_sel:BYTE_0 src1_sel:DWORD
	v_mov_b32_e32 v3, 0
	v_mov_b32_e32 v4, 0
	s_and_saveexec_b64 s[28:29], vcc
	s_cbranch_execz .LBB4_4044
; %bb.4037:                             ;   in Loop: Header=BB4_2956 Depth=3
	v_cmp_ne_u16_sdwa vcc, v2, s81 src0_sel:BYTE_0 src1_sel:DWORD
	v_bfrev_b32_e32 v4, 1
	s_and_saveexec_b64 s[30:31], vcc
	s_cbranch_execz .LBB4_4043
; %bb.4038:                             ;   in Loop: Header=BB4_2956 Depth=3
	v_and_b32_e32 v4, 0x7c0000, v15
	v_bfe_u32 v6, v15, 16, 2
	v_cmp_ne_u32_e32 vcc, s45, v4
                                        ; implicit-def: $vgpr4
	s_and_saveexec_b64 s[34:35], vcc
	s_xor_b64 s[34:35], exec, s[34:35]
	s_cbranch_execz .LBB4_4040
; %bb.4039:                             ;   in Loop: Header=BB4_2956 Depth=3
	v_ffbh_u32_e32 v7, v6
	v_min_u32_e32 v7, 32, v7
	v_subrev_u32_e32 v24, 29, v7
	v_lshlrev_b64 v[56:57], v24, v[2:3]
	v_bfe_u32 v4, v15, 18, 5
	v_sub_u32_e32 v2, 30, v7
	v_and_b32_e32 v7, 3, v56
	v_cmp_eq_u32_e32 vcc, 0, v4
	v_cndmask_b32_e32 v2, v4, v2, vcc
	v_cndmask_b32_e32 v4, v6, v7, vcc
	v_lshlrev_b32_e32 v6, 8, v15
	v_and_b32_e32 v6, 0x80000000, v6
	v_lshl_add_u32 v2, v2, 23, v6
	v_lshl_or_b32 v2, v4, 21, v2
	v_add_u32_e32 v4, 0x38000000, v2
                                        ; implicit-def: $vgpr6
                                        ; implicit-def: $vgpr2
.LBB4_4040:                             ;   in Loop: Header=BB4_2956 Depth=3
	s_andn2_saveexec_b64 s[34:35], s[34:35]
; %bb.4041:                             ;   in Loop: Header=BB4_2956 Depth=3
	v_mov_b32_e32 v4, -1
	v_cmp_gt_i16_sdwa vcc, sext(v2), v4 src0_sel:BYTE_0 src1_sel:DWORD
	v_mov_b32_e32 v2, 0xff800000
	v_cndmask_b32_e32 v2, v2, v47, vcc
	v_cmp_eq_u32_e32 vcc, 0, v6
	v_mov_b32_e32 v4, 0x7f800001
	v_cndmask_b32_e32 v4, v4, v2, vcc
; %bb.4042:                             ;   in Loop: Header=BB4_2956 Depth=3
	s_or_b64 exec, exec, s[34:35]
.LBB4_4043:                             ;   in Loop: Header=BB4_2956 Depth=3
	s_or_b64 exec, exec, s[30:31]
.LBB4_4044:                             ;   in Loop: Header=BB4_2956 Depth=3
	s_or_b64 exec, exec, s[28:29]
	v_lshrrev_b32_e32 v2, 16, v11
	v_cmp_ne_u16_sdwa vcc, v2, v61 src0_sel:BYTE_0 src1_sel:DWORD
	s_and_saveexec_b64 s[28:29], vcc
	s_cbranch_execz .LBB4_4052
; %bb.4045:                             ;   in Loop: Header=BB4_2956 Depth=3
	v_cmp_ne_u16_sdwa vcc, v2, s81 src0_sel:BYTE_0 src1_sel:DWORD
	v_bfrev_b32_e32 v3, 1
	s_and_saveexec_b64 s[30:31], vcc
	s_cbranch_execz .LBB4_4051
; %bb.4046:                             ;   in Loop: Header=BB4_2956 Depth=3
	v_and_b32_e32 v3, 0x7c0000, v11
	v_bfe_u32 v6, v11, 16, 2
	v_cmp_ne_u32_e32 vcc, s45, v3
                                        ; implicit-def: $vgpr3
	s_and_saveexec_b64 s[34:35], vcc
	s_xor_b64 s[34:35], exec, s[34:35]
	s_cbranch_execz .LBB4_4048
; %bb.4047:                             ;   in Loop: Header=BB4_2956 Depth=3
	v_ffbh_u32_e32 v3, v6
	v_min_u32_e32 v24, 32, v3
	v_subrev_u32_e32 v3, 29, v24
	v_lshlrev_b64 v[2:3], v3, v[2:3]
	v_bfe_u32 v7, v11, 18, 5
	v_and_b32_e32 v2, 3, v2
	v_cmp_eq_u32_e32 vcc, 0, v7
	v_sub_u32_e32 v3, 30, v24
	v_cndmask_b32_e32 v2, v6, v2, vcc
	v_lshlrev_b32_e32 v6, 8, v11
	v_cndmask_b32_e32 v3, v7, v3, vcc
	v_and_b32_e32 v6, 0x80000000, v6
	v_lshl_add_u32 v3, v3, 23, v6
	v_lshl_or_b32 v2, v2, 21, v3
	v_add_u32_e32 v3, 0x38000000, v2
                                        ; implicit-def: $vgpr6
                                        ; implicit-def: $vgpr2
.LBB4_4048:                             ;   in Loop: Header=BB4_2956 Depth=3
	s_andn2_saveexec_b64 s[34:35], s[34:35]
; %bb.4049:                             ;   in Loop: Header=BB4_2956 Depth=3
	v_mov_b32_e32 v3, -1
	v_cmp_gt_i16_sdwa vcc, sext(v2), v3 src0_sel:BYTE_0 src1_sel:DWORD
	v_mov_b32_e32 v2, 0xff800000
	v_cndmask_b32_e32 v2, v2, v47, vcc
	v_cmp_eq_u32_e32 vcc, 0, v6
	v_mov_b32_e32 v3, 0x7f800001
	v_cndmask_b32_e32 v3, v3, v2, vcc
; %bb.4050:                             ;   in Loop: Header=BB4_2956 Depth=3
	s_or_b64 exec, exec, s[34:35]
.LBB4_4051:                             ;   in Loop: Header=BB4_2956 Depth=3
	s_or_b64 exec, exec, s[30:31]
.LBB4_4052:                             ;   in Loop: Header=BB4_2956 Depth=3
	s_or_b64 exec, exec, s[28:29]
	v_mul_f32_e32 v2, v4, v3
	v_and_b32_e32 v3, 0x7f800000, v2
	v_mov_b32_e32 v4, v61
	v_cmp_ne_u64_e32 vcc, s[62:63], v[3:4]
	v_and_b32_e32 v60, 0x7fffff, v2
                                        ; implicit-def: $vgpr56
	s_and_saveexec_b64 s[28:29], vcc
	s_xor_b64 s[30:31], exec, s[28:29]
	s_cbranch_execz .LBB4_4066
; %bb.4053:                             ;   in Loop: Header=BB4_2956 Depth=3
	v_and_b32_e32 v3, 0x7fffffff, v2
	v_mov_b32_e32 v4, v61
	v_cmp_gt_u64_e32 vcc, s[78:79], v[3:4]
	v_and_b32_sdwa v57, v2, s81 dst_sel:DWORD dst_unused:UNUSED_PAD src0_sel:BYTE_3 src1_sel:DWORD
                                        ; implicit-def: $vgpr56
	s_and_saveexec_b64 s[28:29], vcc
	s_xor_b64 s[34:35], exec, s[28:29]
	s_cbranch_execz .LBB4_4063
; %bb.4054:                             ;   in Loop: Header=BB4_2956 Depth=3
	v_mov_b32_e32 v56, 0
	v_cmp_ne_u32_e32 vcc, 0, v2
	s_and_saveexec_b64 s[36:37], vcc
	s_cbranch_execz .LBB4_4062
; %bb.4055:                             ;   in Loop: Header=BB4_2956 Depth=3
	v_bfe_u32 v56, v2, 23, 8
	v_cmp_gt_u32_e64 s[28:29], s47, v56
	v_sub_u32_e32 v2, 0x71, v56
	v_cmp_eq_u32_e32 vcc, 0, v56
	v_cndmask_b32_e64 v2, 0, v2, s[28:29]
	v_mov_b32_e32 v4, 0x70
	v_cndmask_b32_e32 v6, v2, v4, vcc
	v_add_u32_e32 v4, 21, v6
	v_mov_b32_e32 v34, v45
	v_mov_b32_e32 v45, v59
	v_or_b32_e32 v3, 0x800000, v60
	v_lshlrev_b64 v[58:59], v4, -1
	v_cndmask_b32_e32 v2, v3, v60, vcc
	v_mov_b32_e32 v3, v61
	v_add_u32_e32 v4, 20, v6
	v_bfi_b32 v58, v58, 0, v2
	v_lshlrev_b64 v[24:25], v4, 1
	v_lshrrev_b64 v[2:3], v6, v[2:3]
	v_bfi_b32 v59, v59, 0, 0
	v_cmp_eq_u64_e64 s[28:29], v[58:59], v[24:25]
	v_mov_b32_e32 v4, v3
	v_mov_b32_e32 v3, v2
	s_and_saveexec_b64 s[38:39], s[28:29]
; %bb.4056:                             ;   in Loop: Header=BB4_2956 Depth=3
	v_bfe_u32 v3, v2, 21, 1
	v_add_co_u32_e64 v3, s[28:29], v2, v3
	v_add_co_u32_e64 v3, s[28:29], -1, v3
; %bb.4057:                             ;   in Loop: Header=BB4_2956 Depth=3
	s_or_b64 exec, exec, s[38:39]
	v_add_u32_e32 v4, 0xffffff81, v56
	v_mov_b32_e32 v7, 0xffffff82
	v_cndmask_b32_e32 v4, v4, v7, vcc
	v_lshrrev_b32_e32 v7, 23, v2
	v_add3_u32 v56, v6, v4, v7
	v_add_u32_e32 v6, 14, v56
	v_and_b32_e32 v3, 0x1fffff, v3
	v_add_u32_e32 v60, v3, v2
	v_cmp_ne_u32_e32 vcc, 0, v6
                                        ; implicit-def: $vgpr2_vgpr3
                                        ; implicit-def: $vgpr4
	s_and_saveexec_b64 s[28:29], vcc
	s_xor_b64 s[28:29], exec, s[28:29]
; %bb.4058:                             ;   in Loop: Header=BB4_2956 Depth=3
	v_cmp_lt_u64_e32 vcc, s[88:89], v[60:61]
	v_add_u32_e32 v2, 15, v56
	v_cndmask_b32_e32 v4, v6, v2, vcc
	v_cndmask_b32_e64 v2, 0, 1, vcc
	v_lshrrev_b64 v[2:3], v2, v[60:61]
; %bb.4059:                             ;   in Loop: Header=BB4_2956 Depth=3
	s_or_saveexec_b64 s[28:29], s[28:29]
	v_mov_b32_e32 v59, v45
	v_mov_b32_e32 v45, v34
	s_xor_b64 exec, exec, s[28:29]
; %bb.4060:                             ;   in Loop: Header=BB4_2956 Depth=3
	v_mov_b32_e32 v2, v60
	v_mov_b32_e32 v3, v61
	v_bfe_u32 v4, v60, 23, 1
; %bb.4061:                             ;   in Loop: Header=BB4_2956 Depth=3
	s_or_b64 exec, exec, s[28:29]
	v_lshrrev_b64 v[2:3], 21, v[2:3]
	v_cmp_gt_i32_e32 vcc, 32, v4
	v_cndmask_b32_e32 v3, 0, v3, vcc
	v_cndmask_b32_e32 v2, 3, v2, vcc
	v_cmp_eq_u64_e64 s[28:29], 0, v[2:3]
	v_min_i32_e32 v3, 31, v4
	v_lshlrev_b32_e32 v3, 2, v3
	v_cmp_eq_u32_e32 vcc, 0, v4
	v_and_b32_e32 v3, 0xfc, v3
	v_and_or_b32 v2, v2, 3, v3
	s_and_b64 s[28:29], vcc, s[28:29]
	v_cndmask_b32_e64 v2, v2, 0, s[28:29]
	v_or_b32_e32 v56, v2, v57
.LBB4_4062:                             ;   in Loop: Header=BB4_2956 Depth=3
	s_or_b64 exec, exec, s[36:37]
                                        ; implicit-def: $vgpr57
.LBB4_4063:                             ;   in Loop: Header=BB4_2956 Depth=3
	s_andn2_saveexec_b64 s[28:29], s[34:35]
; %bb.4064:                             ;   in Loop: Header=BB4_2956 Depth=3
	v_or_b32_e32 v56, 0x7b, v57
; %bb.4065:                             ;   in Loop: Header=BB4_2956 Depth=3
	s_or_b64 exec, exec, s[28:29]
                                        ; implicit-def: $vgpr2
.LBB4_4066:                             ;   in Loop: Header=BB4_2956 Depth=3
	s_andn2_saveexec_b64 s[28:29], s[30:31]
	s_cbranch_execz .LBB4_4072
; %bb.4067:                             ;   in Loop: Header=BB4_2956 Depth=3
	v_cmp_ne_u64_e32 vcc, 0, v[60:61]
                                        ; implicit-def: $vgpr56
	s_and_saveexec_b64 s[30:31], vcc
	s_xor_b64 vcc, exec, s[30:31]
; %bb.4068:                             ;   in Loop: Header=BB4_2956 Depth=3
	v_or_b32_sdwa v56, v2, s44 dst_sel:DWORD dst_unused:UNUSED_PAD src0_sel:BYTE_3 src1_sel:DWORD
                                        ; implicit-def: $vgpr2
; %bb.4069:                             ;   in Loop: Header=BB4_2956 Depth=3
	s_andn2_saveexec_b64 s[30:31], vcc
; %bb.4070:                             ;   in Loop: Header=BB4_2956 Depth=3
	v_cmp_lt_i32_e32 vcc, -1, v2
	v_bfrev_b32_e32 v2, 0.5
	v_mov_b32_e32 v3, 0x7c
	v_cndmask_b32_e32 v56, v2, v3, vcc
; %bb.4071:                             ;   in Loop: Header=BB4_2956 Depth=3
	s_or_b64 exec, exec, s[30:31]
.LBB4_4072:                             ;   in Loop: Header=BB4_2956 Depth=3
	s_or_b64 exec, exec, s[28:29]
	v_cmp_lt_u64_e32 vcc, s[56:57], v[14:15]
	v_mov_b32_e32 v3, 0
	v_mov_b32_e32 v4, 0
	s_and_saveexec_b64 s[28:29], vcc
	s_cbranch_execz .LBB4_4080
; %bb.4073:                             ;   in Loop: Header=BB4_2956 Depth=3
	v_lshrrev_b32_e32 v2, 24, v15
	v_cmp_ne_u32_e32 vcc, s81, v2
	v_bfrev_b32_e32 v4, 1
	s_and_saveexec_b64 s[30:31], vcc
	s_cbranch_execz .LBB4_4079
; %bb.4074:                             ;   in Loop: Header=BB4_2956 Depth=3
	v_and_b32_e32 v4, 0x7c000000, v15
	v_bfe_u32 v6, v15, 24, 2
	v_cmp_ne_u32_e32 vcc, s82, v4
                                        ; implicit-def: $vgpr4
	s_and_saveexec_b64 s[34:35], vcc
	s_xor_b64 s[34:35], exec, s[34:35]
	s_cbranch_execz .LBB4_4076
; %bb.4075:                             ;   in Loop: Header=BB4_2956 Depth=3
	v_ffbh_u32_e32 v7, v6
	v_min_u32_e32 v7, 32, v7
	v_subrev_u32_e32 v14, 29, v7
	v_lshlrev_b64 v[24:25], v14, v[2:3]
	v_bfe_u32 v4, v15, 26, 5
	v_sub_u32_e32 v2, 30, v7
	v_and_b32_e32 v7, 3, v24
	v_cmp_eq_u32_e32 vcc, 0, v4
	v_cndmask_b32_e32 v2, v4, v2, vcc
	v_cndmask_b32_e32 v4, v6, v7, vcc
	v_and_b32_e32 v6, 0x80000000, v15
	v_lshl_add_u32 v2, v2, 23, v6
	v_lshl_or_b32 v2, v4, 21, v2
	v_add_u32_e32 v4, 0x38000000, v2
                                        ; implicit-def: $vgpr6
                                        ; implicit-def: $vgpr14_vgpr15
.LBB4_4076:                             ;   in Loop: Header=BB4_2956 Depth=3
	s_andn2_saveexec_b64 s[34:35], s[34:35]
; %bb.4077:                             ;   in Loop: Header=BB4_2956 Depth=3
	v_cmp_lt_i64_e32 vcc, -1, v[14:15]
	v_mov_b32_e32 v2, 0xff800000
	v_cndmask_b32_e32 v2, v2, v47, vcc
	v_cmp_eq_u32_e32 vcc, 0, v6
	v_mov_b32_e32 v4, 0x7f800001
	v_cndmask_b32_e32 v4, v4, v2, vcc
; %bb.4078:                             ;   in Loop: Header=BB4_2956 Depth=3
	s_or_b64 exec, exec, s[34:35]
.LBB4_4079:                             ;   in Loop: Header=BB4_2956 Depth=3
	s_or_b64 exec, exec, s[30:31]
.LBB4_4080:                             ;   in Loop: Header=BB4_2956 Depth=3
	s_or_b64 exec, exec, s[28:29]
	v_cmp_lt_u64_e32 vcc, s[56:57], v[10:11]
	s_and_saveexec_b64 s[28:29], vcc
	s_cbranch_execz .LBB4_4088
; %bb.4081:                             ;   in Loop: Header=BB4_2956 Depth=3
	v_lshrrev_b32_e32 v2, 24, v11
	v_cmp_ne_u32_e32 vcc, s81, v2
	v_bfrev_b32_e32 v3, 1
	s_and_saveexec_b64 s[30:31], vcc
	s_cbranch_execz .LBB4_4087
; %bb.4082:                             ;   in Loop: Header=BB4_2956 Depth=3
	v_and_b32_e32 v3, 0x7c000000, v11
	v_bfe_u32 v6, v11, 24, 2
	v_cmp_ne_u32_e32 vcc, s82, v3
                                        ; implicit-def: $vgpr3
	s_and_saveexec_b64 s[34:35], vcc
	s_xor_b64 s[34:35], exec, s[34:35]
	s_cbranch_execz .LBB4_4084
; %bb.4083:                             ;   in Loop: Header=BB4_2956 Depth=3
	v_ffbh_u32_e32 v3, v6
	v_min_u32_e32 v10, 32, v3
	v_subrev_u32_e32 v3, 29, v10
	v_lshlrev_b64 v[2:3], v3, v[2:3]
	v_bfe_u32 v7, v11, 26, 5
	v_sub_u32_e32 v3, 30, v10
	v_and_b32_e32 v2, 3, v2
	v_cmp_eq_u32_e32 vcc, 0, v7
	v_cndmask_b32_e32 v3, v7, v3, vcc
	v_cndmask_b32_e32 v2, v6, v2, vcc
	v_and_b32_e32 v6, 0x80000000, v11
	v_lshl_add_u32 v3, v3, 23, v6
	v_lshl_or_b32 v2, v2, 21, v3
	v_add_u32_e32 v3, 0x38000000, v2
                                        ; implicit-def: $vgpr6
                                        ; implicit-def: $vgpr10_vgpr11
.LBB4_4084:                             ;   in Loop: Header=BB4_2956 Depth=3
	s_andn2_saveexec_b64 s[34:35], s[34:35]
; %bb.4085:                             ;   in Loop: Header=BB4_2956 Depth=3
	v_cmp_lt_i64_e32 vcc, -1, v[10:11]
	v_mov_b32_e32 v2, 0xff800000
	v_cndmask_b32_e32 v2, v2, v47, vcc
	v_cmp_eq_u32_e32 vcc, 0, v6
	v_mov_b32_e32 v3, 0x7f800001
	v_cndmask_b32_e32 v3, v3, v2, vcc
; %bb.4086:                             ;   in Loop: Header=BB4_2956 Depth=3
	s_or_b64 exec, exec, s[34:35]
.LBB4_4087:                             ;   in Loop: Header=BB4_2956 Depth=3
	s_or_b64 exec, exec, s[30:31]
.LBB4_4088:                             ;   in Loop: Header=BB4_2956 Depth=3
	s_or_b64 exec, exec, s[28:29]
	v_mul_f32_e32 v3, v4, v3
	v_and_b32_e32 v6, 0x7f800000, v3
	v_mov_b32_e32 v7, v61
	v_cmp_ne_u64_e32 vcc, s[62:63], v[6:7]
	v_and_b32_e32 v60, 0x7fffff, v3
                                        ; implicit-def: $vgpr2
	s_and_saveexec_b64 s[28:29], vcc
	s_xor_b64 s[30:31], exec, s[28:29]
	s_cbranch_execz .LBB4_4102
; %bb.4089:                             ;   in Loop: Header=BB4_2956 Depth=3
	v_and_b32_e32 v6, 0x7fffffff, v3
	v_mov_b32_e32 v7, v61
	v_cmp_gt_u64_e32 vcc, s[78:79], v[6:7]
	v_and_b32_sdwa v10, v3, s81 dst_sel:DWORD dst_unused:UNUSED_PAD src0_sel:BYTE_3 src1_sel:DWORD
                                        ; implicit-def: $vgpr2
	s_and_saveexec_b64 s[28:29], vcc
	s_xor_b64 s[34:35], exec, s[28:29]
	s_cbranch_execz .LBB4_4099
; %bb.4090:                             ;   in Loop: Header=BB4_2956 Depth=3
	v_mov_b32_e32 v2, 0
	v_cmp_ne_u32_e32 vcc, 0, v3
	s_and_saveexec_b64 s[36:37], vcc
	s_cbranch_execz .LBB4_4098
; %bb.4091:                             ;   in Loop: Header=BB4_2956 Depth=3
	v_bfe_u32 v11, v3, 23, 8
	v_cmp_gt_u32_e64 s[28:29], s47, v11
	v_sub_u32_e32 v2, 0x71, v11
	v_cmp_eq_u32_e32 vcc, 0, v11
	v_cndmask_b32_e64 v2, 0, v2, s[28:29]
	v_mov_b32_e32 v4, 0x70
	v_cndmask_b32_e32 v6, v2, v4, vcc
	v_add_u32_e32 v4, 21, v6
	v_or_b32_e32 v3, 0x800000, v60
	v_lshlrev_b64 v[14:15], v4, -1
	v_cndmask_b32_e32 v2, v3, v60, vcc
	v_mov_b32_e32 v3, v61
	v_add_u32_e32 v4, 20, v6
	v_bfi_b32 v14, v14, 0, v2
	v_lshlrev_b64 v[24:25], v4, 1
	v_lshrrev_b64 v[2:3], v6, v[2:3]
	v_bfi_b32 v15, v15, 0, 0
	v_cmp_eq_u64_e64 s[28:29], v[14:15], v[24:25]
	v_mov_b32_e32 v4, v3
	v_mov_b32_e32 v3, v2
	s_and_saveexec_b64 s[38:39], s[28:29]
; %bb.4092:                             ;   in Loop: Header=BB4_2956 Depth=3
	v_bfe_u32 v3, v2, 21, 1
	v_add_co_u32_e64 v3, s[28:29], v2, v3
	v_add_co_u32_e64 v3, s[28:29], -1, v3
; %bb.4093:                             ;   in Loop: Header=BB4_2956 Depth=3
	s_or_b64 exec, exec, s[38:39]
	v_add_u32_e32 v4, 0xffffff81, v11
	v_mov_b32_e32 v7, 0xffffff82
	v_cndmask_b32_e32 v4, v4, v7, vcc
	v_lshrrev_b32_e32 v7, 23, v2
	v_add3_u32 v11, v6, v4, v7
	v_add_u32_e32 v6, 14, v11
	v_and_b32_e32 v3, 0x1fffff, v3
	v_add_u32_e32 v60, v3, v2
	v_cmp_ne_u32_e32 vcc, 0, v6
                                        ; implicit-def: $vgpr2_vgpr3
                                        ; implicit-def: $vgpr4
	s_and_saveexec_b64 s[28:29], vcc
	s_xor_b64 s[28:29], exec, s[28:29]
; %bb.4094:                             ;   in Loop: Header=BB4_2956 Depth=3
	v_cmp_lt_u64_e32 vcc, s[88:89], v[60:61]
	v_add_u32_e32 v2, 15, v11
	v_cndmask_b32_e32 v4, v6, v2, vcc
	v_cndmask_b32_e64 v2, 0, 1, vcc
	v_lshrrev_b64 v[2:3], v2, v[60:61]
; %bb.4095:                             ;   in Loop: Header=BB4_2956 Depth=3
	s_andn2_saveexec_b64 s[28:29], s[28:29]
; %bb.4096:                             ;   in Loop: Header=BB4_2956 Depth=3
	v_mov_b32_e32 v2, v60
	v_mov_b32_e32 v3, v61
	v_bfe_u32 v4, v60, 23, 1
; %bb.4097:                             ;   in Loop: Header=BB4_2956 Depth=3
	s_or_b64 exec, exec, s[28:29]
	v_lshrrev_b64 v[2:3], 21, v[2:3]
	v_cmp_gt_i32_e32 vcc, 32, v4
	v_cndmask_b32_e32 v3, 0, v3, vcc
	v_cndmask_b32_e32 v2, 3, v2, vcc
	v_cmp_eq_u64_e64 s[28:29], 0, v[2:3]
	v_min_i32_e32 v3, 31, v4
	v_lshlrev_b32_e32 v3, 2, v3
	v_cmp_eq_u32_e32 vcc, 0, v4
	v_and_b32_e32 v3, 0xfc, v3
	v_and_or_b32 v2, v2, 3, v3
	s_and_b64 s[28:29], vcc, s[28:29]
	v_cndmask_b32_e64 v2, v2, 0, s[28:29]
	v_or_b32_e32 v2, v2, v10
.LBB4_4098:                             ;   in Loop: Header=BB4_2956 Depth=3
	s_or_b64 exec, exec, s[36:37]
                                        ; implicit-def: $vgpr10
.LBB4_4099:                             ;   in Loop: Header=BB4_2956 Depth=3
	s_andn2_saveexec_b64 s[28:29], s[34:35]
; %bb.4100:                             ;   in Loop: Header=BB4_2956 Depth=3
	v_or_b32_e32 v2, 0x7b, v10
; %bb.4101:                             ;   in Loop: Header=BB4_2956 Depth=3
	s_or_b64 exec, exec, s[28:29]
                                        ; implicit-def: $vgpr3
.LBB4_4102:                             ;   in Loop: Header=BB4_2956 Depth=3
	s_andn2_saveexec_b64 s[28:29], s[30:31]
	s_cbranch_execz .LBB4_2955
; %bb.4103:                             ;   in Loop: Header=BB4_2956 Depth=3
	v_cmp_ne_u64_e32 vcc, 0, v[60:61]
                                        ; implicit-def: $vgpr2
	s_and_saveexec_b64 s[30:31], vcc
	s_xor_b64 vcc, exec, s[30:31]
; %bb.4104:                             ;   in Loop: Header=BB4_2956 Depth=3
	v_or_b32_sdwa v2, v3, s44 dst_sel:DWORD dst_unused:UNUSED_PAD src0_sel:BYTE_3 src1_sel:DWORD
                                        ; implicit-def: $vgpr3
; %bb.4105:                             ;   in Loop: Header=BB4_2956 Depth=3
	s_andn2_saveexec_b64 s[30:31], vcc
	s_cbranch_execz .LBB4_2954
; %bb.4106:                             ;   in Loop: Header=BB4_2956 Depth=3
	v_cmp_lt_i32_e32 vcc, -1, v3
	v_bfrev_b32_e32 v2, 0.5
	v_mov_b32_e32 v3, 0x7c
	v_cndmask_b32_e32 v2, v2, v3, vcc
	s_branch .LBB4_2954
.LBB4_4107:                             ;   in Loop: Header=BB4_2871 Depth=2
	s_or_b64 exec, exec, s[42:43]
	buffer_load_dword v13, off, s[0:3], s33 offset:276 ; 4-byte Folded Reload
	buffer_load_dword v14, off, s[0:3], s33 offset:280 ; 4-byte Folded Reload
	;; [unrolled: 1-line block ×3, first 2 shown]
.LBB4_4108:                             ;   in Loop: Header=BB4_2871 Depth=2
	s_or_b64 exec, exec, s[40:41]
	buffer_load_dword v0, off, s[0:3], s33 offset:152 ; 4-byte Folded Reload
	s_waitcnt vmcnt(1)
	v_lshlrev_b32_e32 v4, 11, v1
	s_mov_b64 s[28:29], 0
	v_mov_b32_e32 v8, 0
                                        ; implicit-def: $vgpr41
                                        ; implicit-def: $vgpr3
	s_waitcnt vmcnt(0)
	v_cmp_ne_u32_e32 vcc, v0, v4
                                        ; implicit-def: $vgpr0
	s_and_saveexec_b64 s[30:31], vcc
	s_cbranch_execz .LBB4_4662
; %bb.4109:                             ;   in Loop: Header=BB4_2871 Depth=2
	buffer_load_dword v0, off, s[0:3], s33 offset:152 ; 4-byte Folded Reload
	buffer_load_dword v2, off, s[0:3], s33 offset:228 ; 4-byte Folded Reload
	s_waitcnt vmcnt(1)
	v_sub_u32_e32 v1, v0, v4
	v_lshlrev_b32_e32 v0, 6, v5
	s_waitcnt vmcnt(0)
	v_sub_u32_e32 v0, v2, v0
	v_ashrrev_i32_e32 v2, 31, v0
	v_lshrrev_b32_e32 v2, 26, v2
	v_add_u32_e32 v2, v0, v2
	v_ashrrev_i32_e32 v3, 6, v2
	v_and_b32_e32 v2, 0xffffffc0, v2
	v_sub_u32_e32 v5, v0, v2
	v_ashrrev_i32_e32 v2, 31, v1
	v_lshrrev_b32_e32 v2, 22, v2
	v_add_u32_e32 v2, v1, v2
	v_and_b32_e32 v6, 0xfffffc00, v2
	v_lshlrev_b32_e32 v0, 4, v5
	v_sub_u32_e32 v20, v1, v6
	v_lshl_add_u32 v0, v3, 10, v0
	v_ashrrev_i32_e32 v7, 10, v2
	v_cmp_lt_i32_e64 s[28:29], 15, v20
	v_sub_u32_e32 v21, v1, v0
	v_addc_co_u32_e64 v1, vcc, 0, v7, s[28:29]
	v_sub_u32_e32 v7, v1, v3
	v_cmp_lt_i32_e32 vcc, 15, v21
	s_and_saveexec_b64 s[34:35], vcc
	s_cbranch_execz .LBB4_4659
; %bb.4110:                             ;   in Loop: Header=BB4_2871 Depth=2
	v_add_u32_e32 v2, v0, v4
	buffer_load_dword v0, off, s[0:3], s33 offset:116 ; 4-byte Folded Reload
	buffer_load_dword v1, off, s[0:3], s33 offset:120 ; 4-byte Folded Reload
	v_ashrrev_i32_e32 v3, 31, v2
	s_trap 2
	v_mov_b32_e32 v55, v14
	v_mov_b32_e32 v54, v13
	s_mov_b64 s[36:37], 0
	s_waitcnt vmcnt(1)
	v_add_co_u32_e32 v22, vcc, v2, v0
	s_waitcnt vmcnt(0)
	v_addc_co_u32_e32 v23, vcc, v3, v1, vcc
	ds_read_b64 v[0:1], v0
	buffer_load_dword v8, off, s[0:3], s33 offset:184 ; 4-byte Folded Reload
	buffer_load_dword v9, off, s[0:3], s33 offset:188 ; 4-byte Folded Reload
	v_add_co_u32_e32 v24, vcc, v2, v13
	v_addc_co_u32_e32 v25, vcc, v3, v14, vcc
	s_waitcnt vmcnt(1)
	v_add_co_u32_e32 v16, vcc, v2, v8
	s_waitcnt vmcnt(0)
	v_addc_co_u32_e32 v17, vcc, v3, v9, vcc
	s_waitcnt lgkmcnt(0)
	v_add_co_u32_e32 v18, vcc, v0, v2
	v_addc_co_u32_e32 v19, vcc, v1, v3, vcc
.LBB4_4111:                             ;   Parent Loop BB4_47 Depth=1
                                        ;     Parent Loop BB4_2871 Depth=2
                                        ; =>    This Loop Header: Depth=3
                                        ;         Child Loop BB4_4636 Depth 4
	global_load_dwordx4 v[12:15], v[16:17], off glc slc
	global_load_dwordx4 v[8:11], v[18:19], off glc slc
	v_mov_b32_e32 v0, 0
	s_waitcnt vmcnt(1)
	v_cmp_ne_u16_sdwa s[42:43], v12, v61 src0_sel:BYTE_0 src1_sel:DWORD
	s_and_saveexec_b64 s[40:41], s[42:43]
	s_cbranch_execz .LBB4_4119
; %bb.4112:                             ;   in Loop: Header=BB4_4111 Depth=3
	v_cmp_ne_u16_sdwa vcc, sext(v12), s70 src0_sel:BYTE_0 src1_sel:DWORD
	v_bfrev_b32_e32 v0, 1
	s_and_saveexec_b64 s[42:43], vcc
	s_cbranch_execz .LBB4_4118
; %bb.4113:                             ;   in Loop: Header=BB4_4111 Depth=3
	v_and_b32_e32 v0, 0x7c, v12
	v_and_b32_e32 v1, 3, v12
	v_cmp_ne_u32_e32 vcc, s71, v0
                                        ; implicit-def: $vgpr0
	s_and_saveexec_b64 s[38:39], vcc
	s_xor_b64 s[38:39], exec, s[38:39]
	s_cbranch_execz .LBB4_4115
; %bb.4114:                             ;   in Loop: Header=BB4_4111 Depth=3
	v_ffbh_u32_e32 v2, v1
	v_min_u32_e32 v26, 32, v2
	v_subrev_u32_e32 v2, 29, v26
	v_lshlrev_b64 v[2:3], v2, v[12:13]
	v_bfe_u32 v0, v12, 2, 5
	v_and_b32_e32 v2, 3, v2
	v_cmp_eq_u32_e32 vcc, 0, v0
	v_sub_u32_e32 v3, 30, v26
	v_cndmask_b32_e32 v1, v1, v2, vcc
	v_lshlrev_b32_e32 v2, 24, v12
	v_cndmask_b32_e32 v0, v0, v3, vcc
	v_and_b32_e32 v2, 0x80000000, v2
	v_lshl_add_u32 v0, v0, 23, v2
	v_lshl_or_b32 v0, v1, 21, v0
	v_add_u32_e32 v0, 0x38000000, v0
                                        ; implicit-def: $vgpr1
.LBB4_4115:                             ;   in Loop: Header=BB4_4111 Depth=3
	s_andn2_saveexec_b64 s[38:39], s[38:39]
; %bb.4116:                             ;   in Loop: Header=BB4_4111 Depth=3
	v_mov_b32_e32 v0, -1
	v_cmp_gt_i16_sdwa vcc, sext(v12), v0 src0_sel:BYTE_0 src1_sel:DWORD
	v_mov_b32_e32 v0, 0xff800000
	v_cndmask_b32_e32 v0, v0, v47, vcc
	v_cmp_eq_u32_e32 vcc, 0, v1
	v_mov_b32_e32 v1, 0x7f800001
	v_cndmask_b32_e32 v0, v1, v0, vcc
; %bb.4117:                             ;   in Loop: Header=BB4_4111 Depth=3
	s_or_b64 exec, exec, s[38:39]
.LBB4_4118:                             ;   in Loop: Header=BB4_4111 Depth=3
	s_or_b64 exec, exec, s[42:43]
.LBB4_4119:                             ;   in Loop: Header=BB4_4111 Depth=3
	s_or_b64 exec, exec, s[40:41]
	s_waitcnt vmcnt(0)
	v_cmp_gt_i16_sdwa s[42:43], v8, s44 src0_sel:BYTE_0 src1_sel:DWORD
	s_mov_b64 s[40:41], 0
	s_and_saveexec_b64 vcc, s[42:43]
	s_xor_b64 s[42:43], exec, vcc
	s_cbranch_execz .LBB4_4638
; %bb.4120:                             ;   in Loop: Header=BB4_4111 Depth=3
	v_cmp_eq_u16_sdwa s[38:39], v8, s81 src0_sel:BYTE_0 src1_sel:DWORD
	s_mov_b64 s[40:41], -1
	s_and_saveexec_b64 vcc, s[38:39]
; %bb.4121:                             ;   in Loop: Header=BB4_4111 Depth=3
	s_xor_b64 s[40:41], exec, -1
; %bb.4122:                             ;   in Loop: Header=BB4_4111 Depth=3
	s_or_b64 exec, exec, vcc
	s_and_b64 s[40:41], s[40:41], exec
	s_or_saveexec_b64 s[42:43], s[42:43]
	v_bfrev_b32_e32 v1, 1
	s_xor_b64 exec, exec, s[42:43]
	s_cbranch_execnz .LBB4_4639
.LBB4_4123:                             ;   in Loop: Header=BB4_4111 Depth=3
	s_or_b64 exec, exec, s[42:43]
	s_and_saveexec_b64 s[38:39], s[40:41]
	s_cbranch_execz .LBB4_4125
.LBB4_4124:                             ;   in Loop: Header=BB4_4111 Depth=3
	v_and_b32_e32 v3, 3, v8
	v_and_b32_e32 v1, 0x7c, v8
	v_cmp_eq_u32_e32 vcc, s71, v1
	v_ffbh_u32_e32 v1, v3
	v_min_u32_e32 v27, 32, v1
	v_subrev_u32_e32 v1, 29, v27
	v_bfe_u32 v26, v8, 2, 5
	v_lshlrev_b64 v[1:2], v1, v[8:9]
	v_cmp_eq_u32_e64 s[40:41], 0, v26
	v_sub_u32_e32 v2, 30, v27
	v_cndmask_b32_e64 v2, v26, v2, s[40:41]
	v_lshlrev_b32_e32 v26, 24, v8
	v_and_b32_e32 v1, 3, v1
	v_and_b32_e32 v26, 0x80000000, v26
	v_cndmask_b32_e64 v1, v3, v1, s[40:41]
	v_lshl_add_u32 v2, v2, 23, v26
	v_lshl_or_b32 v1, v1, 21, v2
	v_mov_b32_e32 v2, -1
	v_cmp_gt_i16_sdwa s[42:43], sext(v8), v2 src0_sel:BYTE_0 src1_sel:DWORD
	v_mov_b32_e32 v2, 0xff800000
	v_cmp_eq_u32_e64 s[40:41], 0, v3
	v_cndmask_b32_e64 v2, v2, v47, s[42:43]
	v_mov_b32_e32 v3, 0x7f800001
	v_add_u32_e32 v1, 0x38000000, v1
	v_cndmask_b32_e64 v2, v3, v2, s[40:41]
	v_cndmask_b32_e32 v1, v1, v2, vcc
.LBB4_4125:                             ;   in Loop: Header=BB4_4111 Depth=3
	s_or_b64 exec, exec, s[38:39]
	v_mul_f32_e32 v0, v0, v1
	v_and_b32_e32 v1, 0x7f800000, v0
	v_mov_b32_e32 v2, v61
	v_cmp_ne_u64_e32 vcc, s[62:63], v[1:2]
	v_and_b32_e32 v60, 0x7fffff, v0
                                        ; implicit-def: $vgpr26
	s_and_saveexec_b64 s[40:41], vcc
	s_xor_b64 s[42:43], exec, s[40:41]
	s_cbranch_execz .LBB4_4139
; %bb.4126:                             ;   in Loop: Header=BB4_4111 Depth=3
	v_and_b32_e32 v1, 0x7fffffff, v0
	v_mov_b32_e32 v2, v61
	v_cmp_gt_u64_e32 vcc, s[78:79], v[1:2]
	v_and_b32_sdwa v3, v0, s81 dst_sel:DWORD dst_unused:UNUSED_PAD src0_sel:BYTE_3 src1_sel:DWORD
                                        ; implicit-def: $vgpr26
	s_and_saveexec_b64 s[40:41], vcc
	s_xor_b64 s[38:39], exec, s[40:41]
	s_cbranch_execz .LBB4_4136
; %bb.4127:                             ;   in Loop: Header=BB4_4111 Depth=3
	v_mov_b32_e32 v26, 0
	v_cmp_ne_u32_e32 vcc, 0, v0
	s_and_saveexec_b64 s[48:49], vcc
	s_cbranch_execz .LBB4_4135
; %bb.4128:                             ;   in Loop: Header=BB4_4111 Depth=3
	v_bfe_u32 v26, v0, 23, 8
	v_cmp_gt_u32_e64 s[40:41], s47, v26
	v_sub_u32_e32 v0, 0x71, v26
	v_cmp_eq_u32_e32 vcc, 0, v26
	v_cndmask_b32_e64 v0, 0, v0, s[40:41]
	v_mov_b32_e32 v2, 0x70
	v_cndmask_b32_e32 v27, v0, v2, vcc
	v_add_u32_e32 v2, 21, v27
	v_or_b32_e32 v1, 0x800000, v60
	v_lshlrev_b64 v[28:29], v2, -1
	v_cndmask_b32_e32 v0, v1, v60, vcc
	v_mov_b32_e32 v1, v61
	v_add_u32_e32 v2, 20, v27
	v_bfi_b32 v28, v28, 0, v0
	v_lshlrev_b64 v[30:31], v2, 1
	v_lshrrev_b64 v[0:1], v27, v[0:1]
	v_bfi_b32 v29, v29, 0, 0
	v_cmp_eq_u64_e64 s[40:41], v[28:29], v[30:31]
	v_mov_b32_e32 v2, v1
	v_mov_b32_e32 v1, v0
	s_and_saveexec_b64 s[50:51], s[40:41]
; %bb.4129:                             ;   in Loop: Header=BB4_4111 Depth=3
	v_bfe_u32 v1, v0, 21, 1
	v_add_co_u32_e64 v1, s[40:41], v0, v1
	v_add_co_u32_e64 v1, s[40:41], -1, v1
; %bb.4130:                             ;   in Loop: Header=BB4_4111 Depth=3
	s_or_b64 exec, exec, s[50:51]
	v_add_u32_e32 v2, 0xffffff81, v26
	v_mov_b32_e32 v26, 0xffffff82
	v_cndmask_b32_e32 v2, v2, v26, vcc
	v_lshrrev_b32_e32 v26, 23, v0
	v_add3_u32 v27, v27, v2, v26
	v_add_u32_e32 v26, 14, v27
	v_and_b32_e32 v1, 0x1fffff, v1
	v_add_u32_e32 v60, v1, v0
	v_cmp_ne_u32_e32 vcc, 0, v26
                                        ; implicit-def: $vgpr0_vgpr1
                                        ; implicit-def: $vgpr2
	s_and_saveexec_b64 s[40:41], vcc
	s_xor_b64 s[40:41], exec, s[40:41]
; %bb.4131:                             ;   in Loop: Header=BB4_4111 Depth=3
	v_cmp_lt_u64_e32 vcc, s[88:89], v[60:61]
	v_add_u32_e32 v0, 15, v27
	v_cndmask_b32_e32 v2, v26, v0, vcc
	v_cndmask_b32_e64 v0, 0, 1, vcc
	v_lshrrev_b64 v[0:1], v0, v[60:61]
; %bb.4132:                             ;   in Loop: Header=BB4_4111 Depth=3
	s_andn2_saveexec_b64 s[40:41], s[40:41]
; %bb.4133:                             ;   in Loop: Header=BB4_4111 Depth=3
	v_mov_b32_e32 v0, v60
	v_mov_b32_e32 v1, v61
	v_bfe_u32 v2, v60, 23, 1
; %bb.4134:                             ;   in Loop: Header=BB4_4111 Depth=3
	s_or_b64 exec, exec, s[40:41]
	v_lshrrev_b64 v[0:1], 21, v[0:1]
	v_cmp_gt_i32_e32 vcc, 32, v2
	v_cndmask_b32_e32 v1, 0, v1, vcc
	v_cndmask_b32_e32 v0, 3, v0, vcc
	v_cmp_eq_u64_e64 s[40:41], 0, v[0:1]
	v_min_i32_e32 v1, 31, v2
	v_lshlrev_b32_e32 v1, 2, v1
	v_cmp_eq_u32_e32 vcc, 0, v2
	v_and_b32_e32 v1, 0xfc, v1
	v_and_or_b32 v0, v0, 3, v1
	s_and_b64 s[40:41], vcc, s[40:41]
	v_cndmask_b32_e64 v0, v0, 0, s[40:41]
	v_or_b32_e32 v26, v0, v3
.LBB4_4135:                             ;   in Loop: Header=BB4_4111 Depth=3
	s_or_b64 exec, exec, s[48:49]
                                        ; implicit-def: $vgpr3
.LBB4_4136:                             ;   in Loop: Header=BB4_4111 Depth=3
	s_andn2_saveexec_b64 s[40:41], s[38:39]
; %bb.4137:                             ;   in Loop: Header=BB4_4111 Depth=3
	v_or_b32_e32 v26, 0x7b, v3
; %bb.4138:                             ;   in Loop: Header=BB4_4111 Depth=3
	s_or_b64 exec, exec, s[40:41]
                                        ; implicit-def: $vgpr0
.LBB4_4139:                             ;   in Loop: Header=BB4_4111 Depth=3
	s_andn2_saveexec_b64 s[40:41], s[42:43]
	s_cbranch_execz .LBB4_4145
; %bb.4140:                             ;   in Loop: Header=BB4_4111 Depth=3
	v_cmp_ne_u64_e32 vcc, 0, v[60:61]
                                        ; implicit-def: $vgpr26
	s_and_saveexec_b64 s[42:43], vcc
	s_xor_b64 s[42:43], exec, s[42:43]
; %bb.4141:                             ;   in Loop: Header=BB4_4111 Depth=3
	v_or_b32_sdwa v26, v0, s44 dst_sel:DWORD dst_unused:UNUSED_PAD src0_sel:BYTE_3 src1_sel:DWORD
                                        ; implicit-def: $vgpr0
; %bb.4142:                             ;   in Loop: Header=BB4_4111 Depth=3
	s_andn2_saveexec_b64 s[42:43], s[42:43]
; %bb.4143:                             ;   in Loop: Header=BB4_4111 Depth=3
	v_cmp_lt_i32_e32 vcc, -1, v0
	v_bfrev_b32_e32 v0, 0.5
	v_mov_b32_e32 v1, 0x7c
	v_cndmask_b32_e32 v26, v0, v1, vcc
; %bb.4144:                             ;   in Loop: Header=BB4_4111 Depth=3
	s_or_b64 exec, exec, s[42:43]
.LBB4_4145:                             ;   in Loop: Header=BB4_4111 Depth=3
	s_or_b64 exec, exec, s[40:41]
	v_lshrrev_b16_e32 v0, 8, v12
	v_cmp_ne_u16_e32 vcc, 0, v0
	v_mov_b32_e32 v2, 0
	s_and_saveexec_b64 s[40:41], vcc
	s_cbranch_execz .LBB4_4153
; %bb.4146:                             ;   in Loop: Header=BB4_4111 Depth=3
	v_cmp_ne_u16_e32 vcc, s81, v0
	v_bfrev_b32_e32 v2, 1
	s_and_saveexec_b64 s[42:43], vcc
	s_cbranch_execz .LBB4_4152
; %bb.4147:                             ;   in Loop: Header=BB4_4111 Depth=3
	v_and_b32_e32 v1, 0x7c, v0
	v_and_b32_e32 v3, 3, v0
	v_cmp_ne_u32_e32 vcc, s71, v1
                                        ; implicit-def: $vgpr2
	s_and_saveexec_b64 s[38:39], vcc
	s_xor_b64 s[38:39], exec, s[38:39]
	s_cbranch_execz .LBB4_4149
; %bb.4148:                             ;   in Loop: Header=BB4_4111 Depth=3
	v_ffbh_u32_e32 v27, v3
	v_min_u32_e32 v27, 32, v27
	v_mov_b32_e32 v1, v61
	v_subrev_u32_e32 v28, 29, v27
	v_bfe_u32 v2, v0, 2, 5
	v_lshlrev_b64 v[0:1], v28, v[0:1]
	v_sub_u32_e32 v1, 30, v27
	v_cmp_eq_u32_e32 vcc, 0, v2
	v_cndmask_b32_e32 v1, v2, v1, vcc
	v_lshlrev_b32_e32 v2, 16, v12
	v_and_b32_e32 v0, 3, v0
	v_and_b32_e32 v2, 0x80000000, v2
	v_cndmask_b32_e32 v0, v3, v0, vcc
	v_lshl_add_u32 v1, v1, 23, v2
	v_lshl_or_b32 v0, v0, 21, v1
	v_add_u32_e32 v2, 0x38000000, v0
                                        ; implicit-def: $vgpr3
.LBB4_4149:                             ;   in Loop: Header=BB4_4111 Depth=3
	s_andn2_saveexec_b64 s[38:39], s[38:39]
; %bb.4150:                             ;   in Loop: Header=BB4_4111 Depth=3
	v_cmp_lt_i16_e32 vcc, -1, v12
	v_mov_b32_e32 v0, 0xff800000
	v_cndmask_b32_e32 v0, v0, v47, vcc
	v_cmp_eq_u32_e32 vcc, 0, v3
	v_mov_b32_e32 v1, 0x7f800001
	v_cndmask_b32_e32 v2, v1, v0, vcc
; %bb.4151:                             ;   in Loop: Header=BB4_4111 Depth=3
	s_or_b64 exec, exec, s[38:39]
.LBB4_4152:                             ;   in Loop: Header=BB4_4111 Depth=3
	s_or_b64 exec, exec, s[42:43]
.LBB4_4153:                             ;   in Loop: Header=BB4_4111 Depth=3
	s_or_b64 exec, exec, s[40:41]
	v_lshrrev_b16_e32 v0, 8, v8
	v_cmp_lt_i16_e32 vcc, s44, v0
	s_mov_b64 s[40:41], 0
	s_and_saveexec_b64 s[42:43], vcc
	s_xor_b64 s[42:43], exec, s[42:43]
	s_cbranch_execz .LBB4_4640
; %bb.4154:                             ;   in Loop: Header=BB4_4111 Depth=3
	v_cmp_eq_u16_e32 vcc, s81, v0
	s_mov_b64 s[40:41], -1
	s_and_saveexec_b64 s[38:39], vcc
; %bb.4155:                             ;   in Loop: Header=BB4_4111 Depth=3
	s_xor_b64 s[40:41], exec, -1
; %bb.4156:                             ;   in Loop: Header=BB4_4111 Depth=3
	s_or_b64 exec, exec, s[38:39]
	s_and_b64 s[40:41], s[40:41], exec
	s_or_saveexec_b64 s[42:43], s[42:43]
	v_bfrev_b32_e32 v1, 1
	s_xor_b64 exec, exec, s[42:43]
	s_cbranch_execnz .LBB4_4641
.LBB4_4157:                             ;   in Loop: Header=BB4_4111 Depth=3
	s_or_b64 exec, exec, s[42:43]
	s_and_saveexec_b64 s[38:39], s[40:41]
	s_cbranch_execz .LBB4_4159
.LBB4_4158:                             ;   in Loop: Header=BB4_4111 Depth=3
	v_and_b32_e32 v3, 3, v0
	v_and_b32_e32 v27, 0x7c, v0
	v_cmp_eq_u32_e32 vcc, s71, v27
	v_ffbh_u32_e32 v27, v3
	v_min_u32_e32 v30, 32, v27
	v_mov_b32_e32 v1, v61
	v_subrev_u32_e32 v27, 29, v30
	v_bfe_u32 v29, v0, 2, 5
	v_lshlrev_b64 v[27:28], v27, v[0:1]
	v_cmp_eq_u32_e64 s[40:41], 0, v29
	v_sub_u32_e32 v1, 30, v30
	v_lshlrev_b32_e32 v0, 24, v0
	v_and_b32_e32 v27, 3, v27
	v_cndmask_b32_e64 v1, v29, v1, s[40:41]
	v_and_b32_e32 v0, 0x80000000, v0
	v_cndmask_b32_e64 v27, v3, v27, s[40:41]
	v_lshl_add_u32 v0, v1, 23, v0
	v_cmp_lt_i16_e64 s[42:43], -1, v8
	v_mov_b32_e32 v1, 0xff800000
	v_lshl_or_b32 v0, v27, 21, v0
	v_cmp_eq_u32_e64 s[40:41], 0, v3
	v_cndmask_b32_e64 v1, v1, v47, s[42:43]
	v_mov_b32_e32 v3, 0x7f800001
	v_add_u32_e32 v0, 0x38000000, v0
	v_cndmask_b32_e64 v1, v3, v1, s[40:41]
	v_cndmask_b32_e32 v1, v0, v1, vcc
.LBB4_4159:                             ;   in Loop: Header=BB4_4111 Depth=3
	s_or_b64 exec, exec, s[38:39]
	v_mul_f32_e32 v0, v2, v1
	v_and_b32_e32 v1, 0x7f800000, v0
	v_mov_b32_e32 v2, v61
	v_cmp_ne_u64_e32 vcc, s[62:63], v[1:2]
	v_and_b32_e32 v60, 0x7fffff, v0
                                        ; implicit-def: $vgpr27
	s_and_saveexec_b64 s[40:41], vcc
	s_xor_b64 s[42:43], exec, s[40:41]
	s_cbranch_execz .LBB4_4173
; %bb.4160:                             ;   in Loop: Header=BB4_4111 Depth=3
	v_and_b32_e32 v1, 0x7fffffff, v0
	v_mov_b32_e32 v2, v61
	v_cmp_gt_u64_e32 vcc, s[78:79], v[1:2]
	v_and_b32_sdwa v3, v0, s81 dst_sel:DWORD dst_unused:UNUSED_PAD src0_sel:BYTE_3 src1_sel:DWORD
                                        ; implicit-def: $vgpr27
	s_and_saveexec_b64 s[40:41], vcc
	s_xor_b64 s[38:39], exec, s[40:41]
	s_cbranch_execz .LBB4_4170
; %bb.4161:                             ;   in Loop: Header=BB4_4111 Depth=3
	v_mov_b32_e32 v27, 0
	v_cmp_ne_u32_e32 vcc, 0, v0
	s_and_saveexec_b64 s[48:49], vcc
	s_cbranch_execz .LBB4_4169
; %bb.4162:                             ;   in Loop: Header=BB4_4111 Depth=3
	v_bfe_u32 v27, v0, 23, 8
	v_cmp_gt_u32_e64 s[40:41], s47, v27
	v_sub_u32_e32 v0, 0x71, v27
	v_cmp_eq_u32_e32 vcc, 0, v27
	v_cndmask_b32_e64 v0, 0, v0, s[40:41]
	v_mov_b32_e32 v2, 0x70
	v_cndmask_b32_e32 v28, v0, v2, vcc
	v_add_u32_e32 v2, 21, v28
	v_or_b32_e32 v1, 0x800000, v60
	v_lshlrev_b64 v[29:30], v2, -1
	v_cndmask_b32_e32 v0, v1, v60, vcc
	v_mov_b32_e32 v1, v61
	v_add_u32_e32 v2, 20, v28
	v_bfi_b32 v29, v29, 0, v0
	v_lshlrev_b64 v[34:35], v2, 1
	v_lshrrev_b64 v[0:1], v28, v[0:1]
	v_bfi_b32 v30, v30, 0, 0
	v_cmp_eq_u64_e64 s[40:41], v[29:30], v[34:35]
	v_mov_b32_e32 v2, v1
	v_mov_b32_e32 v1, v0
	s_and_saveexec_b64 s[50:51], s[40:41]
; %bb.4163:                             ;   in Loop: Header=BB4_4111 Depth=3
	v_bfe_u32 v1, v0, 21, 1
	v_add_co_u32_e64 v1, s[40:41], v0, v1
	v_add_co_u32_e64 v1, s[40:41], -1, v1
; %bb.4164:                             ;   in Loop: Header=BB4_4111 Depth=3
	s_or_b64 exec, exec, s[50:51]
	v_add_u32_e32 v2, 0xffffff81, v27
	v_mov_b32_e32 v27, 0xffffff82
	v_cndmask_b32_e32 v2, v2, v27, vcc
	v_lshrrev_b32_e32 v27, 23, v0
	v_add3_u32 v28, v28, v2, v27
	v_add_u32_e32 v27, 14, v28
	v_and_b32_e32 v1, 0x1fffff, v1
	v_add_u32_e32 v60, v1, v0
	v_cmp_ne_u32_e32 vcc, 0, v27
                                        ; implicit-def: $vgpr0_vgpr1
                                        ; implicit-def: $vgpr2
	s_and_saveexec_b64 s[40:41], vcc
	s_xor_b64 s[40:41], exec, s[40:41]
; %bb.4165:                             ;   in Loop: Header=BB4_4111 Depth=3
	v_cmp_lt_u64_e32 vcc, s[88:89], v[60:61]
	v_add_u32_e32 v0, 15, v28
	v_cndmask_b32_e32 v2, v27, v0, vcc
	v_cndmask_b32_e64 v0, 0, 1, vcc
	v_lshrrev_b64 v[0:1], v0, v[60:61]
; %bb.4166:                             ;   in Loop: Header=BB4_4111 Depth=3
	s_andn2_saveexec_b64 s[40:41], s[40:41]
; %bb.4167:                             ;   in Loop: Header=BB4_4111 Depth=3
	v_mov_b32_e32 v0, v60
	v_mov_b32_e32 v1, v61
	v_bfe_u32 v2, v60, 23, 1
; %bb.4168:                             ;   in Loop: Header=BB4_4111 Depth=3
	s_or_b64 exec, exec, s[40:41]
	v_lshrrev_b64 v[0:1], 21, v[0:1]
	v_cmp_gt_i32_e32 vcc, 32, v2
	v_cndmask_b32_e32 v1, 0, v1, vcc
	v_cndmask_b32_e32 v0, 3, v0, vcc
	v_cmp_eq_u64_e64 s[40:41], 0, v[0:1]
	v_min_i32_e32 v1, 31, v2
	v_lshlrev_b32_e32 v1, 2, v1
	v_cmp_eq_u32_e32 vcc, 0, v2
	v_and_b32_e32 v1, 0xfc, v1
	v_and_or_b32 v0, v0, 3, v1
	s_and_b64 s[40:41], vcc, s[40:41]
	v_cndmask_b32_e64 v0, v0, 0, s[40:41]
	v_or_b32_e32 v27, v0, v3
.LBB4_4169:                             ;   in Loop: Header=BB4_4111 Depth=3
	s_or_b64 exec, exec, s[48:49]
                                        ; implicit-def: $vgpr3
.LBB4_4170:                             ;   in Loop: Header=BB4_4111 Depth=3
	s_andn2_saveexec_b64 s[40:41], s[38:39]
; %bb.4171:                             ;   in Loop: Header=BB4_4111 Depth=3
	v_or_b32_e32 v27, 0x7b, v3
; %bb.4172:                             ;   in Loop: Header=BB4_4111 Depth=3
	s_or_b64 exec, exec, s[40:41]
                                        ; implicit-def: $vgpr0
.LBB4_4173:                             ;   in Loop: Header=BB4_4111 Depth=3
	s_andn2_saveexec_b64 s[40:41], s[42:43]
	s_cbranch_execz .LBB4_4179
; %bb.4174:                             ;   in Loop: Header=BB4_4111 Depth=3
	v_cmp_ne_u64_e32 vcc, 0, v[60:61]
                                        ; implicit-def: $vgpr27
	s_and_saveexec_b64 s[42:43], vcc
	s_xor_b64 s[42:43], exec, s[42:43]
; %bb.4175:                             ;   in Loop: Header=BB4_4111 Depth=3
	v_or_b32_sdwa v27, v0, s44 dst_sel:DWORD dst_unused:UNUSED_PAD src0_sel:BYTE_3 src1_sel:DWORD
                                        ; implicit-def: $vgpr0
; %bb.4176:                             ;   in Loop: Header=BB4_4111 Depth=3
	s_andn2_saveexec_b64 s[42:43], s[42:43]
; %bb.4177:                             ;   in Loop: Header=BB4_4111 Depth=3
	v_cmp_lt_i32_e32 vcc, -1, v0
	v_bfrev_b32_e32 v0, 0.5
	v_mov_b32_e32 v1, 0x7c
	v_cndmask_b32_e32 v27, v0, v1, vcc
; %bb.4178:                             ;   in Loop: Header=BB4_4111 Depth=3
	s_or_b64 exec, exec, s[42:43]
.LBB4_4179:                             ;   in Loop: Header=BB4_4111 Depth=3
	s_or_b64 exec, exec, s[40:41]
	v_lshrrev_b32_e32 v0, 16, v12
	v_cmp_ne_u16_sdwa s[42:43], v0, v61 src0_sel:BYTE_0 src1_sel:DWORD
	v_mov_b32_e32 v1, 0
	s_and_saveexec_b64 s[40:41], s[42:43]
	s_cbranch_execz .LBB4_4187
; %bb.4180:                             ;   in Loop: Header=BB4_4111 Depth=3
	v_cmp_ne_u16_sdwa vcc, v0, s81 src0_sel:BYTE_0 src1_sel:DWORD
	v_bfrev_b32_e32 v1, 1
	s_and_saveexec_b64 s[42:43], vcc
	s_cbranch_execz .LBB4_4186
; %bb.4181:                             ;   in Loop: Header=BB4_4111 Depth=3
	v_and_b32_e32 v1, 0x7c0000, v12
	v_bfe_u32 v2, v12, 16, 2
	v_cmp_ne_u32_e32 vcc, s45, v1
                                        ; implicit-def: $vgpr1
	s_and_saveexec_b64 s[38:39], vcc
	s_xor_b64 s[38:39], exec, s[38:39]
	s_cbranch_execz .LBB4_4183
; %bb.4182:                             ;   in Loop: Header=BB4_4111 Depth=3
	v_ffbh_u32_e32 v1, v2
	v_min_u32_e32 v28, 32, v1
	v_subrev_u32_e32 v1, 29, v28
	v_lshlrev_b64 v[0:1], v1, v[0:1]
	v_bfe_u32 v3, v12, 18, 5
	v_and_b32_e32 v0, 3, v0
	v_cmp_eq_u32_e32 vcc, 0, v3
	v_sub_u32_e32 v1, 30, v28
	v_cndmask_b32_e32 v0, v2, v0, vcc
	v_lshlrev_b32_e32 v2, 8, v12
	v_cndmask_b32_e32 v1, v3, v1, vcc
	v_and_b32_e32 v2, 0x80000000, v2
	v_lshl_add_u32 v1, v1, 23, v2
	v_lshl_or_b32 v0, v0, 21, v1
	v_add_u32_e32 v1, 0x38000000, v0
                                        ; implicit-def: $vgpr2
                                        ; implicit-def: $vgpr0
.LBB4_4183:                             ;   in Loop: Header=BB4_4111 Depth=3
	s_andn2_saveexec_b64 s[38:39], s[38:39]
; %bb.4184:                             ;   in Loop: Header=BB4_4111 Depth=3
	v_mov_b32_e32 v1, -1
	v_cmp_gt_i16_sdwa vcc, sext(v0), v1 src0_sel:BYTE_0 src1_sel:DWORD
	v_mov_b32_e32 v0, 0xff800000
	v_cndmask_b32_e32 v0, v0, v47, vcc
	v_cmp_eq_u32_e32 vcc, 0, v2
	v_mov_b32_e32 v1, 0x7f800001
	v_cndmask_b32_e32 v1, v1, v0, vcc
; %bb.4185:                             ;   in Loop: Header=BB4_4111 Depth=3
	s_or_b64 exec, exec, s[38:39]
.LBB4_4186:                             ;   in Loop: Header=BB4_4111 Depth=3
	s_or_b64 exec, exec, s[42:43]
.LBB4_4187:                             ;   in Loop: Header=BB4_4111 Depth=3
	s_or_b64 exec, exec, s[40:41]
	v_lshrrev_b32_e32 v0, 16, v8
	v_cmp_gt_i16_sdwa s[42:43], v0, s44 src0_sel:BYTE_0 src1_sel:DWORD
	s_mov_b64 s[40:41], 0
	s_and_saveexec_b64 vcc, s[42:43]
	s_xor_b64 s[42:43], exec, vcc
	s_cbranch_execz .LBB4_4642
; %bb.4188:                             ;   in Loop: Header=BB4_4111 Depth=3
	v_cmp_eq_u16_sdwa s[38:39], v0, s81 src0_sel:BYTE_0 src1_sel:DWORD
	s_mov_b64 s[40:41], -1
	s_and_saveexec_b64 vcc, s[38:39]
; %bb.4189:                             ;   in Loop: Header=BB4_4111 Depth=3
	s_xor_b64 s[40:41], exec, -1
; %bb.4190:                             ;   in Loop: Header=BB4_4111 Depth=3
	s_or_b64 exec, exec, vcc
	s_and_b64 s[40:41], s[40:41], exec
	s_or_saveexec_b64 s[42:43], s[42:43]
	v_bfrev_b32_e32 v2, 1
	s_xor_b64 exec, exec, s[42:43]
	s_cbranch_execnz .LBB4_4643
.LBB4_4191:                             ;   in Loop: Header=BB4_4111 Depth=3
	s_or_b64 exec, exec, s[42:43]
	s_and_saveexec_b64 s[38:39], s[40:41]
	s_cbranch_execz .LBB4_4193
.LBB4_4192:                             ;   in Loop: Header=BB4_4111 Depth=3
	v_and_b32_e32 v28, 3, v0
	v_and_b32_e32 v2, 0x7c0000, v8
	v_cmp_eq_u32_e32 vcc, s45, v2
	v_ffbh_u32_e32 v2, v28
	v_min_u32_e32 v30, 32, v2
	v_subrev_u32_e32 v2, 29, v30
	v_bfe_u32 v29, v8, 18, 5
	v_lshlrev_b64 v[2:3], v2, v[0:1]
	v_cmp_eq_u32_e64 s[40:41], 0, v29
	v_sub_u32_e32 v3, 30, v30
	v_cndmask_b32_e64 v3, v29, v3, s[40:41]
	v_lshlrev_b32_e32 v29, 24, v0
	v_and_b32_e32 v2, 3, v2
	v_and_b32_e32 v29, 0x80000000, v29
	v_cndmask_b32_e64 v2, v28, v2, s[40:41]
	v_lshl_add_u32 v3, v3, 23, v29
	v_lshl_or_b32 v2, v2, 21, v3
	v_mov_b32_e32 v3, -1
	v_cmp_gt_i16_sdwa s[42:43], sext(v0), v3 src0_sel:BYTE_0 src1_sel:DWORD
	v_mov_b32_e32 v0, 0xff800000
	v_cmp_eq_u32_e64 s[40:41], 0, v28
	v_cndmask_b32_e64 v0, v0, v47, s[42:43]
	v_mov_b32_e32 v3, 0x7f800001
	v_add_u32_e32 v2, 0x38000000, v2
	v_cndmask_b32_e64 v0, v3, v0, s[40:41]
	v_cndmask_b32_e32 v2, v2, v0, vcc
.LBB4_4193:                             ;   in Loop: Header=BB4_4111 Depth=3
	s_or_b64 exec, exec, s[38:39]
	v_mul_f32_e32 v0, v1, v2
	v_and_b32_e32 v1, 0x7f800000, v0
	v_mov_b32_e32 v2, v61
	v_cmp_ne_u64_e32 vcc, s[62:63], v[1:2]
	v_and_b32_e32 v60, 0x7fffff, v0
                                        ; implicit-def: $vgpr28
	s_and_saveexec_b64 s[40:41], vcc
	s_xor_b64 s[42:43], exec, s[40:41]
	s_cbranch_execz .LBB4_4207
; %bb.4194:                             ;   in Loop: Header=BB4_4111 Depth=3
	v_and_b32_e32 v1, 0x7fffffff, v0
	v_mov_b32_e32 v2, v61
	v_cmp_gt_u64_e32 vcc, s[78:79], v[1:2]
	v_and_b32_sdwa v3, v0, s81 dst_sel:DWORD dst_unused:UNUSED_PAD src0_sel:BYTE_3 src1_sel:DWORD
                                        ; implicit-def: $vgpr28
	s_and_saveexec_b64 s[40:41], vcc
	s_xor_b64 s[38:39], exec, s[40:41]
	s_cbranch_execz .LBB4_4204
; %bb.4195:                             ;   in Loop: Header=BB4_4111 Depth=3
	v_mov_b32_e32 v28, 0
	v_cmp_ne_u32_e32 vcc, 0, v0
	s_and_saveexec_b64 s[48:49], vcc
	s_cbranch_execz .LBB4_4203
; %bb.4196:                             ;   in Loop: Header=BB4_4111 Depth=3
	v_bfe_u32 v28, v0, 23, 8
	v_cmp_gt_u32_e64 s[40:41], s47, v28
	v_sub_u32_e32 v0, 0x71, v28
	v_cmp_eq_u32_e32 vcc, 0, v28
	v_cndmask_b32_e64 v0, 0, v0, s[40:41]
	v_mov_b32_e32 v2, 0x70
	v_cndmask_b32_e32 v29, v0, v2, vcc
	v_add_u32_e32 v2, 21, v29
	v_or_b32_e32 v1, 0x800000, v60
	v_lshlrev_b64 v[30:31], v2, -1
	v_cndmask_b32_e32 v0, v1, v60, vcc
	v_mov_b32_e32 v1, v61
	v_add_u32_e32 v2, 20, v29
	v_bfi_b32 v30, v30, 0, v0
	v_lshlrev_b64 v[34:35], v2, 1
	v_lshrrev_b64 v[0:1], v29, v[0:1]
	v_bfi_b32 v31, v31, 0, 0
	v_cmp_eq_u64_e64 s[40:41], v[30:31], v[34:35]
	v_mov_b32_e32 v2, v1
	v_mov_b32_e32 v1, v0
	s_and_saveexec_b64 s[50:51], s[40:41]
; %bb.4197:                             ;   in Loop: Header=BB4_4111 Depth=3
	v_bfe_u32 v1, v0, 21, 1
	v_add_co_u32_e64 v1, s[40:41], v0, v1
	v_add_co_u32_e64 v1, s[40:41], -1, v1
; %bb.4198:                             ;   in Loop: Header=BB4_4111 Depth=3
	s_or_b64 exec, exec, s[50:51]
	v_add_u32_e32 v2, 0xffffff81, v28
	v_mov_b32_e32 v28, 0xffffff82
	v_cndmask_b32_e32 v2, v2, v28, vcc
	v_lshrrev_b32_e32 v28, 23, v0
	v_add3_u32 v29, v29, v2, v28
	v_add_u32_e32 v28, 14, v29
	v_and_b32_e32 v1, 0x1fffff, v1
	v_add_u32_e32 v60, v1, v0
	v_cmp_ne_u32_e32 vcc, 0, v28
                                        ; implicit-def: $vgpr0_vgpr1
                                        ; implicit-def: $vgpr2
	s_and_saveexec_b64 s[40:41], vcc
	s_xor_b64 s[40:41], exec, s[40:41]
; %bb.4199:                             ;   in Loop: Header=BB4_4111 Depth=3
	v_cmp_lt_u64_e32 vcc, s[88:89], v[60:61]
	v_add_u32_e32 v0, 15, v29
	v_cndmask_b32_e32 v2, v28, v0, vcc
	v_cndmask_b32_e64 v0, 0, 1, vcc
	v_lshrrev_b64 v[0:1], v0, v[60:61]
; %bb.4200:                             ;   in Loop: Header=BB4_4111 Depth=3
	s_andn2_saveexec_b64 s[40:41], s[40:41]
; %bb.4201:                             ;   in Loop: Header=BB4_4111 Depth=3
	v_mov_b32_e32 v0, v60
	v_mov_b32_e32 v1, v61
	v_bfe_u32 v2, v60, 23, 1
; %bb.4202:                             ;   in Loop: Header=BB4_4111 Depth=3
	s_or_b64 exec, exec, s[40:41]
	v_lshrrev_b64 v[0:1], 21, v[0:1]
	v_cmp_gt_i32_e32 vcc, 32, v2
	v_cndmask_b32_e32 v1, 0, v1, vcc
	v_cndmask_b32_e32 v0, 3, v0, vcc
	v_cmp_eq_u64_e64 s[40:41], 0, v[0:1]
	v_min_i32_e32 v1, 31, v2
	v_lshlrev_b32_e32 v1, 2, v1
	v_cmp_eq_u32_e32 vcc, 0, v2
	v_and_b32_e32 v1, 0xfc, v1
	v_and_or_b32 v0, v0, 3, v1
	s_and_b64 s[40:41], vcc, s[40:41]
	v_cndmask_b32_e64 v0, v0, 0, s[40:41]
	v_or_b32_e32 v28, v0, v3
.LBB4_4203:                             ;   in Loop: Header=BB4_4111 Depth=3
	s_or_b64 exec, exec, s[48:49]
                                        ; implicit-def: $vgpr3
.LBB4_4204:                             ;   in Loop: Header=BB4_4111 Depth=3
	s_andn2_saveexec_b64 s[40:41], s[38:39]
; %bb.4205:                             ;   in Loop: Header=BB4_4111 Depth=3
	v_or_b32_e32 v28, 0x7b, v3
; %bb.4206:                             ;   in Loop: Header=BB4_4111 Depth=3
	s_or_b64 exec, exec, s[40:41]
                                        ; implicit-def: $vgpr0
.LBB4_4207:                             ;   in Loop: Header=BB4_4111 Depth=3
	s_andn2_saveexec_b64 s[40:41], s[42:43]
	s_cbranch_execz .LBB4_4213
; %bb.4208:                             ;   in Loop: Header=BB4_4111 Depth=3
	v_cmp_ne_u64_e32 vcc, 0, v[60:61]
                                        ; implicit-def: $vgpr28
	s_and_saveexec_b64 s[42:43], vcc
	s_xor_b64 s[42:43], exec, s[42:43]
; %bb.4209:                             ;   in Loop: Header=BB4_4111 Depth=3
	v_or_b32_sdwa v28, v0, s44 dst_sel:DWORD dst_unused:UNUSED_PAD src0_sel:BYTE_3 src1_sel:DWORD
                                        ; implicit-def: $vgpr0
; %bb.4210:                             ;   in Loop: Header=BB4_4111 Depth=3
	s_andn2_saveexec_b64 s[42:43], s[42:43]
; %bb.4211:                             ;   in Loop: Header=BB4_4111 Depth=3
	v_cmp_lt_i32_e32 vcc, -1, v0
	v_bfrev_b32_e32 v0, 0.5
	v_mov_b32_e32 v1, 0x7c
	v_cndmask_b32_e32 v28, v0, v1, vcc
; %bb.4212:                             ;   in Loop: Header=BB4_4111 Depth=3
	s_or_b64 exec, exec, s[42:43]
.LBB4_4213:                             ;   in Loop: Header=BB4_4111 Depth=3
	s_or_b64 exec, exec, s[40:41]
	v_cmp_lt_u32_e32 vcc, s57, v12
	v_mov_b32_e32 v1, 0
	s_and_saveexec_b64 s[40:41], vcc
	s_cbranch_execz .LBB4_4221
; %bb.4214:                             ;   in Loop: Header=BB4_4111 Depth=3
	v_lshrrev_b32_e32 v0, 24, v12
	v_cmp_ne_u32_e32 vcc, s81, v0
	v_bfrev_b32_e32 v1, 1
	s_and_saveexec_b64 s[42:43], vcc
	s_cbranch_execz .LBB4_4220
; %bb.4215:                             ;   in Loop: Header=BB4_4111 Depth=3
	v_and_b32_e32 v1, 0x7c000000, v12
	v_bfe_u32 v2, v12, 24, 2
	v_cmp_ne_u32_e32 vcc, s82, v1
                                        ; implicit-def: $vgpr1
	s_and_saveexec_b64 s[38:39], vcc
	s_xor_b64 s[38:39], exec, s[38:39]
	s_cbranch_execz .LBB4_4217
; %bb.4216:                             ;   in Loop: Header=BB4_4111 Depth=3
	v_ffbh_u32_e32 v1, v2
	v_min_u32_e32 v29, 32, v1
	v_subrev_u32_e32 v1, 29, v29
	v_lshlrev_b64 v[0:1], v1, v[0:1]
	v_bfe_u32 v3, v12, 26, 5
	v_sub_u32_e32 v1, 30, v29
	v_and_b32_e32 v0, 3, v0
	v_cmp_eq_u32_e32 vcc, 0, v3
	v_cndmask_b32_e32 v1, v3, v1, vcc
	v_cndmask_b32_e32 v0, v2, v0, vcc
	v_and_b32_e32 v2, 0x80000000, v12
	v_lshl_add_u32 v1, v1, 23, v2
	v_lshl_or_b32 v0, v0, 21, v1
	v_add_u32_e32 v1, 0x38000000, v0
                                        ; implicit-def: $vgpr2
.LBB4_4217:                             ;   in Loop: Header=BB4_4111 Depth=3
	s_andn2_saveexec_b64 s[38:39], s[38:39]
; %bb.4218:                             ;   in Loop: Header=BB4_4111 Depth=3
	v_cmp_lt_i32_e32 vcc, -1, v12
	v_mov_b32_e32 v0, 0xff800000
	v_cndmask_b32_e32 v0, v0, v47, vcc
	v_cmp_eq_u32_e32 vcc, 0, v2
	v_mov_b32_e32 v1, 0x7f800001
	v_cndmask_b32_e32 v1, v1, v0, vcc
; %bb.4219:                             ;   in Loop: Header=BB4_4111 Depth=3
	s_or_b64 exec, exec, s[38:39]
.LBB4_4220:                             ;   in Loop: Header=BB4_4111 Depth=3
	s_or_b64 exec, exec, s[42:43]
.LBB4_4221:                             ;   in Loop: Header=BB4_4111 Depth=3
	s_or_b64 exec, exec, s[40:41]
	v_bfe_u32 v29, v8, 24, 2
	v_and_b32_e32 v2, 0x7c000000, v8
	v_cmp_eq_u32_e32 vcc, s82, v2
	v_ffbh_u32_e32 v2, v29
	v_min_u32_e32 v31, 32, v2
	v_lshrrev_b32_e32 v0, 24, v8
	v_subrev_u32_e32 v2, 29, v31
	v_bfe_u32 v30, v8, 26, 5
	v_lshlrev_b64 v[2:3], v2, v[0:1]
	v_cmp_eq_u32_e64 s[40:41], 0, v30
	v_sub_u32_e32 v3, 30, v31
	v_and_b32_e32 v2, 3, v2
	v_cndmask_b32_e64 v3, v30, v3, s[40:41]
	v_and_b32_e32 v30, 0x80000000, v8
	v_cndmask_b32_e64 v2, v29, v2, s[40:41]
	v_lshl_add_u32 v3, v3, 23, v30
	v_lshl_or_b32 v2, v2, 21, v3
	v_cmp_lt_i32_e64 s[42:43], -1, v8
	v_mov_b32_e32 v3, 0xff800000
	v_cmp_eq_u32_e64 s[40:41], 0, v29
	v_cndmask_b32_e64 v3, v3, v47, s[42:43]
	v_mov_b32_e32 v29, 0x7f800001
	v_add_u32_e32 v2, 0x38000000, v2
	v_cndmask_b32_e64 v3, v29, v3, s[40:41]
	v_cndmask_b32_e32 v2, v2, v3, vcc
	v_cmp_ne_u32_e32 vcc, s81, v0
	v_bfrev_b32_e32 v0, 1
	v_cndmask_b32_e32 v0, v0, v2, vcc
	v_cmp_lt_u32_e32 vcc, s57, v8
	v_cndmask_b32_e32 v0, 0, v0, vcc
	v_mul_f32_e32 v0, v0, v1
	v_and_b32_e32 v1, 0x7f800000, v0
	v_mov_b32_e32 v2, v61
	v_cmp_ne_u64_e32 vcc, s[62:63], v[1:2]
	v_and_b32_e32 v60, 0x7fffff, v0
                                        ; implicit-def: $vgpr29
	s_and_saveexec_b64 s[40:41], vcc
	s_xor_b64 s[42:43], exec, s[40:41]
	s_cbranch_execz .LBB4_4235
; %bb.4222:                             ;   in Loop: Header=BB4_4111 Depth=3
	v_and_b32_e32 v1, 0x7fffffff, v0
	v_mov_b32_e32 v2, v61
	v_cmp_gt_u64_e32 vcc, s[78:79], v[1:2]
	v_and_b32_sdwa v3, v0, s81 dst_sel:DWORD dst_unused:UNUSED_PAD src0_sel:BYTE_3 src1_sel:DWORD
                                        ; implicit-def: $vgpr29
	s_and_saveexec_b64 s[40:41], vcc
	s_xor_b64 s[38:39], exec, s[40:41]
	s_cbranch_execz .LBB4_4232
; %bb.4223:                             ;   in Loop: Header=BB4_4111 Depth=3
	v_mov_b32_e32 v29, 0
	v_cmp_ne_u32_e32 vcc, 0, v0
	s_and_saveexec_b64 s[48:49], vcc
	s_cbranch_execz .LBB4_4231
; %bb.4224:                             ;   in Loop: Header=BB4_4111 Depth=3
	v_bfe_u32 v29, v0, 23, 8
	v_cmp_gt_u32_e64 s[40:41], s47, v29
	v_sub_u32_e32 v0, 0x71, v29
	v_cmp_eq_u32_e32 vcc, 0, v29
	v_cndmask_b32_e64 v0, 0, v0, s[40:41]
	v_mov_b32_e32 v2, 0x70
	v_cndmask_b32_e32 v30, v0, v2, vcc
	v_add_u32_e32 v2, 21, v30
	v_or_b32_e32 v1, 0x800000, v60
	v_lshlrev_b64 v[34:35], v2, -1
	v_cndmask_b32_e32 v0, v1, v60, vcc
	v_mov_b32_e32 v1, v61
	v_add_u32_e32 v2, 20, v30
	v_bfi_b32 v34, v34, 0, v0
	v_lshlrev_b64 v[36:37], v2, 1
	v_lshrrev_b64 v[0:1], v30, v[0:1]
	v_bfi_b32 v35, v35, 0, 0
	v_cmp_eq_u64_e64 s[40:41], v[34:35], v[36:37]
	v_mov_b32_e32 v2, v1
	v_mov_b32_e32 v1, v0
	s_and_saveexec_b64 s[50:51], s[40:41]
; %bb.4225:                             ;   in Loop: Header=BB4_4111 Depth=3
	v_bfe_u32 v1, v0, 21, 1
	v_add_co_u32_e64 v1, s[40:41], v0, v1
	v_add_co_u32_e64 v1, s[40:41], -1, v1
; %bb.4226:                             ;   in Loop: Header=BB4_4111 Depth=3
	s_or_b64 exec, exec, s[50:51]
	v_add_u32_e32 v2, 0xffffff81, v29
	v_mov_b32_e32 v29, 0xffffff82
	v_cndmask_b32_e32 v2, v2, v29, vcc
	v_lshrrev_b32_e32 v29, 23, v0
	v_add3_u32 v30, v30, v2, v29
	v_add_u32_e32 v29, 14, v30
	v_and_b32_e32 v1, 0x1fffff, v1
	v_add_u32_e32 v60, v1, v0
	v_cmp_ne_u32_e32 vcc, 0, v29
                                        ; implicit-def: $vgpr0_vgpr1
                                        ; implicit-def: $vgpr2
	s_and_saveexec_b64 s[40:41], vcc
	s_xor_b64 s[40:41], exec, s[40:41]
; %bb.4227:                             ;   in Loop: Header=BB4_4111 Depth=3
	v_cmp_lt_u64_e32 vcc, s[88:89], v[60:61]
	v_add_u32_e32 v0, 15, v30
	v_cndmask_b32_e32 v2, v29, v0, vcc
	v_cndmask_b32_e64 v0, 0, 1, vcc
	v_lshrrev_b64 v[0:1], v0, v[60:61]
; %bb.4228:                             ;   in Loop: Header=BB4_4111 Depth=3
	s_andn2_saveexec_b64 s[40:41], s[40:41]
; %bb.4229:                             ;   in Loop: Header=BB4_4111 Depth=3
	v_mov_b32_e32 v0, v60
	v_mov_b32_e32 v1, v61
	v_bfe_u32 v2, v60, 23, 1
; %bb.4230:                             ;   in Loop: Header=BB4_4111 Depth=3
	s_or_b64 exec, exec, s[40:41]
	v_lshrrev_b64 v[0:1], 21, v[0:1]
	v_cmp_gt_i32_e32 vcc, 32, v2
	v_cndmask_b32_e32 v1, 0, v1, vcc
	v_cndmask_b32_e32 v0, 3, v0, vcc
	v_cmp_eq_u64_e64 s[40:41], 0, v[0:1]
	v_min_i32_e32 v1, 31, v2
	v_lshlrev_b32_e32 v1, 2, v1
	v_cmp_eq_u32_e32 vcc, 0, v2
	v_and_b32_e32 v1, 0xfc, v1
	v_and_or_b32 v0, v0, 3, v1
	s_and_b64 s[40:41], vcc, s[40:41]
	v_cndmask_b32_e64 v0, v0, 0, s[40:41]
	v_or_b32_e32 v29, v0, v3
.LBB4_4231:                             ;   in Loop: Header=BB4_4111 Depth=3
	s_or_b64 exec, exec, s[48:49]
                                        ; implicit-def: $vgpr3
.LBB4_4232:                             ;   in Loop: Header=BB4_4111 Depth=3
	s_andn2_saveexec_b64 s[40:41], s[38:39]
; %bb.4233:                             ;   in Loop: Header=BB4_4111 Depth=3
	v_or_b32_e32 v29, 0x7b, v3
; %bb.4234:                             ;   in Loop: Header=BB4_4111 Depth=3
	s_or_b64 exec, exec, s[40:41]
                                        ; implicit-def: $vgpr0
.LBB4_4235:                             ;   in Loop: Header=BB4_4111 Depth=3
	s_andn2_saveexec_b64 s[40:41], s[42:43]
	s_cbranch_execz .LBB4_4241
; %bb.4236:                             ;   in Loop: Header=BB4_4111 Depth=3
	v_cmp_ne_u64_e32 vcc, 0, v[60:61]
                                        ; implicit-def: $vgpr29
	s_and_saveexec_b64 s[42:43], vcc
	s_xor_b64 s[42:43], exec, s[42:43]
; %bb.4237:                             ;   in Loop: Header=BB4_4111 Depth=3
	v_or_b32_sdwa v29, v0, s44 dst_sel:DWORD dst_unused:UNUSED_PAD src0_sel:BYTE_3 src1_sel:DWORD
                                        ; implicit-def: $vgpr0
; %bb.4238:                             ;   in Loop: Header=BB4_4111 Depth=3
	s_andn2_saveexec_b64 s[42:43], s[42:43]
; %bb.4239:                             ;   in Loop: Header=BB4_4111 Depth=3
	v_cmp_lt_i32_e32 vcc, -1, v0
	v_bfrev_b32_e32 v0, 0.5
	v_mov_b32_e32 v1, 0x7c
	v_cndmask_b32_e32 v29, v0, v1, vcc
; %bb.4240:                             ;   in Loop: Header=BB4_4111 Depth=3
	s_or_b64 exec, exec, s[42:43]
.LBB4_4241:                             ;   in Loop: Header=BB4_4111 Depth=3
	s_or_b64 exec, exec, s[40:41]
	v_mov_b32_e32 v60, v13
	v_cmp_ne_u16_sdwa s[42:43], v13, v61 src0_sel:BYTE_0 src1_sel:DWORD
	v_mov_b32_e32 v2, 0
	s_and_saveexec_b64 s[40:41], s[42:43]
	s_cbranch_execz .LBB4_4249
; %bb.4242:                             ;   in Loop: Header=BB4_4111 Depth=3
	v_cmp_ne_u16_sdwa vcc, v13, s81 src0_sel:BYTE_0 src1_sel:DWORD
	v_bfrev_b32_e32 v2, 1
	s_and_saveexec_b64 s[42:43], vcc
	s_cbranch_execz .LBB4_4248
; %bb.4243:                             ;   in Loop: Header=BB4_4111 Depth=3
	v_and_b32_e32 v1, 0x7c, v13
	v_and_b32_e32 v0, 3, v13
	v_cmp_ne_u32_e32 vcc, s71, v1
                                        ; implicit-def: $vgpr2
	s_and_saveexec_b64 s[38:39], vcc
	s_xor_b64 s[38:39], exec, s[38:39]
	s_cbranch_execz .LBB4_4245
; %bb.4244:                             ;   in Loop: Header=BB4_4111 Depth=3
	v_ffbh_u32_e32 v1, v0
	v_min_u32_e32 v30, 32, v1
	v_subrev_u32_e32 v1, 29, v30
	v_lshlrev_b64 v[1:2], v1, v[60:61]
	v_bfe_u32 v3, v13, 2, 5
	v_and_b32_e32 v1, 3, v1
	v_cmp_eq_u32_e32 vcc, 0, v3
	v_sub_u32_e32 v2, 30, v30
	v_cndmask_b32_e32 v0, v0, v1, vcc
	v_lshlrev_b32_e32 v1, 24, v13
	v_cndmask_b32_e32 v2, v3, v2, vcc
	v_and_b32_e32 v1, 0x80000000, v1
	v_lshl_add_u32 v1, v2, 23, v1
	v_lshl_or_b32 v0, v0, 21, v1
	v_add_u32_e32 v2, 0x38000000, v0
                                        ; implicit-def: $vgpr0
.LBB4_4245:                             ;   in Loop: Header=BB4_4111 Depth=3
	s_andn2_saveexec_b64 s[38:39], s[38:39]
; %bb.4246:                             ;   in Loop: Header=BB4_4111 Depth=3
	v_mov_b32_e32 v1, -1
	v_cmp_gt_i16_sdwa vcc, sext(v13), v1 src0_sel:BYTE_0 src1_sel:DWORD
	v_mov_b32_e32 v1, 0xff800000
	v_cndmask_b32_e32 v1, v1, v47, vcc
	v_cmp_eq_u32_e32 vcc, 0, v0
	v_mov_b32_e32 v0, 0x7f800001
	v_cndmask_b32_e32 v2, v0, v1, vcc
; %bb.4247:                             ;   in Loop: Header=BB4_4111 Depth=3
	s_or_b64 exec, exec, s[38:39]
.LBB4_4248:                             ;   in Loop: Header=BB4_4111 Depth=3
	s_or_b64 exec, exec, s[42:43]
.LBB4_4249:                             ;   in Loop: Header=BB4_4111 Depth=3
	s_or_b64 exec, exec, s[40:41]
	v_cmp_gt_i16_sdwa s[42:43], v9, s44 src0_sel:BYTE_0 src1_sel:DWORD
	s_mov_b64 s[40:41], 0
	s_and_saveexec_b64 vcc, s[42:43]
	s_xor_b64 s[42:43], exec, vcc
	s_cbranch_execz .LBB4_4253
; %bb.4250:                             ;   in Loop: Header=BB4_4111 Depth=3
	v_cmp_eq_u16_sdwa s[38:39], v9, s81 src0_sel:BYTE_0 src1_sel:DWORD
	s_mov_b64 s[40:41], -1
	s_and_saveexec_b64 vcc, s[38:39]
; %bb.4251:                             ;   in Loop: Header=BB4_4111 Depth=3
	s_xor_b64 s[40:41], exec, -1
; %bb.4252:                             ;   in Loop: Header=BB4_4111 Depth=3
	s_or_b64 exec, exec, vcc
	s_and_b64 s[40:41], s[40:41], exec
.LBB4_4253:                             ;   in Loop: Header=BB4_4111 Depth=3
	s_or_saveexec_b64 s[42:43], s[42:43]
	v_bfrev_b32_e32 v3, 1
	s_xor_b64 exec, exec, s[42:43]
; %bb.4254:                             ;   in Loop: Header=BB4_4111 Depth=3
	v_cmp_ne_u16_sdwa vcc, v9, v61 src0_sel:BYTE_0 src1_sel:DWORD
	s_andn2_b64 s[40:41], s[40:41], exec
	s_and_b64 vcc, vcc, exec
	v_mov_b32_e32 v3, 0
	s_or_b64 s[40:41], s[40:41], vcc
; %bb.4255:                             ;   in Loop: Header=BB4_4111 Depth=3
	s_or_b64 exec, exec, s[42:43]
	v_mov_b32_e32 v0, v9
	v_mov_b32_e32 v1, v61
	s_and_saveexec_b64 s[38:39], s[40:41]
	s_cbranch_execz .LBB4_4257
; %bb.4256:                             ;   in Loop: Header=BB4_4111 Depth=3
	v_and_b32_e32 v3, 3, v9
	v_and_b32_e32 v30, 0x7c, v9
	v_cmp_eq_u32_e32 vcc, s71, v30
	v_ffbh_u32_e32 v30, v3
	v_min_u32_e32 v35, 32, v30
	v_subrev_u32_e32 v30, 29, v35
	v_lshlrev_b64 v[30:31], v30, v[0:1]
	v_bfe_u32 v34, v9, 2, 5
	v_cmp_eq_u32_e64 s[40:41], 0, v34
	v_sub_u32_e32 v1, 30, v35
	v_and_b32_e32 v30, 3, v30
	v_lshlrev_b32_e32 v31, 24, v9
	v_cndmask_b32_e64 v1, v34, v1, s[40:41]
	v_cndmask_b32_e64 v30, v3, v30, s[40:41]
	v_and_b32_e32 v31, 0x80000000, v31
	v_cmp_eq_u32_e64 s[40:41], 0, v3
	v_mov_b32_e32 v3, -1
	v_lshl_add_u32 v1, v1, 23, v31
	v_cmp_gt_i16_sdwa s[42:43], sext(v9), v3 src0_sel:BYTE_0 src1_sel:DWORD
	v_mov_b32_e32 v3, 0xff800000
	v_lshl_or_b32 v1, v30, 21, v1
	v_cndmask_b32_e64 v3, v3, v47, s[42:43]
	v_mov_b32_e32 v30, 0x7f800001
	v_add_u32_e32 v1, 0x38000000, v1
	v_cndmask_b32_e64 v3, v30, v3, s[40:41]
	v_cndmask_b32_e32 v3, v1, v3, vcc
.LBB4_4257:                             ;   in Loop: Header=BB4_4111 Depth=3
	s_or_b64 exec, exec, s[38:39]
	v_mul_f32_e32 v3, v2, v3
	v_and_b32_e32 v30, 0x7f800000, v3
	v_mov_b32_e32 v31, v61
	v_cmp_ne_u64_e32 vcc, s[62:63], v[30:31]
	v_and_b32_e32 v1, 0x7fffff, v3
	v_mov_b32_e32 v2, v61
                                        ; implicit-def: $vgpr30
	s_and_saveexec_b64 s[40:41], vcc
	s_xor_b64 s[42:43], exec, s[40:41]
	s_cbranch_execz .LBB4_4271
; %bb.4258:                             ;   in Loop: Header=BB4_4111 Depth=3
	v_and_b32_e32 v30, 0x7fffffff, v3
	v_mov_b32_e32 v31, v61
	v_cmp_gt_u64_e32 vcc, s[78:79], v[30:31]
	v_and_b32_sdwa v31, v3, s81 dst_sel:DWORD dst_unused:UNUSED_PAD src0_sel:BYTE_3 src1_sel:DWORD
                                        ; implicit-def: $vgpr30
	s_and_saveexec_b64 s[40:41], vcc
	s_xor_b64 s[38:39], exec, s[40:41]
	s_cbranch_execz .LBB4_4268
; %bb.4259:                             ;   in Loop: Header=BB4_4111 Depth=3
	v_mov_b32_e32 v30, 0
	v_cmp_ne_u32_e32 vcc, 0, v3
	s_and_saveexec_b64 s[48:49], vcc
	s_cbranch_execz .LBB4_4267
; %bb.4260:                             ;   in Loop: Header=BB4_4111 Depth=3
	v_bfe_u32 v30, v3, 23, 8
	v_cmp_gt_u32_e64 s[40:41], s47, v30
	v_sub_u32_e32 v3, 0x71, v30
	v_cmp_eq_u32_e32 vcc, 0, v30
	v_cndmask_b32_e64 v3, 0, v3, s[40:41]
	v_mov_b32_e32 v34, 0x70
	v_cndmask_b32_e32 v34, v3, v34, vcc
	v_or_b32_e32 v35, 0x800000, v1
	v_add_u32_e32 v3, 21, v34
	v_cndmask_b32_e32 v1, v35, v1, vcc
	v_lshlrev_b64 v[35:36], v3, -1
	v_add_u32_e32 v3, 20, v34
	v_bfi_b32 v35, v35, 0, v1
	v_lshlrev_b64 v[37:38], v3, 1
	v_lshrrev_b64 v[1:2], v34, v[1:2]
	v_bfi_b32 v36, v36, 0, 0
	v_cmp_eq_u64_e64 s[40:41], v[35:36], v[37:38]
	v_mov_b32_e32 v3, v2
	v_mov_b32_e32 v2, v1
	s_and_saveexec_b64 s[50:51], s[40:41]
; %bb.4261:                             ;   in Loop: Header=BB4_4111 Depth=3
	v_bfe_u32 v2, v1, 21, 1
	v_add_co_u32_e64 v2, s[40:41], v1, v2
	v_add_co_u32_e64 v2, s[40:41], -1, v2
; %bb.4262:                             ;   in Loop: Header=BB4_4111 Depth=3
	s_or_b64 exec, exec, s[50:51]
	v_add_u32_e32 v3, 0xffffff81, v30
	v_mov_b32_e32 v30, 0xffffff82
	v_cndmask_b32_e32 v3, v3, v30, vcc
	v_lshrrev_b32_e32 v30, 23, v1
	v_add3_u32 v34, v34, v3, v30
	v_add_u32_e32 v30, 14, v34
	v_and_b32_e32 v2, 0x1fffff, v2
	v_add_u32_e32 v1, v2, v1
	v_mov_b32_e32 v2, v61
	v_cmp_ne_u32_e32 vcc, 0, v30
                                        ; implicit-def: $vgpr3
	s_and_saveexec_b64 s[40:41], vcc
	s_xor_b64 s[40:41], exec, s[40:41]
; %bb.4263:                             ;   in Loop: Header=BB4_4111 Depth=3
	v_cmp_lt_u64_e32 vcc, s[88:89], v[1:2]
	v_add_u32_e32 v3, 15, v34
	v_cndmask_b32_e32 v3, v30, v3, vcc
	v_cndmask_b32_e64 v30, 0, 1, vcc
	v_lshrrev_b64 v[1:2], v30, v[1:2]
; %bb.4264:                             ;   in Loop: Header=BB4_4111 Depth=3
	s_andn2_saveexec_b64 s[40:41], s[40:41]
; %bb.4265:                             ;   in Loop: Header=BB4_4111 Depth=3
	v_bfe_u32 v3, v1, 23, 1
; %bb.4266:                             ;   in Loop: Header=BB4_4111 Depth=3
	s_or_b64 exec, exec, s[40:41]
	v_lshrrev_b64 v[1:2], 21, v[1:2]
	v_cmp_gt_i32_e32 vcc, 32, v3
	v_cndmask_b32_e32 v2, 0, v2, vcc
	v_cndmask_b32_e32 v1, 3, v1, vcc
	v_cmp_eq_u64_e64 s[40:41], 0, v[1:2]
	v_min_i32_e32 v2, 31, v3
	v_lshlrev_b32_e32 v2, 2, v2
	v_cmp_eq_u32_e32 vcc, 0, v3
	v_and_b32_e32 v2, 0xfc, v2
	v_and_or_b32 v1, v1, 3, v2
	s_and_b64 s[40:41], vcc, s[40:41]
	v_cndmask_b32_e64 v1, v1, 0, s[40:41]
	v_or_b32_e32 v30, v1, v31
.LBB4_4267:                             ;   in Loop: Header=BB4_4111 Depth=3
	s_or_b64 exec, exec, s[48:49]
                                        ; implicit-def: $vgpr31
.LBB4_4268:                             ;   in Loop: Header=BB4_4111 Depth=3
	s_andn2_saveexec_b64 s[40:41], s[38:39]
; %bb.4269:                             ;   in Loop: Header=BB4_4111 Depth=3
	v_or_b32_e32 v30, 0x7b, v31
; %bb.4270:                             ;   in Loop: Header=BB4_4111 Depth=3
	s_or_b64 exec, exec, s[40:41]
                                        ; implicit-def: $vgpr3
                                        ; implicit-def: $vgpr1_vgpr2
.LBB4_4271:                             ;   in Loop: Header=BB4_4111 Depth=3
	s_andn2_saveexec_b64 s[40:41], s[42:43]
	s_cbranch_execz .LBB4_4277
; %bb.4272:                             ;   in Loop: Header=BB4_4111 Depth=3
	v_cmp_ne_u64_e32 vcc, 0, v[1:2]
                                        ; implicit-def: $vgpr30
	s_and_saveexec_b64 s[42:43], vcc
	s_xor_b64 s[42:43], exec, s[42:43]
; %bb.4273:                             ;   in Loop: Header=BB4_4111 Depth=3
	v_or_b32_sdwa v30, v3, s44 dst_sel:DWORD dst_unused:UNUSED_PAD src0_sel:BYTE_3 src1_sel:DWORD
                                        ; implicit-def: $vgpr3
; %bb.4274:                             ;   in Loop: Header=BB4_4111 Depth=3
	s_andn2_saveexec_b64 s[42:43], s[42:43]
; %bb.4275:                             ;   in Loop: Header=BB4_4111 Depth=3
	v_cmp_lt_i32_e32 vcc, -1, v3
	v_bfrev_b32_e32 v1, 0.5
	v_mov_b32_e32 v2, 0x7c
	v_cndmask_b32_e32 v30, v1, v2, vcc
; %bb.4276:                             ;   in Loop: Header=BB4_4111 Depth=3
	s_or_b64 exec, exec, s[42:43]
.LBB4_4277:                             ;   in Loop: Header=BB4_4111 Depth=3
	s_or_b64 exec, exec, s[40:41]
	v_lshrrev_b16_e32 v1, 8, v60
	v_cmp_ne_u16_e32 vcc, 0, v1
	v_mov_b32_e32 v3, 0
	s_and_saveexec_b64 s[40:41], vcc
	s_cbranch_execz .LBB4_4285
; %bb.4278:                             ;   in Loop: Header=BB4_4111 Depth=3
	v_cmp_ne_u16_e32 vcc, s81, v1
	v_bfrev_b32_e32 v3, 1
	s_and_saveexec_b64 s[42:43], vcc
	s_cbranch_execz .LBB4_4284
; %bb.4279:                             ;   in Loop: Header=BB4_4111 Depth=3
	v_and_b32_e32 v2, 0x7c, v1
	v_and_b32_e32 v31, 3, v1
	v_cmp_ne_u32_e32 vcc, s71, v2
                                        ; implicit-def: $vgpr3
	s_and_saveexec_b64 s[38:39], vcc
	s_xor_b64 s[38:39], exec, s[38:39]
	s_cbranch_execz .LBB4_4281
; %bb.4280:                             ;   in Loop: Header=BB4_4111 Depth=3
	v_ffbh_u32_e32 v34, v31
	v_min_u32_e32 v34, 32, v34
	v_mov_b32_e32 v2, v61
	v_subrev_u32_e32 v35, 29, v34
	v_bfe_u32 v3, v1, 2, 5
	v_lshlrev_b64 v[1:2], v35, v[1:2]
	v_sub_u32_e32 v2, 30, v34
	v_cmp_eq_u32_e32 vcc, 0, v3
	v_cndmask_b32_e32 v2, v3, v2, vcc
	v_lshlrev_b32_e32 v3, 16, v60
	v_and_b32_e32 v1, 3, v1
	v_and_b32_e32 v3, 0x80000000, v3
	v_cndmask_b32_e32 v1, v31, v1, vcc
	v_lshl_add_u32 v2, v2, 23, v3
	v_lshl_or_b32 v1, v1, 21, v2
	v_add_u32_e32 v3, 0x38000000, v1
                                        ; implicit-def: $vgpr31
.LBB4_4281:                             ;   in Loop: Header=BB4_4111 Depth=3
	s_andn2_saveexec_b64 s[38:39], s[38:39]
; %bb.4282:                             ;   in Loop: Header=BB4_4111 Depth=3
	v_cmp_lt_i16_e32 vcc, -1, v60
	v_mov_b32_e32 v1, 0xff800000
	v_cndmask_b32_e32 v1, v1, v47, vcc
	v_cmp_eq_u32_e32 vcc, 0, v31
	v_mov_b32_e32 v2, 0x7f800001
	v_cndmask_b32_e32 v3, v2, v1, vcc
; %bb.4283:                             ;   in Loop: Header=BB4_4111 Depth=3
	s_or_b64 exec, exec, s[38:39]
.LBB4_4284:                             ;   in Loop: Header=BB4_4111 Depth=3
	s_or_b64 exec, exec, s[42:43]
.LBB4_4285:                             ;   in Loop: Header=BB4_4111 Depth=3
	s_or_b64 exec, exec, s[40:41]
	v_lshrrev_b16_e32 v1, 8, v0
	v_cmp_lt_i16_e32 vcc, s44, v1
	s_mov_b64 s[40:41], 0
	s_and_saveexec_b64 s[42:43], vcc
	s_xor_b64 s[42:43], exec, s[42:43]
	s_cbranch_execz .LBB4_4644
; %bb.4286:                             ;   in Loop: Header=BB4_4111 Depth=3
	v_cmp_eq_u16_e32 vcc, s81, v1
	s_mov_b64 s[40:41], -1
	s_and_saveexec_b64 s[38:39], vcc
; %bb.4287:                             ;   in Loop: Header=BB4_4111 Depth=3
	s_xor_b64 s[40:41], exec, -1
; %bb.4288:                             ;   in Loop: Header=BB4_4111 Depth=3
	s_or_b64 exec, exec, s[38:39]
	s_and_b64 s[40:41], s[40:41], exec
	s_or_saveexec_b64 s[42:43], s[42:43]
	v_bfrev_b32_e32 v2, 1
	s_xor_b64 exec, exec, s[42:43]
	s_cbranch_execnz .LBB4_4645
.LBB4_4289:                             ;   in Loop: Header=BB4_4111 Depth=3
	s_or_b64 exec, exec, s[42:43]
	s_and_saveexec_b64 s[38:39], s[40:41]
	s_cbranch_execz .LBB4_4291
.LBB4_4290:                             ;   in Loop: Header=BB4_4111 Depth=3
	v_and_b32_e32 v31, 3, v1
	v_and_b32_e32 v34, 0x7c, v1
	v_cmp_eq_u32_e32 vcc, s71, v34
	v_ffbh_u32_e32 v34, v31
	v_min_u32_e32 v37, 32, v34
	v_mov_b32_e32 v2, v61
	v_subrev_u32_e32 v34, 29, v37
	v_bfe_u32 v36, v1, 2, 5
	v_lshlrev_b64 v[34:35], v34, v[1:2]
	v_cmp_eq_u32_e64 s[40:41], 0, v36
	v_sub_u32_e32 v2, 30, v37
	v_lshlrev_b32_e32 v1, 24, v1
	v_and_b32_e32 v34, 3, v34
	v_cndmask_b32_e64 v2, v36, v2, s[40:41]
	v_and_b32_e32 v1, 0x80000000, v1
	v_cndmask_b32_e64 v34, v31, v34, s[40:41]
	v_lshl_add_u32 v1, v2, 23, v1
	v_cmp_lt_i16_e64 s[42:43], -1, v0
	v_mov_b32_e32 v0, 0xff800000
	v_lshl_or_b32 v1, v34, 21, v1
	v_cmp_eq_u32_e64 s[40:41], 0, v31
	v_cndmask_b32_e64 v0, v0, v47, s[42:43]
	v_mov_b32_e32 v2, 0x7f800001
	v_add_u32_e32 v1, 0x38000000, v1
	v_cndmask_b32_e64 v0, v2, v0, s[40:41]
	v_cndmask_b32_e32 v2, v1, v0, vcc
.LBB4_4291:                             ;   in Loop: Header=BB4_4111 Depth=3
	s_or_b64 exec, exec, s[38:39]
	v_mul_f32_e32 v0, v3, v2
	v_and_b32_e32 v1, 0x7f800000, v0
	v_mov_b32_e32 v2, v61
	v_cmp_ne_u64_e32 vcc, s[62:63], v[1:2]
	v_and_b32_e32 v60, 0x7fffff, v0
                                        ; implicit-def: $vgpr31
	s_and_saveexec_b64 s[40:41], vcc
	s_xor_b64 s[42:43], exec, s[40:41]
	s_cbranch_execz .LBB4_4305
; %bb.4292:                             ;   in Loop: Header=BB4_4111 Depth=3
	v_and_b32_e32 v1, 0x7fffffff, v0
	v_mov_b32_e32 v2, v61
	v_cmp_gt_u64_e32 vcc, s[78:79], v[1:2]
	v_and_b32_sdwa v3, v0, s81 dst_sel:DWORD dst_unused:UNUSED_PAD src0_sel:BYTE_3 src1_sel:DWORD
                                        ; implicit-def: $vgpr31
	s_and_saveexec_b64 s[40:41], vcc
	s_xor_b64 s[38:39], exec, s[40:41]
	s_cbranch_execz .LBB4_4302
; %bb.4293:                             ;   in Loop: Header=BB4_4111 Depth=3
	v_mov_b32_e32 v31, 0
	v_cmp_ne_u32_e32 vcc, 0, v0
	s_and_saveexec_b64 s[48:49], vcc
	s_cbranch_execz .LBB4_4301
; %bb.4294:                             ;   in Loop: Header=BB4_4111 Depth=3
	v_bfe_u32 v31, v0, 23, 8
	v_cmp_gt_u32_e64 s[40:41], s47, v31
	v_sub_u32_e32 v0, 0x71, v31
	v_cmp_eq_u32_e32 vcc, 0, v31
	v_cndmask_b32_e64 v0, 0, v0, s[40:41]
	v_mov_b32_e32 v2, 0x70
	v_cndmask_b32_e32 v34, v0, v2, vcc
	v_add_u32_e32 v2, 21, v34
	v_or_b32_e32 v1, 0x800000, v60
	v_lshlrev_b64 v[35:36], v2, -1
	v_cndmask_b32_e32 v0, v1, v60, vcc
	v_mov_b32_e32 v1, v61
	v_add_u32_e32 v2, 20, v34
	v_bfi_b32 v35, v35, 0, v0
	v_lshlrev_b64 v[37:38], v2, 1
	v_lshrrev_b64 v[0:1], v34, v[0:1]
	v_bfi_b32 v36, v36, 0, 0
	v_cmp_eq_u64_e64 s[40:41], v[35:36], v[37:38]
	v_mov_b32_e32 v2, v1
	v_mov_b32_e32 v1, v0
	s_and_saveexec_b64 s[50:51], s[40:41]
; %bb.4295:                             ;   in Loop: Header=BB4_4111 Depth=3
	v_bfe_u32 v1, v0, 21, 1
	v_add_co_u32_e64 v1, s[40:41], v0, v1
	v_add_co_u32_e64 v1, s[40:41], -1, v1
; %bb.4296:                             ;   in Loop: Header=BB4_4111 Depth=3
	s_or_b64 exec, exec, s[50:51]
	v_add_u32_e32 v2, 0xffffff81, v31
	v_mov_b32_e32 v31, 0xffffff82
	v_cndmask_b32_e32 v2, v2, v31, vcc
	v_lshrrev_b32_e32 v31, 23, v0
	v_add3_u32 v34, v34, v2, v31
	v_add_u32_e32 v31, 14, v34
	v_and_b32_e32 v1, 0x1fffff, v1
	v_add_u32_e32 v60, v1, v0
	v_cmp_ne_u32_e32 vcc, 0, v31
                                        ; implicit-def: $vgpr0_vgpr1
                                        ; implicit-def: $vgpr2
	s_and_saveexec_b64 s[40:41], vcc
	s_xor_b64 s[40:41], exec, s[40:41]
; %bb.4297:                             ;   in Loop: Header=BB4_4111 Depth=3
	v_cmp_lt_u64_e32 vcc, s[88:89], v[60:61]
	v_add_u32_e32 v0, 15, v34
	v_cndmask_b32_e32 v2, v31, v0, vcc
	v_cndmask_b32_e64 v0, 0, 1, vcc
	v_lshrrev_b64 v[0:1], v0, v[60:61]
; %bb.4298:                             ;   in Loop: Header=BB4_4111 Depth=3
	s_andn2_saveexec_b64 s[40:41], s[40:41]
; %bb.4299:                             ;   in Loop: Header=BB4_4111 Depth=3
	v_mov_b32_e32 v0, v60
	v_mov_b32_e32 v1, v61
	v_bfe_u32 v2, v60, 23, 1
; %bb.4300:                             ;   in Loop: Header=BB4_4111 Depth=3
	s_or_b64 exec, exec, s[40:41]
	v_lshrrev_b64 v[0:1], 21, v[0:1]
	v_cmp_gt_i32_e32 vcc, 32, v2
	v_cndmask_b32_e32 v1, 0, v1, vcc
	v_cndmask_b32_e32 v0, 3, v0, vcc
	v_cmp_eq_u64_e64 s[40:41], 0, v[0:1]
	v_min_i32_e32 v1, 31, v2
	v_lshlrev_b32_e32 v1, 2, v1
	v_cmp_eq_u32_e32 vcc, 0, v2
	v_and_b32_e32 v1, 0xfc, v1
	v_and_or_b32 v0, v0, 3, v1
	s_and_b64 s[40:41], vcc, s[40:41]
	v_cndmask_b32_e64 v0, v0, 0, s[40:41]
	v_or_b32_e32 v31, v0, v3
.LBB4_4301:                             ;   in Loop: Header=BB4_4111 Depth=3
	s_or_b64 exec, exec, s[48:49]
                                        ; implicit-def: $vgpr3
.LBB4_4302:                             ;   in Loop: Header=BB4_4111 Depth=3
	s_andn2_saveexec_b64 s[40:41], s[38:39]
; %bb.4303:                             ;   in Loop: Header=BB4_4111 Depth=3
	v_or_b32_e32 v31, 0x7b, v3
; %bb.4304:                             ;   in Loop: Header=BB4_4111 Depth=3
	s_or_b64 exec, exec, s[40:41]
                                        ; implicit-def: $vgpr0
.LBB4_4305:                             ;   in Loop: Header=BB4_4111 Depth=3
	s_andn2_saveexec_b64 s[40:41], s[42:43]
	s_cbranch_execz .LBB4_4311
; %bb.4306:                             ;   in Loop: Header=BB4_4111 Depth=3
	v_cmp_ne_u64_e32 vcc, 0, v[60:61]
                                        ; implicit-def: $vgpr31
	s_and_saveexec_b64 s[42:43], vcc
	s_xor_b64 s[42:43], exec, s[42:43]
; %bb.4307:                             ;   in Loop: Header=BB4_4111 Depth=3
	v_or_b32_sdwa v31, v0, s44 dst_sel:DWORD dst_unused:UNUSED_PAD src0_sel:BYTE_3 src1_sel:DWORD
                                        ; implicit-def: $vgpr0
; %bb.4308:                             ;   in Loop: Header=BB4_4111 Depth=3
	s_andn2_saveexec_b64 s[42:43], s[42:43]
; %bb.4309:                             ;   in Loop: Header=BB4_4111 Depth=3
	v_cmp_lt_i32_e32 vcc, -1, v0
	v_bfrev_b32_e32 v0, 0.5
	v_mov_b32_e32 v1, 0x7c
	v_cndmask_b32_e32 v31, v0, v1, vcc
; %bb.4310:                             ;   in Loop: Header=BB4_4111 Depth=3
	s_or_b64 exec, exec, s[42:43]
.LBB4_4311:                             ;   in Loop: Header=BB4_4111 Depth=3
	s_or_b64 exec, exec, s[40:41]
	v_lshrrev_b32_e32 v0, 16, v13
	v_cmp_ne_u16_sdwa s[42:43], v0, v61 src0_sel:BYTE_0 src1_sel:DWORD
	v_mov_b32_e32 v1, 0
	s_and_saveexec_b64 s[40:41], s[42:43]
	s_cbranch_execz .LBB4_4319
; %bb.4312:                             ;   in Loop: Header=BB4_4111 Depth=3
	v_cmp_ne_u16_sdwa vcc, v0, s81 src0_sel:BYTE_0 src1_sel:DWORD
	v_bfrev_b32_e32 v1, 1
	s_and_saveexec_b64 s[42:43], vcc
	s_cbranch_execz .LBB4_4318
; %bb.4313:                             ;   in Loop: Header=BB4_4111 Depth=3
	v_and_b32_e32 v1, 0x7c0000, v13
	v_bfe_u32 v2, v13, 16, 2
	v_cmp_ne_u32_e32 vcc, s45, v1
                                        ; implicit-def: $vgpr1
	s_and_saveexec_b64 s[38:39], vcc
	s_xor_b64 s[38:39], exec, s[38:39]
	s_cbranch_execz .LBB4_4315
; %bb.4314:                             ;   in Loop: Header=BB4_4111 Depth=3
	v_ffbh_u32_e32 v1, v2
	v_min_u32_e32 v34, 32, v1
	v_subrev_u32_e32 v1, 29, v34
	v_lshlrev_b64 v[0:1], v1, v[0:1]
	v_bfe_u32 v3, v13, 18, 5
	v_and_b32_e32 v0, 3, v0
	v_cmp_eq_u32_e32 vcc, 0, v3
	v_sub_u32_e32 v1, 30, v34
	v_cndmask_b32_e32 v0, v2, v0, vcc
	v_lshlrev_b32_e32 v2, 8, v13
	v_cndmask_b32_e32 v1, v3, v1, vcc
	v_and_b32_e32 v2, 0x80000000, v2
	v_lshl_add_u32 v1, v1, 23, v2
	v_lshl_or_b32 v0, v0, 21, v1
	v_add_u32_e32 v1, 0x38000000, v0
                                        ; implicit-def: $vgpr2
                                        ; implicit-def: $vgpr0
.LBB4_4315:                             ;   in Loop: Header=BB4_4111 Depth=3
	s_andn2_saveexec_b64 s[38:39], s[38:39]
; %bb.4316:                             ;   in Loop: Header=BB4_4111 Depth=3
	v_mov_b32_e32 v1, -1
	v_cmp_gt_i16_sdwa vcc, sext(v0), v1 src0_sel:BYTE_0 src1_sel:DWORD
	v_mov_b32_e32 v0, 0xff800000
	v_cndmask_b32_e32 v0, v0, v47, vcc
	v_cmp_eq_u32_e32 vcc, 0, v2
	v_mov_b32_e32 v1, 0x7f800001
	v_cndmask_b32_e32 v1, v1, v0, vcc
; %bb.4317:                             ;   in Loop: Header=BB4_4111 Depth=3
	s_or_b64 exec, exec, s[38:39]
.LBB4_4318:                             ;   in Loop: Header=BB4_4111 Depth=3
	s_or_b64 exec, exec, s[42:43]
.LBB4_4319:                             ;   in Loop: Header=BB4_4111 Depth=3
	s_or_b64 exec, exec, s[40:41]
	v_lshrrev_b32_e32 v0, 16, v9
	v_cmp_gt_i16_sdwa s[42:43], v0, s44 src0_sel:BYTE_0 src1_sel:DWORD
	s_mov_b64 s[40:41], 0
	s_and_saveexec_b64 vcc, s[42:43]
	s_xor_b64 s[42:43], exec, vcc
	s_cbranch_execz .LBB4_4646
; %bb.4320:                             ;   in Loop: Header=BB4_4111 Depth=3
	v_cmp_eq_u16_sdwa s[38:39], v0, s81 src0_sel:BYTE_0 src1_sel:DWORD
	s_mov_b64 s[40:41], -1
	s_and_saveexec_b64 vcc, s[38:39]
; %bb.4321:                             ;   in Loop: Header=BB4_4111 Depth=3
	s_xor_b64 s[40:41], exec, -1
; %bb.4322:                             ;   in Loop: Header=BB4_4111 Depth=3
	s_or_b64 exec, exec, vcc
	s_and_b64 s[40:41], s[40:41], exec
	s_or_saveexec_b64 s[42:43], s[42:43]
	v_bfrev_b32_e32 v2, 1
	s_xor_b64 exec, exec, s[42:43]
	s_cbranch_execnz .LBB4_4647
.LBB4_4323:                             ;   in Loop: Header=BB4_4111 Depth=3
	s_or_b64 exec, exec, s[42:43]
	s_and_saveexec_b64 s[38:39], s[40:41]
	s_cbranch_execz .LBB4_4325
.LBB4_4324:                             ;   in Loop: Header=BB4_4111 Depth=3
	v_and_b32_e32 v34, 3, v0
	v_and_b32_e32 v2, 0x7c0000, v9
	v_cmp_eq_u32_e32 vcc, s45, v2
	v_ffbh_u32_e32 v2, v34
	v_min_u32_e32 v36, 32, v2
	v_subrev_u32_e32 v2, 29, v36
	v_bfe_u32 v35, v9, 18, 5
	v_lshlrev_b64 v[2:3], v2, v[0:1]
	v_cmp_eq_u32_e64 s[40:41], 0, v35
	v_sub_u32_e32 v3, 30, v36
	v_cndmask_b32_e64 v3, v35, v3, s[40:41]
	v_lshlrev_b32_e32 v35, 24, v0
	v_and_b32_e32 v2, 3, v2
	v_and_b32_e32 v35, 0x80000000, v35
	v_cndmask_b32_e64 v2, v34, v2, s[40:41]
	v_lshl_add_u32 v3, v3, 23, v35
	v_lshl_or_b32 v2, v2, 21, v3
	v_mov_b32_e32 v3, -1
	v_cmp_gt_i16_sdwa s[42:43], sext(v0), v3 src0_sel:BYTE_0 src1_sel:DWORD
	v_mov_b32_e32 v0, 0xff800000
	v_cmp_eq_u32_e64 s[40:41], 0, v34
	v_cndmask_b32_e64 v0, v0, v47, s[42:43]
	v_mov_b32_e32 v3, 0x7f800001
	v_add_u32_e32 v2, 0x38000000, v2
	v_cndmask_b32_e64 v0, v3, v0, s[40:41]
	v_cndmask_b32_e32 v2, v2, v0, vcc
.LBB4_4325:                             ;   in Loop: Header=BB4_4111 Depth=3
	s_or_b64 exec, exec, s[38:39]
	v_mul_f32_e32 v0, v1, v2
	v_and_b32_e32 v1, 0x7f800000, v0
	v_mov_b32_e32 v2, v61
	v_cmp_ne_u64_e32 vcc, s[62:63], v[1:2]
	v_and_b32_e32 v60, 0x7fffff, v0
                                        ; implicit-def: $vgpr34
	s_and_saveexec_b64 s[40:41], vcc
	s_xor_b64 s[42:43], exec, s[40:41]
	s_cbranch_execz .LBB4_4339
; %bb.4326:                             ;   in Loop: Header=BB4_4111 Depth=3
	v_and_b32_e32 v1, 0x7fffffff, v0
	v_mov_b32_e32 v2, v61
	v_cmp_gt_u64_e32 vcc, s[78:79], v[1:2]
	v_and_b32_sdwa v3, v0, s81 dst_sel:DWORD dst_unused:UNUSED_PAD src0_sel:BYTE_3 src1_sel:DWORD
                                        ; implicit-def: $vgpr34
	s_and_saveexec_b64 s[40:41], vcc
	s_xor_b64 s[38:39], exec, s[40:41]
	s_cbranch_execz .LBB4_4336
; %bb.4327:                             ;   in Loop: Header=BB4_4111 Depth=3
	v_mov_b32_e32 v34, 0
	v_cmp_ne_u32_e32 vcc, 0, v0
	s_and_saveexec_b64 s[48:49], vcc
	s_cbranch_execz .LBB4_4335
; %bb.4328:                             ;   in Loop: Header=BB4_4111 Depth=3
	v_bfe_u32 v34, v0, 23, 8
	v_cmp_gt_u32_e64 s[40:41], s47, v34
	v_sub_u32_e32 v0, 0x71, v34
	v_cmp_eq_u32_e32 vcc, 0, v34
	v_cndmask_b32_e64 v0, 0, v0, s[40:41]
	v_mov_b32_e32 v2, 0x70
	v_cndmask_b32_e32 v35, v0, v2, vcc
	v_add_u32_e32 v2, 21, v35
	v_or_b32_e32 v1, 0x800000, v60
	v_lshlrev_b64 v[36:37], v2, -1
	v_cndmask_b32_e32 v0, v1, v60, vcc
	v_mov_b32_e32 v1, v61
	v_add_u32_e32 v2, 20, v35
	v_bfi_b32 v36, v36, 0, v0
	v_lshlrev_b64 v[38:39], v2, 1
	v_lshrrev_b64 v[0:1], v35, v[0:1]
	v_bfi_b32 v37, v37, 0, 0
	v_cmp_eq_u64_e64 s[40:41], v[36:37], v[38:39]
	v_mov_b32_e32 v2, v1
	v_mov_b32_e32 v1, v0
	s_and_saveexec_b64 s[50:51], s[40:41]
; %bb.4329:                             ;   in Loop: Header=BB4_4111 Depth=3
	v_bfe_u32 v1, v0, 21, 1
	v_add_co_u32_e64 v1, s[40:41], v0, v1
	v_add_co_u32_e64 v1, s[40:41], -1, v1
; %bb.4330:                             ;   in Loop: Header=BB4_4111 Depth=3
	s_or_b64 exec, exec, s[50:51]
	v_add_u32_e32 v2, 0xffffff81, v34
	v_mov_b32_e32 v34, 0xffffff82
	v_cndmask_b32_e32 v2, v2, v34, vcc
	v_lshrrev_b32_e32 v34, 23, v0
	v_add3_u32 v35, v35, v2, v34
	v_add_u32_e32 v34, 14, v35
	v_and_b32_e32 v1, 0x1fffff, v1
	v_add_u32_e32 v60, v1, v0
	v_cmp_ne_u32_e32 vcc, 0, v34
                                        ; implicit-def: $vgpr0_vgpr1
                                        ; implicit-def: $vgpr2
	s_and_saveexec_b64 s[40:41], vcc
	s_xor_b64 s[40:41], exec, s[40:41]
; %bb.4331:                             ;   in Loop: Header=BB4_4111 Depth=3
	v_cmp_lt_u64_e32 vcc, s[88:89], v[60:61]
	v_add_u32_e32 v0, 15, v35
	v_cndmask_b32_e32 v2, v34, v0, vcc
	v_cndmask_b32_e64 v0, 0, 1, vcc
	v_lshrrev_b64 v[0:1], v0, v[60:61]
; %bb.4332:                             ;   in Loop: Header=BB4_4111 Depth=3
	s_andn2_saveexec_b64 s[40:41], s[40:41]
; %bb.4333:                             ;   in Loop: Header=BB4_4111 Depth=3
	v_mov_b32_e32 v0, v60
	v_mov_b32_e32 v1, v61
	v_bfe_u32 v2, v60, 23, 1
; %bb.4334:                             ;   in Loop: Header=BB4_4111 Depth=3
	s_or_b64 exec, exec, s[40:41]
	v_lshrrev_b64 v[0:1], 21, v[0:1]
	v_cmp_gt_i32_e32 vcc, 32, v2
	v_cndmask_b32_e32 v1, 0, v1, vcc
	v_cndmask_b32_e32 v0, 3, v0, vcc
	v_cmp_eq_u64_e64 s[40:41], 0, v[0:1]
	v_min_i32_e32 v1, 31, v2
	v_lshlrev_b32_e32 v1, 2, v1
	v_cmp_eq_u32_e32 vcc, 0, v2
	v_and_b32_e32 v1, 0xfc, v1
	v_and_or_b32 v0, v0, 3, v1
	s_and_b64 s[40:41], vcc, s[40:41]
	v_cndmask_b32_e64 v0, v0, 0, s[40:41]
	v_or_b32_e32 v34, v0, v3
.LBB4_4335:                             ;   in Loop: Header=BB4_4111 Depth=3
	s_or_b64 exec, exec, s[48:49]
                                        ; implicit-def: $vgpr3
.LBB4_4336:                             ;   in Loop: Header=BB4_4111 Depth=3
	s_andn2_saveexec_b64 s[40:41], s[38:39]
; %bb.4337:                             ;   in Loop: Header=BB4_4111 Depth=3
	v_or_b32_e32 v34, 0x7b, v3
; %bb.4338:                             ;   in Loop: Header=BB4_4111 Depth=3
	s_or_b64 exec, exec, s[40:41]
                                        ; implicit-def: $vgpr0
.LBB4_4339:                             ;   in Loop: Header=BB4_4111 Depth=3
	s_andn2_saveexec_b64 s[40:41], s[42:43]
	s_cbranch_execz .LBB4_4345
; %bb.4340:                             ;   in Loop: Header=BB4_4111 Depth=3
	v_cmp_ne_u64_e32 vcc, 0, v[60:61]
                                        ; implicit-def: $vgpr34
	s_and_saveexec_b64 s[42:43], vcc
	s_xor_b64 s[42:43], exec, s[42:43]
; %bb.4341:                             ;   in Loop: Header=BB4_4111 Depth=3
	v_or_b32_sdwa v34, v0, s44 dst_sel:DWORD dst_unused:UNUSED_PAD src0_sel:BYTE_3 src1_sel:DWORD
                                        ; implicit-def: $vgpr0
; %bb.4342:                             ;   in Loop: Header=BB4_4111 Depth=3
	s_andn2_saveexec_b64 s[42:43], s[42:43]
; %bb.4343:                             ;   in Loop: Header=BB4_4111 Depth=3
	v_cmp_lt_i32_e32 vcc, -1, v0
	v_bfrev_b32_e32 v0, 0.5
	v_mov_b32_e32 v1, 0x7c
	v_cndmask_b32_e32 v34, v0, v1, vcc
; %bb.4344:                             ;   in Loop: Header=BB4_4111 Depth=3
	s_or_b64 exec, exec, s[42:43]
.LBB4_4345:                             ;   in Loop: Header=BB4_4111 Depth=3
	s_or_b64 exec, exec, s[40:41]
	v_cmp_lt_u64_e32 vcc, s[56:57], v[12:13]
	v_mov_b32_e32 v1, 0
	s_and_saveexec_b64 s[40:41], vcc
	s_cbranch_execz .LBB4_4353
; %bb.4346:                             ;   in Loop: Header=BB4_4111 Depth=3
	v_lshrrev_b32_e32 v0, 24, v13
	v_cmp_ne_u32_e32 vcc, s81, v0
	v_bfrev_b32_e32 v1, 1
	s_and_saveexec_b64 s[42:43], vcc
	s_cbranch_execz .LBB4_4352
; %bb.4347:                             ;   in Loop: Header=BB4_4111 Depth=3
	v_and_b32_e32 v1, 0x7c000000, v13
	v_bfe_u32 v2, v13, 24, 2
	v_cmp_ne_u32_e32 vcc, s82, v1
                                        ; implicit-def: $vgpr1
	s_and_saveexec_b64 s[38:39], vcc
	s_xor_b64 s[38:39], exec, s[38:39]
	s_cbranch_execz .LBB4_4349
; %bb.4348:                             ;   in Loop: Header=BB4_4111 Depth=3
	v_ffbh_u32_e32 v1, v2
	v_min_u32_e32 v35, 32, v1
	v_subrev_u32_e32 v1, 29, v35
	v_lshlrev_b64 v[0:1], v1, v[0:1]
	v_bfe_u32 v3, v13, 26, 5
	v_sub_u32_e32 v1, 30, v35
	v_and_b32_e32 v0, 3, v0
	v_cmp_eq_u32_e32 vcc, 0, v3
	v_cndmask_b32_e32 v1, v3, v1, vcc
	v_cndmask_b32_e32 v0, v2, v0, vcc
	v_and_b32_e32 v2, 0x80000000, v13
	v_lshl_add_u32 v1, v1, 23, v2
	v_lshl_or_b32 v0, v0, 21, v1
	v_add_u32_e32 v1, 0x38000000, v0
                                        ; implicit-def: $vgpr2
.LBB4_4349:                             ;   in Loop: Header=BB4_4111 Depth=3
	s_andn2_saveexec_b64 s[38:39], s[38:39]
; %bb.4350:                             ;   in Loop: Header=BB4_4111 Depth=3
	v_cmp_lt_i64_e32 vcc, -1, v[12:13]
	v_mov_b32_e32 v0, 0xff800000
	v_cndmask_b32_e32 v0, v0, v47, vcc
	v_cmp_eq_u32_e32 vcc, 0, v2
	v_mov_b32_e32 v1, 0x7f800001
	v_cndmask_b32_e32 v1, v1, v0, vcc
; %bb.4351:                             ;   in Loop: Header=BB4_4111 Depth=3
	s_or_b64 exec, exec, s[38:39]
.LBB4_4352:                             ;   in Loop: Header=BB4_4111 Depth=3
	s_or_b64 exec, exec, s[42:43]
.LBB4_4353:                             ;   in Loop: Header=BB4_4111 Depth=3
	s_or_b64 exec, exec, s[40:41]
	v_bfe_u32 v12, v9, 24, 2
	v_and_b32_e32 v2, 0x7c000000, v9
	v_cmp_eq_u32_e32 vcc, s82, v2
	v_ffbh_u32_e32 v2, v12
	v_min_u32_e32 v35, 32, v2
	v_lshrrev_b32_e32 v0, 24, v9
	v_subrev_u32_e32 v2, 29, v35
	v_bfe_u32 v13, v9, 26, 5
	v_lshlrev_b64 v[2:3], v2, v[0:1]
	v_cmp_eq_u32_e64 s[40:41], 0, v13
	v_sub_u32_e32 v3, 30, v35
	v_and_b32_e32 v2, 3, v2
	v_cndmask_b32_e64 v3, v13, v3, s[40:41]
	v_and_b32_e32 v13, 0x80000000, v9
	v_cndmask_b32_e64 v2, v12, v2, s[40:41]
	v_lshl_add_u32 v3, v3, 23, v13
	v_cmp_lt_i64_e64 s[42:43], -1, v[8:9]
	v_lshl_or_b32 v2, v2, 21, v3
	v_mov_b32_e32 v3, 0xff800000
	v_cmp_eq_u32_e64 s[40:41], 0, v12
	v_cndmask_b32_e64 v3, v3, v47, s[42:43]
	v_mov_b32_e32 v12, 0x7f800001
	v_add_u32_e32 v2, 0x38000000, v2
	v_cndmask_b32_e64 v3, v12, v3, s[40:41]
	v_cndmask_b32_e32 v2, v2, v3, vcc
	v_cmp_ne_u32_e32 vcc, s81, v0
	v_bfrev_b32_e32 v0, 1
	v_cndmask_b32_e32 v0, v0, v2, vcc
	v_cmp_lt_u64_e32 vcc, s[56:57], v[8:9]
	v_mov_b32_e32 v2, v61
	v_cndmask_b32_e32 v0, 0, v0, vcc
	v_mul_f32_e32 v0, v0, v1
	v_and_b32_e32 v1, 0x7f800000, v0
	v_cmp_ne_u64_e32 vcc, s[62:63], v[1:2]
	v_and_b32_e32 v60, 0x7fffff, v0
                                        ; implicit-def: $vgpr8
	s_and_saveexec_b64 s[40:41], vcc
	s_xor_b64 s[42:43], exec, s[40:41]
	s_cbranch_execz .LBB4_4367
; %bb.4354:                             ;   in Loop: Header=BB4_4111 Depth=3
	v_and_b32_e32 v1, 0x7fffffff, v0
	v_mov_b32_e32 v2, v61
	v_cmp_gt_u64_e32 vcc, s[78:79], v[1:2]
	v_and_b32_sdwa v3, v0, s81 dst_sel:DWORD dst_unused:UNUSED_PAD src0_sel:BYTE_3 src1_sel:DWORD
                                        ; implicit-def: $vgpr8
	s_and_saveexec_b64 s[40:41], vcc
	s_xor_b64 s[38:39], exec, s[40:41]
	s_cbranch_execz .LBB4_4364
; %bb.4355:                             ;   in Loop: Header=BB4_4111 Depth=3
	v_mov_b32_e32 v8, 0
	v_cmp_ne_u32_e32 vcc, 0, v0
	s_and_saveexec_b64 s[48:49], vcc
	s_cbranch_execz .LBB4_4363
; %bb.4356:                             ;   in Loop: Header=BB4_4111 Depth=3
	v_bfe_u32 v8, v0, 23, 8
	v_cmp_gt_u32_e64 s[40:41], s47, v8
	v_sub_u32_e32 v0, 0x71, v8
	v_cmp_eq_u32_e32 vcc, 0, v8
	v_cndmask_b32_e64 v0, 0, v0, s[40:41]
	v_mov_b32_e32 v2, 0x70
	v_cndmask_b32_e32 v9, v0, v2, vcc
	v_add_u32_e32 v2, 21, v9
	v_or_b32_e32 v1, 0x800000, v60
	v_lshlrev_b64 v[12:13], v2, -1
	v_cndmask_b32_e32 v0, v1, v60, vcc
	v_mov_b32_e32 v1, v61
	v_add_u32_e32 v2, 20, v9
	v_bfi_b32 v12, v12, 0, v0
	v_lshlrev_b64 v[35:36], v2, 1
	v_lshrrev_b64 v[0:1], v9, v[0:1]
	v_bfi_b32 v13, v13, 0, 0
	v_cmp_eq_u64_e64 s[40:41], v[12:13], v[35:36]
	v_mov_b32_e32 v2, v1
	v_mov_b32_e32 v1, v0
	s_and_saveexec_b64 s[50:51], s[40:41]
; %bb.4357:                             ;   in Loop: Header=BB4_4111 Depth=3
	v_bfe_u32 v1, v0, 21, 1
	v_add_co_u32_e64 v1, s[40:41], v0, v1
	v_add_co_u32_e64 v1, s[40:41], -1, v1
; %bb.4358:                             ;   in Loop: Header=BB4_4111 Depth=3
	s_or_b64 exec, exec, s[50:51]
	v_add_u32_e32 v2, 0xffffff81, v8
	v_mov_b32_e32 v8, 0xffffff82
	v_cndmask_b32_e32 v2, v2, v8, vcc
	v_lshrrev_b32_e32 v8, 23, v0
	v_add3_u32 v9, v9, v2, v8
	v_add_u32_e32 v8, 14, v9
	v_and_b32_e32 v1, 0x1fffff, v1
	v_add_u32_e32 v60, v1, v0
	v_cmp_ne_u32_e32 vcc, 0, v8
                                        ; implicit-def: $vgpr0_vgpr1
                                        ; implicit-def: $vgpr2
	s_and_saveexec_b64 s[40:41], vcc
	s_xor_b64 s[40:41], exec, s[40:41]
; %bb.4359:                             ;   in Loop: Header=BB4_4111 Depth=3
	v_cmp_lt_u64_e32 vcc, s[88:89], v[60:61]
	v_add_u32_e32 v0, 15, v9
	v_cndmask_b32_e32 v2, v8, v0, vcc
	v_cndmask_b32_e64 v0, 0, 1, vcc
	v_lshrrev_b64 v[0:1], v0, v[60:61]
; %bb.4360:                             ;   in Loop: Header=BB4_4111 Depth=3
	s_andn2_saveexec_b64 s[40:41], s[40:41]
; %bb.4361:                             ;   in Loop: Header=BB4_4111 Depth=3
	v_mov_b32_e32 v0, v60
	v_mov_b32_e32 v1, v61
	v_bfe_u32 v2, v60, 23, 1
; %bb.4362:                             ;   in Loop: Header=BB4_4111 Depth=3
	s_or_b64 exec, exec, s[40:41]
	v_lshrrev_b64 v[0:1], 21, v[0:1]
	v_cmp_gt_i32_e32 vcc, 32, v2
	v_cndmask_b32_e32 v1, 0, v1, vcc
	v_cndmask_b32_e32 v0, 3, v0, vcc
	v_cmp_eq_u64_e64 s[40:41], 0, v[0:1]
	v_min_i32_e32 v1, 31, v2
	v_lshlrev_b32_e32 v1, 2, v1
	v_cmp_eq_u32_e32 vcc, 0, v2
	v_and_b32_e32 v1, 0xfc, v1
	v_and_or_b32 v0, v0, 3, v1
	s_and_b64 s[40:41], vcc, s[40:41]
	v_cndmask_b32_e64 v0, v0, 0, s[40:41]
	v_or_b32_e32 v8, v0, v3
.LBB4_4363:                             ;   in Loop: Header=BB4_4111 Depth=3
	s_or_b64 exec, exec, s[48:49]
                                        ; implicit-def: $vgpr3
.LBB4_4364:                             ;   in Loop: Header=BB4_4111 Depth=3
	s_andn2_saveexec_b64 s[40:41], s[38:39]
; %bb.4365:                             ;   in Loop: Header=BB4_4111 Depth=3
	v_or_b32_e32 v8, 0x7b, v3
; %bb.4366:                             ;   in Loop: Header=BB4_4111 Depth=3
	s_or_b64 exec, exec, s[40:41]
                                        ; implicit-def: $vgpr0
.LBB4_4367:                             ;   in Loop: Header=BB4_4111 Depth=3
	s_andn2_saveexec_b64 s[40:41], s[42:43]
	s_cbranch_execz .LBB4_4373
; %bb.4368:                             ;   in Loop: Header=BB4_4111 Depth=3
	v_cmp_ne_u64_e32 vcc, 0, v[60:61]
                                        ; implicit-def: $vgpr8
	s_and_saveexec_b64 s[42:43], vcc
	s_xor_b64 s[42:43], exec, s[42:43]
; %bb.4369:                             ;   in Loop: Header=BB4_4111 Depth=3
	v_or_b32_sdwa v8, v0, s44 dst_sel:DWORD dst_unused:UNUSED_PAD src0_sel:BYTE_3 src1_sel:DWORD
                                        ; implicit-def: $vgpr0
; %bb.4370:                             ;   in Loop: Header=BB4_4111 Depth=3
	s_andn2_saveexec_b64 s[42:43], s[42:43]
; %bb.4371:                             ;   in Loop: Header=BB4_4111 Depth=3
	v_cmp_lt_i32_e32 vcc, -1, v0
	v_bfrev_b32_e32 v0, 0.5
	v_mov_b32_e32 v1, 0x7c
	v_cndmask_b32_e32 v8, v0, v1, vcc
; %bb.4372:                             ;   in Loop: Header=BB4_4111 Depth=3
	s_or_b64 exec, exec, s[42:43]
.LBB4_4373:                             ;   in Loop: Header=BB4_4111 Depth=3
	s_or_b64 exec, exec, s[40:41]
	v_cmp_ne_u16_sdwa s[42:43], v14, v61 src0_sel:BYTE_0 src1_sel:DWORD
	v_mov_b32_e32 v0, 0
	s_and_saveexec_b64 s[40:41], s[42:43]
	s_cbranch_execz .LBB4_4381
; %bb.4374:                             ;   in Loop: Header=BB4_4111 Depth=3
	v_cmp_ne_u16_sdwa vcc, sext(v14), s70 src0_sel:BYTE_0 src1_sel:DWORD
	v_bfrev_b32_e32 v0, 1
	s_and_saveexec_b64 s[42:43], vcc
	s_cbranch_execz .LBB4_4380
; %bb.4375:                             ;   in Loop: Header=BB4_4111 Depth=3
	v_and_b32_e32 v0, 0x7c, v14
	v_and_b32_e32 v1, 3, v14
	v_cmp_ne_u32_e32 vcc, s71, v0
                                        ; implicit-def: $vgpr0
	s_and_saveexec_b64 s[38:39], vcc
	s_xor_b64 s[38:39], exec, s[38:39]
	s_cbranch_execz .LBB4_4377
; %bb.4376:                             ;   in Loop: Header=BB4_4111 Depth=3
	v_ffbh_u32_e32 v2, v1
	v_min_u32_e32 v9, 32, v2
	v_subrev_u32_e32 v2, 29, v9
	v_lshlrev_b64 v[2:3], v2, v[14:15]
	v_bfe_u32 v0, v14, 2, 5
	v_and_b32_e32 v2, 3, v2
	v_cmp_eq_u32_e32 vcc, 0, v0
	v_sub_u32_e32 v3, 30, v9
	v_cndmask_b32_e32 v1, v1, v2, vcc
	v_lshlrev_b32_e32 v2, 24, v14
	v_cndmask_b32_e32 v0, v0, v3, vcc
	v_and_b32_e32 v2, 0x80000000, v2
	v_lshl_add_u32 v0, v0, 23, v2
	v_lshl_or_b32 v0, v1, 21, v0
	v_add_u32_e32 v0, 0x38000000, v0
                                        ; implicit-def: $vgpr1
.LBB4_4377:                             ;   in Loop: Header=BB4_4111 Depth=3
	s_andn2_saveexec_b64 s[38:39], s[38:39]
; %bb.4378:                             ;   in Loop: Header=BB4_4111 Depth=3
	v_mov_b32_e32 v0, -1
	v_cmp_gt_i16_sdwa vcc, sext(v14), v0 src0_sel:BYTE_0 src1_sel:DWORD
	v_mov_b32_e32 v0, 0xff800000
	v_cndmask_b32_e32 v0, v0, v47, vcc
	v_cmp_eq_u32_e32 vcc, 0, v1
	v_mov_b32_e32 v1, 0x7f800001
	v_cndmask_b32_e32 v0, v1, v0, vcc
; %bb.4379:                             ;   in Loop: Header=BB4_4111 Depth=3
	s_or_b64 exec, exec, s[38:39]
.LBB4_4380:                             ;   in Loop: Header=BB4_4111 Depth=3
	s_or_b64 exec, exec, s[42:43]
.LBB4_4381:                             ;   in Loop: Header=BB4_4111 Depth=3
	s_or_b64 exec, exec, s[40:41]
	v_cmp_gt_i16_sdwa s[42:43], v10, s44 src0_sel:BYTE_0 src1_sel:DWORD
	s_mov_b64 s[40:41], 0
	s_and_saveexec_b64 vcc, s[42:43]
	s_xor_b64 s[42:43], exec, vcc
	s_cbranch_execz .LBB4_4648
; %bb.4382:                             ;   in Loop: Header=BB4_4111 Depth=3
	v_cmp_eq_u16_sdwa s[38:39], v10, s81 src0_sel:BYTE_0 src1_sel:DWORD
	s_mov_b64 s[40:41], -1
	s_and_saveexec_b64 vcc, s[38:39]
; %bb.4383:                             ;   in Loop: Header=BB4_4111 Depth=3
	s_xor_b64 s[40:41], exec, -1
; %bb.4384:                             ;   in Loop: Header=BB4_4111 Depth=3
	s_or_b64 exec, exec, vcc
	s_and_b64 s[40:41], s[40:41], exec
	s_or_saveexec_b64 s[42:43], s[42:43]
	v_bfrev_b32_e32 v1, 1
	s_xor_b64 exec, exec, s[42:43]
	s_cbranch_execnz .LBB4_4649
.LBB4_4385:                             ;   in Loop: Header=BB4_4111 Depth=3
	s_or_b64 exec, exec, s[42:43]
	s_and_saveexec_b64 s[38:39], s[40:41]
	s_cbranch_execz .LBB4_4387
.LBB4_4386:                             ;   in Loop: Header=BB4_4111 Depth=3
	v_and_b32_e32 v3, 3, v10
	v_and_b32_e32 v1, 0x7c, v10
	v_cmp_eq_u32_e32 vcc, s71, v1
	v_ffbh_u32_e32 v1, v3
	v_min_u32_e32 v12, 32, v1
	v_subrev_u32_e32 v1, 29, v12
	v_bfe_u32 v9, v10, 2, 5
	v_lshlrev_b64 v[1:2], v1, v[10:11]
	v_cmp_eq_u32_e64 s[40:41], 0, v9
	v_sub_u32_e32 v2, 30, v12
	v_cndmask_b32_e64 v2, v9, v2, s[40:41]
	v_lshlrev_b32_e32 v9, 24, v10
	v_and_b32_e32 v1, 3, v1
	v_and_b32_e32 v9, 0x80000000, v9
	v_cndmask_b32_e64 v1, v3, v1, s[40:41]
	v_lshl_add_u32 v2, v2, 23, v9
	v_lshl_or_b32 v1, v1, 21, v2
	v_mov_b32_e32 v2, -1
	v_cmp_gt_i16_sdwa s[42:43], sext(v10), v2 src0_sel:BYTE_0 src1_sel:DWORD
	v_mov_b32_e32 v2, 0xff800000
	v_cmp_eq_u32_e64 s[40:41], 0, v3
	v_cndmask_b32_e64 v2, v2, v47, s[42:43]
	v_mov_b32_e32 v3, 0x7f800001
	v_add_u32_e32 v1, 0x38000000, v1
	v_cndmask_b32_e64 v2, v3, v2, s[40:41]
	v_cndmask_b32_e32 v1, v1, v2, vcc
.LBB4_4387:                             ;   in Loop: Header=BB4_4111 Depth=3
	s_or_b64 exec, exec, s[38:39]
	v_mul_f32_e32 v0, v0, v1
	v_and_b32_e32 v1, 0x7f800000, v0
	v_mov_b32_e32 v2, v61
	v_cmp_ne_u64_e32 vcc, s[62:63], v[1:2]
	v_and_b32_e32 v60, 0x7fffff, v0
                                        ; implicit-def: $vgpr12
	s_and_saveexec_b64 s[40:41], vcc
	s_xor_b64 s[42:43], exec, s[40:41]
	s_cbranch_execz .LBB4_4401
; %bb.4388:                             ;   in Loop: Header=BB4_4111 Depth=3
	v_and_b32_e32 v1, 0x7fffffff, v0
	v_mov_b32_e32 v2, v61
	v_cmp_gt_u64_e32 vcc, s[78:79], v[1:2]
	v_and_b32_sdwa v3, v0, s81 dst_sel:DWORD dst_unused:UNUSED_PAD src0_sel:BYTE_3 src1_sel:DWORD
                                        ; implicit-def: $vgpr12
	s_and_saveexec_b64 s[40:41], vcc
	s_xor_b64 s[38:39], exec, s[40:41]
	s_cbranch_execz .LBB4_4398
; %bb.4389:                             ;   in Loop: Header=BB4_4111 Depth=3
	v_mov_b32_e32 v12, 0
	v_cmp_ne_u32_e32 vcc, 0, v0
	s_and_saveexec_b64 s[48:49], vcc
	s_cbranch_execz .LBB4_4397
; %bb.4390:                             ;   in Loop: Header=BB4_4111 Depth=3
	v_bfe_u32 v9, v0, 23, 8
	v_cmp_gt_u32_e64 s[40:41], s47, v9
	v_sub_u32_e32 v0, 0x71, v9
	v_cmp_eq_u32_e32 vcc, 0, v9
	v_cndmask_b32_e64 v0, 0, v0, s[40:41]
	v_mov_b32_e32 v2, 0x70
	v_cndmask_b32_e32 v12, v0, v2, vcc
	v_add_u32_e32 v2, 21, v12
	v_or_b32_e32 v1, 0x800000, v60
	v_lshlrev_b64 v[35:36], v2, -1
	v_cndmask_b32_e32 v0, v1, v60, vcc
	v_mov_b32_e32 v1, v61
	v_add_u32_e32 v2, 20, v12
	v_bfi_b32 v35, v35, 0, v0
	v_lshlrev_b64 v[37:38], v2, 1
	v_lshrrev_b64 v[0:1], v12, v[0:1]
	v_bfi_b32 v36, v36, 0, 0
	v_cmp_eq_u64_e64 s[40:41], v[35:36], v[37:38]
	v_mov_b32_e32 v2, v1
	v_mov_b32_e32 v1, v0
	s_and_saveexec_b64 s[50:51], s[40:41]
; %bb.4391:                             ;   in Loop: Header=BB4_4111 Depth=3
	v_bfe_u32 v1, v0, 21, 1
	v_add_co_u32_e64 v1, s[40:41], v0, v1
	v_add_co_u32_e64 v1, s[40:41], -1, v1
; %bb.4392:                             ;   in Loop: Header=BB4_4111 Depth=3
	s_or_b64 exec, exec, s[50:51]
	v_add_u32_e32 v2, 0xffffff81, v9
	v_mov_b32_e32 v9, 0xffffff82
	v_cndmask_b32_e32 v2, v2, v9, vcc
	v_lshrrev_b32_e32 v9, 23, v0
	v_add3_u32 v12, v12, v2, v9
	v_add_u32_e32 v9, 14, v12
	v_and_b32_e32 v1, 0x1fffff, v1
	v_add_u32_e32 v60, v1, v0
	v_cmp_ne_u32_e32 vcc, 0, v9
                                        ; implicit-def: $vgpr0_vgpr1
                                        ; implicit-def: $vgpr2
	s_and_saveexec_b64 s[40:41], vcc
	s_xor_b64 s[40:41], exec, s[40:41]
; %bb.4393:                             ;   in Loop: Header=BB4_4111 Depth=3
	v_cmp_lt_u64_e32 vcc, s[88:89], v[60:61]
	v_add_u32_e32 v0, 15, v12
	v_cndmask_b32_e32 v2, v9, v0, vcc
	v_cndmask_b32_e64 v0, 0, 1, vcc
	v_lshrrev_b64 v[0:1], v0, v[60:61]
; %bb.4394:                             ;   in Loop: Header=BB4_4111 Depth=3
	s_andn2_saveexec_b64 s[40:41], s[40:41]
; %bb.4395:                             ;   in Loop: Header=BB4_4111 Depth=3
	v_mov_b32_e32 v0, v60
	v_mov_b32_e32 v1, v61
	v_bfe_u32 v2, v60, 23, 1
; %bb.4396:                             ;   in Loop: Header=BB4_4111 Depth=3
	s_or_b64 exec, exec, s[40:41]
	v_lshrrev_b64 v[0:1], 21, v[0:1]
	v_cmp_gt_i32_e32 vcc, 32, v2
	v_cndmask_b32_e32 v1, 0, v1, vcc
	v_cndmask_b32_e32 v0, 3, v0, vcc
	v_cmp_eq_u64_e64 s[40:41], 0, v[0:1]
	v_min_i32_e32 v1, 31, v2
	v_lshlrev_b32_e32 v1, 2, v1
	v_cmp_eq_u32_e32 vcc, 0, v2
	v_and_b32_e32 v1, 0xfc, v1
	v_and_or_b32 v0, v0, 3, v1
	s_and_b64 s[40:41], vcc, s[40:41]
	v_cndmask_b32_e64 v0, v0, 0, s[40:41]
	v_or_b32_e32 v12, v0, v3
.LBB4_4397:                             ;   in Loop: Header=BB4_4111 Depth=3
	s_or_b64 exec, exec, s[48:49]
                                        ; implicit-def: $vgpr3
.LBB4_4398:                             ;   in Loop: Header=BB4_4111 Depth=3
	s_andn2_saveexec_b64 s[40:41], s[38:39]
; %bb.4399:                             ;   in Loop: Header=BB4_4111 Depth=3
	v_or_b32_e32 v12, 0x7b, v3
; %bb.4400:                             ;   in Loop: Header=BB4_4111 Depth=3
	s_or_b64 exec, exec, s[40:41]
                                        ; implicit-def: $vgpr0
.LBB4_4401:                             ;   in Loop: Header=BB4_4111 Depth=3
	s_andn2_saveexec_b64 s[40:41], s[42:43]
	s_cbranch_execz .LBB4_4407
; %bb.4402:                             ;   in Loop: Header=BB4_4111 Depth=3
	v_cmp_ne_u64_e32 vcc, 0, v[60:61]
                                        ; implicit-def: $vgpr12
	s_and_saveexec_b64 s[42:43], vcc
	s_xor_b64 s[42:43], exec, s[42:43]
; %bb.4403:                             ;   in Loop: Header=BB4_4111 Depth=3
	v_or_b32_sdwa v12, v0, s44 dst_sel:DWORD dst_unused:UNUSED_PAD src0_sel:BYTE_3 src1_sel:DWORD
                                        ; implicit-def: $vgpr0
; %bb.4404:                             ;   in Loop: Header=BB4_4111 Depth=3
	s_andn2_saveexec_b64 s[42:43], s[42:43]
; %bb.4405:                             ;   in Loop: Header=BB4_4111 Depth=3
	v_cmp_lt_i32_e32 vcc, -1, v0
	v_bfrev_b32_e32 v0, 0.5
	v_mov_b32_e32 v1, 0x7c
	v_cndmask_b32_e32 v12, v0, v1, vcc
; %bb.4406:                             ;   in Loop: Header=BB4_4111 Depth=3
	s_or_b64 exec, exec, s[42:43]
.LBB4_4407:                             ;   in Loop: Header=BB4_4111 Depth=3
	s_or_b64 exec, exec, s[40:41]
	v_lshrrev_b16_e32 v0, 8, v14
	v_cmp_ne_u16_e32 vcc, 0, v0
	v_mov_b32_e32 v2, 0
	s_and_saveexec_b64 s[40:41], vcc
	s_cbranch_execz .LBB4_4415
; %bb.4408:                             ;   in Loop: Header=BB4_4111 Depth=3
	v_cmp_ne_u16_e32 vcc, s81, v0
	v_bfrev_b32_e32 v2, 1
	s_and_saveexec_b64 s[42:43], vcc
	s_cbranch_execz .LBB4_4414
; %bb.4409:                             ;   in Loop: Header=BB4_4111 Depth=3
	v_and_b32_e32 v1, 0x7c, v0
	v_and_b32_e32 v3, 3, v0
	v_cmp_ne_u32_e32 vcc, s71, v1
                                        ; implicit-def: $vgpr2
	s_and_saveexec_b64 s[38:39], vcc
	s_xor_b64 s[38:39], exec, s[38:39]
	s_cbranch_execz .LBB4_4411
; %bb.4410:                             ;   in Loop: Header=BB4_4111 Depth=3
	v_ffbh_u32_e32 v9, v3
	v_min_u32_e32 v9, 32, v9
	v_mov_b32_e32 v1, v61
	v_subrev_u32_e32 v13, 29, v9
	v_bfe_u32 v2, v0, 2, 5
	v_lshlrev_b64 v[0:1], v13, v[0:1]
	v_sub_u32_e32 v1, 30, v9
	v_cmp_eq_u32_e32 vcc, 0, v2
	v_cndmask_b32_e32 v1, v2, v1, vcc
	v_lshlrev_b32_e32 v2, 16, v14
	v_and_b32_e32 v0, 3, v0
	v_and_b32_e32 v2, 0x80000000, v2
	v_cndmask_b32_e32 v0, v3, v0, vcc
	v_lshl_add_u32 v1, v1, 23, v2
	v_lshl_or_b32 v0, v0, 21, v1
	v_add_u32_e32 v2, 0x38000000, v0
                                        ; implicit-def: $vgpr3
.LBB4_4411:                             ;   in Loop: Header=BB4_4111 Depth=3
	s_andn2_saveexec_b64 s[38:39], s[38:39]
; %bb.4412:                             ;   in Loop: Header=BB4_4111 Depth=3
	v_cmp_lt_i16_e32 vcc, -1, v14
	v_mov_b32_e32 v0, 0xff800000
	v_cndmask_b32_e32 v0, v0, v47, vcc
	v_cmp_eq_u32_e32 vcc, 0, v3
	v_mov_b32_e32 v1, 0x7f800001
	v_cndmask_b32_e32 v2, v1, v0, vcc
; %bb.4413:                             ;   in Loop: Header=BB4_4111 Depth=3
	s_or_b64 exec, exec, s[38:39]
.LBB4_4414:                             ;   in Loop: Header=BB4_4111 Depth=3
	s_or_b64 exec, exec, s[42:43]
.LBB4_4415:                             ;   in Loop: Header=BB4_4111 Depth=3
	s_or_b64 exec, exec, s[40:41]
	v_lshrrev_b16_e32 v0, 8, v10
	v_cmp_lt_i16_e32 vcc, s44, v0
	s_mov_b64 s[40:41], 0
	s_and_saveexec_b64 s[42:43], vcc
	s_xor_b64 s[42:43], exec, s[42:43]
	s_cbranch_execz .LBB4_4650
; %bb.4416:                             ;   in Loop: Header=BB4_4111 Depth=3
	v_cmp_eq_u16_e32 vcc, s81, v0
	s_mov_b64 s[40:41], -1
	s_and_saveexec_b64 s[38:39], vcc
; %bb.4417:                             ;   in Loop: Header=BB4_4111 Depth=3
	s_xor_b64 s[40:41], exec, -1
; %bb.4418:                             ;   in Loop: Header=BB4_4111 Depth=3
	s_or_b64 exec, exec, s[38:39]
	s_and_b64 s[40:41], s[40:41], exec
	s_or_saveexec_b64 s[42:43], s[42:43]
	v_bfrev_b32_e32 v1, 1
	s_xor_b64 exec, exec, s[42:43]
	s_cbranch_execnz .LBB4_4651
.LBB4_4419:                             ;   in Loop: Header=BB4_4111 Depth=3
	s_or_b64 exec, exec, s[42:43]
	s_and_saveexec_b64 s[38:39], s[40:41]
	s_cbranch_execz .LBB4_4421
.LBB4_4420:                             ;   in Loop: Header=BB4_4111 Depth=3
	v_and_b32_e32 v3, 3, v0
	v_and_b32_e32 v13, 0x7c, v0
	v_cmp_eq_u32_e32 vcc, s71, v13
	v_ffbh_u32_e32 v13, v3
	v_min_u32_e32 v13, 32, v13
	v_mov_b32_e32 v1, v61
	v_subrev_u32_e32 v35, 29, v13
	v_bfe_u32 v9, v0, 2, 5
	v_lshlrev_b64 v[35:36], v35, v[0:1]
	v_cmp_eq_u32_e64 s[40:41], 0, v9
	v_sub_u32_e32 v1, 30, v13
	v_lshlrev_b32_e32 v0, 24, v0
	v_and_b32_e32 v13, 3, v35
	v_cndmask_b32_e64 v1, v9, v1, s[40:41]
	v_and_b32_e32 v0, 0x80000000, v0
	v_cndmask_b32_e64 v9, v3, v13, s[40:41]
	v_lshl_add_u32 v0, v1, 23, v0
	v_cmp_lt_i16_e64 s[42:43], -1, v10
	v_mov_b32_e32 v1, 0xff800000
	v_lshl_or_b32 v0, v9, 21, v0
	v_cmp_eq_u32_e64 s[40:41], 0, v3
	v_cndmask_b32_e64 v1, v1, v47, s[42:43]
	v_mov_b32_e32 v3, 0x7f800001
	v_add_u32_e32 v0, 0x38000000, v0
	v_cndmask_b32_e64 v1, v3, v1, s[40:41]
	v_cndmask_b32_e32 v1, v0, v1, vcc
.LBB4_4421:                             ;   in Loop: Header=BB4_4111 Depth=3
	s_or_b64 exec, exec, s[38:39]
	v_mul_f32_e32 v0, v2, v1
	v_and_b32_e32 v1, 0x7f800000, v0
	v_mov_b32_e32 v2, v61
	v_cmp_ne_u64_e32 vcc, s[62:63], v[1:2]
	v_and_b32_e32 v60, 0x7fffff, v0
                                        ; implicit-def: $vgpr13
	s_and_saveexec_b64 s[40:41], vcc
	s_xor_b64 s[42:43], exec, s[40:41]
	s_cbranch_execz .LBB4_4435
; %bb.4422:                             ;   in Loop: Header=BB4_4111 Depth=3
	v_and_b32_e32 v1, 0x7fffffff, v0
	v_mov_b32_e32 v2, v61
	v_cmp_gt_u64_e32 vcc, s[78:79], v[1:2]
	v_and_b32_sdwa v3, v0, s81 dst_sel:DWORD dst_unused:UNUSED_PAD src0_sel:BYTE_3 src1_sel:DWORD
                                        ; implicit-def: $vgpr13
	s_and_saveexec_b64 s[40:41], vcc
	s_xor_b64 s[38:39], exec, s[40:41]
	s_cbranch_execz .LBB4_4432
; %bb.4423:                             ;   in Loop: Header=BB4_4111 Depth=3
	v_mov_b32_e32 v13, 0
	v_cmp_ne_u32_e32 vcc, 0, v0
	s_and_saveexec_b64 s[48:49], vcc
	s_cbranch_execz .LBB4_4431
; %bb.4424:                             ;   in Loop: Header=BB4_4111 Depth=3
	v_bfe_u32 v9, v0, 23, 8
	v_cmp_gt_u32_e64 s[40:41], s47, v9
	v_sub_u32_e32 v0, 0x71, v9
	v_cmp_eq_u32_e32 vcc, 0, v9
	v_cndmask_b32_e64 v0, 0, v0, s[40:41]
	v_mov_b32_e32 v2, 0x70
	v_cndmask_b32_e32 v13, v0, v2, vcc
	v_add_u32_e32 v2, 21, v13
	v_or_b32_e32 v1, 0x800000, v60
	v_lshlrev_b64 v[35:36], v2, -1
	v_cndmask_b32_e32 v0, v1, v60, vcc
	v_mov_b32_e32 v1, v61
	v_add_u32_e32 v2, 20, v13
	v_bfi_b32 v35, v35, 0, v0
	v_lshlrev_b64 v[37:38], v2, 1
	v_lshrrev_b64 v[0:1], v13, v[0:1]
	v_bfi_b32 v36, v36, 0, 0
	v_cmp_eq_u64_e64 s[40:41], v[35:36], v[37:38]
	v_mov_b32_e32 v2, v1
	v_mov_b32_e32 v1, v0
	s_and_saveexec_b64 s[50:51], s[40:41]
; %bb.4425:                             ;   in Loop: Header=BB4_4111 Depth=3
	v_bfe_u32 v1, v0, 21, 1
	v_add_co_u32_e64 v1, s[40:41], v0, v1
	v_add_co_u32_e64 v1, s[40:41], -1, v1
; %bb.4426:                             ;   in Loop: Header=BB4_4111 Depth=3
	s_or_b64 exec, exec, s[50:51]
	v_add_u32_e32 v2, 0xffffff81, v9
	v_mov_b32_e32 v9, 0xffffff82
	v_cndmask_b32_e32 v2, v2, v9, vcc
	v_lshrrev_b32_e32 v9, 23, v0
	v_add3_u32 v13, v13, v2, v9
	v_add_u32_e32 v9, 14, v13
	v_and_b32_e32 v1, 0x1fffff, v1
	v_add_u32_e32 v60, v1, v0
	v_cmp_ne_u32_e32 vcc, 0, v9
                                        ; implicit-def: $vgpr0_vgpr1
                                        ; implicit-def: $vgpr2
	s_and_saveexec_b64 s[40:41], vcc
	s_xor_b64 s[40:41], exec, s[40:41]
; %bb.4427:                             ;   in Loop: Header=BB4_4111 Depth=3
	v_cmp_lt_u64_e32 vcc, s[88:89], v[60:61]
	v_add_u32_e32 v0, 15, v13
	v_cndmask_b32_e32 v2, v9, v0, vcc
	v_cndmask_b32_e64 v0, 0, 1, vcc
	v_lshrrev_b64 v[0:1], v0, v[60:61]
; %bb.4428:                             ;   in Loop: Header=BB4_4111 Depth=3
	s_andn2_saveexec_b64 s[40:41], s[40:41]
; %bb.4429:                             ;   in Loop: Header=BB4_4111 Depth=3
	v_mov_b32_e32 v0, v60
	v_mov_b32_e32 v1, v61
	v_bfe_u32 v2, v60, 23, 1
; %bb.4430:                             ;   in Loop: Header=BB4_4111 Depth=3
	s_or_b64 exec, exec, s[40:41]
	v_lshrrev_b64 v[0:1], 21, v[0:1]
	v_cmp_gt_i32_e32 vcc, 32, v2
	v_cndmask_b32_e32 v1, 0, v1, vcc
	v_cndmask_b32_e32 v0, 3, v0, vcc
	v_cmp_eq_u64_e64 s[40:41], 0, v[0:1]
	v_min_i32_e32 v1, 31, v2
	v_lshlrev_b32_e32 v1, 2, v1
	v_cmp_eq_u32_e32 vcc, 0, v2
	v_and_b32_e32 v1, 0xfc, v1
	v_and_or_b32 v0, v0, 3, v1
	s_and_b64 s[40:41], vcc, s[40:41]
	v_cndmask_b32_e64 v0, v0, 0, s[40:41]
	v_or_b32_e32 v13, v0, v3
.LBB4_4431:                             ;   in Loop: Header=BB4_4111 Depth=3
	s_or_b64 exec, exec, s[48:49]
                                        ; implicit-def: $vgpr3
.LBB4_4432:                             ;   in Loop: Header=BB4_4111 Depth=3
	s_andn2_saveexec_b64 s[40:41], s[38:39]
; %bb.4433:                             ;   in Loop: Header=BB4_4111 Depth=3
	v_or_b32_e32 v13, 0x7b, v3
; %bb.4434:                             ;   in Loop: Header=BB4_4111 Depth=3
	s_or_b64 exec, exec, s[40:41]
                                        ; implicit-def: $vgpr0
.LBB4_4435:                             ;   in Loop: Header=BB4_4111 Depth=3
	s_andn2_saveexec_b64 s[40:41], s[42:43]
	s_cbranch_execz .LBB4_4441
; %bb.4436:                             ;   in Loop: Header=BB4_4111 Depth=3
	v_cmp_ne_u64_e32 vcc, 0, v[60:61]
                                        ; implicit-def: $vgpr13
	s_and_saveexec_b64 s[42:43], vcc
	s_xor_b64 s[42:43], exec, s[42:43]
; %bb.4437:                             ;   in Loop: Header=BB4_4111 Depth=3
	v_or_b32_sdwa v13, v0, s44 dst_sel:DWORD dst_unused:UNUSED_PAD src0_sel:BYTE_3 src1_sel:DWORD
                                        ; implicit-def: $vgpr0
; %bb.4438:                             ;   in Loop: Header=BB4_4111 Depth=3
	s_andn2_saveexec_b64 s[42:43], s[42:43]
; %bb.4439:                             ;   in Loop: Header=BB4_4111 Depth=3
	v_cmp_lt_i32_e32 vcc, -1, v0
	v_bfrev_b32_e32 v0, 0.5
	v_mov_b32_e32 v1, 0x7c
	v_cndmask_b32_e32 v13, v0, v1, vcc
; %bb.4440:                             ;   in Loop: Header=BB4_4111 Depth=3
	s_or_b64 exec, exec, s[42:43]
.LBB4_4441:                             ;   in Loop: Header=BB4_4111 Depth=3
	s_or_b64 exec, exec, s[40:41]
	v_lshrrev_b32_e32 v0, 16, v14
	v_cmp_ne_u16_sdwa s[42:43], v0, v61 src0_sel:BYTE_0 src1_sel:DWORD
	v_mov_b32_e32 v1, 0
	s_and_saveexec_b64 s[40:41], s[42:43]
	s_cbranch_execz .LBB4_4449
; %bb.4442:                             ;   in Loop: Header=BB4_4111 Depth=3
	v_cmp_ne_u16_sdwa vcc, v0, s81 src0_sel:BYTE_0 src1_sel:DWORD
	v_bfrev_b32_e32 v1, 1
	s_and_saveexec_b64 s[42:43], vcc
	s_cbranch_execz .LBB4_4448
; %bb.4443:                             ;   in Loop: Header=BB4_4111 Depth=3
	v_and_b32_e32 v1, 0x7c0000, v14
	v_bfe_u32 v2, v14, 16, 2
	v_cmp_ne_u32_e32 vcc, s45, v1
                                        ; implicit-def: $vgpr1
	s_and_saveexec_b64 s[38:39], vcc
	s_xor_b64 s[38:39], exec, s[38:39]
	s_cbranch_execz .LBB4_4445
; %bb.4444:                             ;   in Loop: Header=BB4_4111 Depth=3
	v_ffbh_u32_e32 v1, v2
	v_min_u32_e32 v9, 32, v1
	v_subrev_u32_e32 v1, 29, v9
	v_lshlrev_b64 v[0:1], v1, v[0:1]
	v_bfe_u32 v3, v14, 18, 5
	v_and_b32_e32 v0, 3, v0
	v_cmp_eq_u32_e32 vcc, 0, v3
	v_sub_u32_e32 v1, 30, v9
	v_cndmask_b32_e32 v0, v2, v0, vcc
	v_lshlrev_b32_e32 v2, 8, v14
	v_cndmask_b32_e32 v1, v3, v1, vcc
	v_and_b32_e32 v2, 0x80000000, v2
	v_lshl_add_u32 v1, v1, 23, v2
	v_lshl_or_b32 v0, v0, 21, v1
	v_add_u32_e32 v1, 0x38000000, v0
                                        ; implicit-def: $vgpr2
                                        ; implicit-def: $vgpr0
.LBB4_4445:                             ;   in Loop: Header=BB4_4111 Depth=3
	s_andn2_saveexec_b64 s[38:39], s[38:39]
; %bb.4446:                             ;   in Loop: Header=BB4_4111 Depth=3
	v_mov_b32_e32 v1, -1
	v_cmp_gt_i16_sdwa vcc, sext(v0), v1 src0_sel:BYTE_0 src1_sel:DWORD
	v_mov_b32_e32 v0, 0xff800000
	v_cndmask_b32_e32 v0, v0, v47, vcc
	v_cmp_eq_u32_e32 vcc, 0, v2
	v_mov_b32_e32 v1, 0x7f800001
	v_cndmask_b32_e32 v1, v1, v0, vcc
; %bb.4447:                             ;   in Loop: Header=BB4_4111 Depth=3
	s_or_b64 exec, exec, s[38:39]
.LBB4_4448:                             ;   in Loop: Header=BB4_4111 Depth=3
	s_or_b64 exec, exec, s[42:43]
.LBB4_4449:                             ;   in Loop: Header=BB4_4111 Depth=3
	s_or_b64 exec, exec, s[40:41]
	v_lshrrev_b32_e32 v0, 16, v10
	v_cmp_gt_i16_sdwa s[42:43], v0, s44 src0_sel:BYTE_0 src1_sel:DWORD
	s_mov_b64 s[40:41], 0
	s_and_saveexec_b64 vcc, s[42:43]
	s_xor_b64 s[42:43], exec, vcc
	s_cbranch_execz .LBB4_4652
; %bb.4450:                             ;   in Loop: Header=BB4_4111 Depth=3
	v_cmp_eq_u16_sdwa s[38:39], v0, s81 src0_sel:BYTE_0 src1_sel:DWORD
	s_mov_b64 s[40:41], -1
	s_and_saveexec_b64 vcc, s[38:39]
; %bb.4451:                             ;   in Loop: Header=BB4_4111 Depth=3
	s_xor_b64 s[40:41], exec, -1
; %bb.4452:                             ;   in Loop: Header=BB4_4111 Depth=3
	s_or_b64 exec, exec, vcc
	s_and_b64 s[40:41], s[40:41], exec
	s_or_saveexec_b64 s[42:43], s[42:43]
	v_bfrev_b32_e32 v2, 1
	s_xor_b64 exec, exec, s[42:43]
	s_cbranch_execnz .LBB4_4653
.LBB4_4453:                             ;   in Loop: Header=BB4_4111 Depth=3
	s_or_b64 exec, exec, s[42:43]
	s_and_saveexec_b64 s[38:39], s[40:41]
	s_cbranch_execz .LBB4_4455
.LBB4_4454:                             ;   in Loop: Header=BB4_4111 Depth=3
	v_and_b32_e32 v9, 3, v0
	v_and_b32_e32 v2, 0x7c0000, v10
	v_cmp_eq_u32_e32 vcc, s45, v2
	v_ffbh_u32_e32 v2, v9
	v_min_u32_e32 v36, 32, v2
	v_subrev_u32_e32 v2, 29, v36
	v_bfe_u32 v35, v10, 18, 5
	v_lshlrev_b64 v[2:3], v2, v[0:1]
	v_cmp_eq_u32_e64 s[40:41], 0, v35
	v_sub_u32_e32 v3, 30, v36
	v_cndmask_b32_e64 v3, v35, v3, s[40:41]
	v_lshlrev_b32_e32 v35, 24, v0
	v_and_b32_e32 v2, 3, v2
	v_and_b32_e32 v35, 0x80000000, v35
	v_cndmask_b32_e64 v2, v9, v2, s[40:41]
	v_lshl_add_u32 v3, v3, 23, v35
	v_lshl_or_b32 v2, v2, 21, v3
	v_mov_b32_e32 v3, -1
	v_cmp_gt_i16_sdwa s[42:43], sext(v0), v3 src0_sel:BYTE_0 src1_sel:DWORD
	v_mov_b32_e32 v0, 0xff800000
	v_cmp_eq_u32_e64 s[40:41], 0, v9
	v_cndmask_b32_e64 v0, v0, v47, s[42:43]
	v_mov_b32_e32 v3, 0x7f800001
	v_add_u32_e32 v2, 0x38000000, v2
	v_cndmask_b32_e64 v0, v3, v0, s[40:41]
	v_cndmask_b32_e32 v2, v2, v0, vcc
.LBB4_4455:                             ;   in Loop: Header=BB4_4111 Depth=3
	s_or_b64 exec, exec, s[38:39]
	v_mul_f32_e32 v0, v1, v2
	v_and_b32_e32 v1, 0x7f800000, v0
	v_mov_b32_e32 v2, v61
	v_cmp_ne_u64_e32 vcc, s[62:63], v[1:2]
	v_and_b32_e32 v60, 0x7fffff, v0
                                        ; implicit-def: $vgpr35
	s_and_saveexec_b64 s[40:41], vcc
	s_xor_b64 s[42:43], exec, s[40:41]
	s_cbranch_execz .LBB4_4469
; %bb.4456:                             ;   in Loop: Header=BB4_4111 Depth=3
	v_and_b32_e32 v1, 0x7fffffff, v0
	v_mov_b32_e32 v2, v61
	v_cmp_gt_u64_e32 vcc, s[78:79], v[1:2]
	v_and_b32_sdwa v3, v0, s81 dst_sel:DWORD dst_unused:UNUSED_PAD src0_sel:BYTE_3 src1_sel:DWORD
                                        ; implicit-def: $vgpr35
	s_and_saveexec_b64 s[40:41], vcc
	s_xor_b64 s[38:39], exec, s[40:41]
	s_cbranch_execz .LBB4_4466
; %bb.4457:                             ;   in Loop: Header=BB4_4111 Depth=3
	v_mov_b32_e32 v35, 0
	v_cmp_ne_u32_e32 vcc, 0, v0
	s_and_saveexec_b64 s[48:49], vcc
	s_cbranch_execz .LBB4_4465
; %bb.4458:                             ;   in Loop: Header=BB4_4111 Depth=3
	v_bfe_u32 v9, v0, 23, 8
	v_cmp_gt_u32_e64 s[40:41], s47, v9
	v_sub_u32_e32 v0, 0x71, v9
	v_cmp_eq_u32_e32 vcc, 0, v9
	v_cndmask_b32_e64 v0, 0, v0, s[40:41]
	v_mov_b32_e32 v2, 0x70
	v_cndmask_b32_e32 v35, v0, v2, vcc
	v_add_u32_e32 v2, 21, v35
	v_or_b32_e32 v1, 0x800000, v60
	v_lshlrev_b64 v[36:37], v2, -1
	v_cndmask_b32_e32 v0, v1, v60, vcc
	v_mov_b32_e32 v1, v61
	v_add_u32_e32 v2, 20, v35
	v_bfi_b32 v36, v36, 0, v0
	v_lshlrev_b64 v[38:39], v2, 1
	v_lshrrev_b64 v[0:1], v35, v[0:1]
	v_bfi_b32 v37, v37, 0, 0
	v_cmp_eq_u64_e64 s[40:41], v[36:37], v[38:39]
	v_mov_b32_e32 v2, v1
	v_mov_b32_e32 v1, v0
	s_and_saveexec_b64 s[50:51], s[40:41]
; %bb.4459:                             ;   in Loop: Header=BB4_4111 Depth=3
	v_bfe_u32 v1, v0, 21, 1
	v_add_co_u32_e64 v1, s[40:41], v0, v1
	v_add_co_u32_e64 v1, s[40:41], -1, v1
; %bb.4460:                             ;   in Loop: Header=BB4_4111 Depth=3
	s_or_b64 exec, exec, s[50:51]
	v_add_u32_e32 v2, 0xffffff81, v9
	v_mov_b32_e32 v9, 0xffffff82
	v_cndmask_b32_e32 v2, v2, v9, vcc
	v_lshrrev_b32_e32 v9, 23, v0
	v_add3_u32 v35, v35, v2, v9
	v_add_u32_e32 v9, 14, v35
	v_and_b32_e32 v1, 0x1fffff, v1
	v_add_u32_e32 v60, v1, v0
	v_cmp_ne_u32_e32 vcc, 0, v9
                                        ; implicit-def: $vgpr0_vgpr1
                                        ; implicit-def: $vgpr2
	s_and_saveexec_b64 s[40:41], vcc
	s_xor_b64 s[40:41], exec, s[40:41]
; %bb.4461:                             ;   in Loop: Header=BB4_4111 Depth=3
	v_cmp_lt_u64_e32 vcc, s[88:89], v[60:61]
	v_add_u32_e32 v0, 15, v35
	v_cndmask_b32_e32 v2, v9, v0, vcc
	v_cndmask_b32_e64 v0, 0, 1, vcc
	v_lshrrev_b64 v[0:1], v0, v[60:61]
; %bb.4462:                             ;   in Loop: Header=BB4_4111 Depth=3
	s_andn2_saveexec_b64 s[40:41], s[40:41]
; %bb.4463:                             ;   in Loop: Header=BB4_4111 Depth=3
	v_mov_b32_e32 v0, v60
	v_mov_b32_e32 v1, v61
	v_bfe_u32 v2, v60, 23, 1
; %bb.4464:                             ;   in Loop: Header=BB4_4111 Depth=3
	s_or_b64 exec, exec, s[40:41]
	v_lshrrev_b64 v[0:1], 21, v[0:1]
	v_cmp_gt_i32_e32 vcc, 32, v2
	v_cndmask_b32_e32 v1, 0, v1, vcc
	v_cndmask_b32_e32 v0, 3, v0, vcc
	v_cmp_eq_u64_e64 s[40:41], 0, v[0:1]
	v_min_i32_e32 v1, 31, v2
	v_lshlrev_b32_e32 v1, 2, v1
	v_cmp_eq_u32_e32 vcc, 0, v2
	v_and_b32_e32 v1, 0xfc, v1
	v_and_or_b32 v0, v0, 3, v1
	s_and_b64 s[40:41], vcc, s[40:41]
	v_cndmask_b32_e64 v0, v0, 0, s[40:41]
	v_or_b32_e32 v35, v0, v3
.LBB4_4465:                             ;   in Loop: Header=BB4_4111 Depth=3
	s_or_b64 exec, exec, s[48:49]
                                        ; implicit-def: $vgpr3
.LBB4_4466:                             ;   in Loop: Header=BB4_4111 Depth=3
	s_andn2_saveexec_b64 s[40:41], s[38:39]
; %bb.4467:                             ;   in Loop: Header=BB4_4111 Depth=3
	v_or_b32_e32 v35, 0x7b, v3
; %bb.4468:                             ;   in Loop: Header=BB4_4111 Depth=3
	s_or_b64 exec, exec, s[40:41]
                                        ; implicit-def: $vgpr0
.LBB4_4469:                             ;   in Loop: Header=BB4_4111 Depth=3
	s_andn2_saveexec_b64 s[40:41], s[42:43]
	s_cbranch_execz .LBB4_4475
; %bb.4470:                             ;   in Loop: Header=BB4_4111 Depth=3
	v_cmp_ne_u64_e32 vcc, 0, v[60:61]
                                        ; implicit-def: $vgpr35
	s_and_saveexec_b64 s[42:43], vcc
	s_xor_b64 s[42:43], exec, s[42:43]
; %bb.4471:                             ;   in Loop: Header=BB4_4111 Depth=3
	v_or_b32_sdwa v35, v0, s44 dst_sel:DWORD dst_unused:UNUSED_PAD src0_sel:BYTE_3 src1_sel:DWORD
                                        ; implicit-def: $vgpr0
; %bb.4472:                             ;   in Loop: Header=BB4_4111 Depth=3
	s_andn2_saveexec_b64 s[42:43], s[42:43]
; %bb.4473:                             ;   in Loop: Header=BB4_4111 Depth=3
	v_cmp_lt_i32_e32 vcc, -1, v0
	v_bfrev_b32_e32 v0, 0.5
	v_mov_b32_e32 v1, 0x7c
	v_cndmask_b32_e32 v35, v0, v1, vcc
; %bb.4474:                             ;   in Loop: Header=BB4_4111 Depth=3
	s_or_b64 exec, exec, s[42:43]
.LBB4_4475:                             ;   in Loop: Header=BB4_4111 Depth=3
	s_or_b64 exec, exec, s[40:41]
	v_cmp_lt_u32_e32 vcc, s57, v14
	v_mov_b32_e32 v1, 0
	s_and_saveexec_b64 s[40:41], vcc
	s_cbranch_execz .LBB4_4483
; %bb.4476:                             ;   in Loop: Header=BB4_4111 Depth=3
	v_lshrrev_b32_e32 v0, 24, v14
	v_cmp_ne_u32_e32 vcc, s81, v0
	v_bfrev_b32_e32 v1, 1
	s_and_saveexec_b64 s[42:43], vcc
	s_cbranch_execz .LBB4_4482
; %bb.4477:                             ;   in Loop: Header=BB4_4111 Depth=3
	v_and_b32_e32 v1, 0x7c000000, v14
	v_bfe_u32 v2, v14, 24, 2
	v_cmp_ne_u32_e32 vcc, s82, v1
                                        ; implicit-def: $vgpr1
	s_and_saveexec_b64 s[38:39], vcc
	s_xor_b64 s[38:39], exec, s[38:39]
	s_cbranch_execz .LBB4_4479
; %bb.4478:                             ;   in Loop: Header=BB4_4111 Depth=3
	v_ffbh_u32_e32 v1, v2
	v_min_u32_e32 v9, 32, v1
	v_subrev_u32_e32 v1, 29, v9
	v_lshlrev_b64 v[0:1], v1, v[0:1]
	v_bfe_u32 v3, v14, 26, 5
	v_sub_u32_e32 v1, 30, v9
	v_and_b32_e32 v0, 3, v0
	v_cmp_eq_u32_e32 vcc, 0, v3
	v_cndmask_b32_e32 v1, v3, v1, vcc
	v_cndmask_b32_e32 v0, v2, v0, vcc
	v_and_b32_e32 v2, 0x80000000, v14
	v_lshl_add_u32 v1, v1, 23, v2
	v_lshl_or_b32 v0, v0, 21, v1
	v_add_u32_e32 v1, 0x38000000, v0
                                        ; implicit-def: $vgpr2
.LBB4_4479:                             ;   in Loop: Header=BB4_4111 Depth=3
	s_andn2_saveexec_b64 s[38:39], s[38:39]
; %bb.4480:                             ;   in Loop: Header=BB4_4111 Depth=3
	v_cmp_lt_i32_e32 vcc, -1, v14
	v_mov_b32_e32 v0, 0xff800000
	v_cndmask_b32_e32 v0, v0, v47, vcc
	v_cmp_eq_u32_e32 vcc, 0, v2
	v_mov_b32_e32 v1, 0x7f800001
	v_cndmask_b32_e32 v1, v1, v0, vcc
; %bb.4481:                             ;   in Loop: Header=BB4_4111 Depth=3
	s_or_b64 exec, exec, s[38:39]
.LBB4_4482:                             ;   in Loop: Header=BB4_4111 Depth=3
	s_or_b64 exec, exec, s[42:43]
.LBB4_4483:                             ;   in Loop: Header=BB4_4111 Depth=3
	s_or_b64 exec, exec, s[40:41]
	v_bfe_u32 v9, v10, 24, 2
	v_and_b32_e32 v2, 0x7c000000, v10
	v_cmp_eq_u32_e32 vcc, s82, v2
	v_ffbh_u32_e32 v2, v9
	v_min_u32_e32 v37, 32, v2
	v_lshrrev_b32_e32 v0, 24, v10
	v_subrev_u32_e32 v2, 29, v37
	v_bfe_u32 v36, v10, 26, 5
	v_lshlrev_b64 v[2:3], v2, v[0:1]
	v_cmp_eq_u32_e64 s[40:41], 0, v36
	v_sub_u32_e32 v3, 30, v37
	v_and_b32_e32 v2, 3, v2
	v_cndmask_b32_e64 v3, v36, v3, s[40:41]
	v_and_b32_e32 v36, 0x80000000, v10
	v_cndmask_b32_e64 v2, v9, v2, s[40:41]
	v_lshl_add_u32 v3, v3, 23, v36
	v_lshl_or_b32 v2, v2, 21, v3
	v_cmp_lt_i32_e64 s[42:43], -1, v10
	v_mov_b32_e32 v3, 0xff800000
	v_cmp_eq_u32_e64 s[40:41], 0, v9
	v_cndmask_b32_e64 v3, v3, v47, s[42:43]
	v_mov_b32_e32 v9, 0x7f800001
	v_add_u32_e32 v2, 0x38000000, v2
	v_cndmask_b32_e64 v3, v9, v3, s[40:41]
	v_cndmask_b32_e32 v2, v2, v3, vcc
	v_cmp_ne_u32_e32 vcc, s81, v0
	v_bfrev_b32_e32 v0, 1
	v_cndmask_b32_e32 v0, v0, v2, vcc
	v_cmp_lt_u32_e32 vcc, s57, v10
	v_cndmask_b32_e32 v0, 0, v0, vcc
	v_mul_f32_e32 v0, v0, v1
	v_and_b32_e32 v1, 0x7f800000, v0
	v_mov_b32_e32 v2, v61
	v_cmp_ne_u64_e32 vcc, s[62:63], v[1:2]
	v_and_b32_e32 v60, 0x7fffff, v0
                                        ; implicit-def: $vgpr36
	s_and_saveexec_b64 s[40:41], vcc
	s_xor_b64 s[42:43], exec, s[40:41]
	s_cbranch_execz .LBB4_4497
; %bb.4484:                             ;   in Loop: Header=BB4_4111 Depth=3
	v_and_b32_e32 v1, 0x7fffffff, v0
	v_mov_b32_e32 v2, v61
	v_cmp_gt_u64_e32 vcc, s[78:79], v[1:2]
	v_and_b32_sdwa v3, v0, s81 dst_sel:DWORD dst_unused:UNUSED_PAD src0_sel:BYTE_3 src1_sel:DWORD
                                        ; implicit-def: $vgpr36
	s_and_saveexec_b64 s[40:41], vcc
	s_xor_b64 s[38:39], exec, s[40:41]
	s_cbranch_execz .LBB4_4494
; %bb.4485:                             ;   in Loop: Header=BB4_4111 Depth=3
	v_mov_b32_e32 v36, 0
	v_cmp_ne_u32_e32 vcc, 0, v0
	s_and_saveexec_b64 s[48:49], vcc
	s_cbranch_execz .LBB4_4493
; %bb.4486:                             ;   in Loop: Header=BB4_4111 Depth=3
	v_bfe_u32 v9, v0, 23, 8
	v_cmp_gt_u32_e64 s[40:41], s47, v9
	v_sub_u32_e32 v0, 0x71, v9
	v_cmp_eq_u32_e32 vcc, 0, v9
	v_cndmask_b32_e64 v0, 0, v0, s[40:41]
	v_mov_b32_e32 v2, 0x70
	v_cndmask_b32_e32 v36, v0, v2, vcc
	v_add_u32_e32 v2, 21, v36
	v_or_b32_e32 v1, 0x800000, v60
	v_lshlrev_b64 v[37:38], v2, -1
	v_cndmask_b32_e32 v0, v1, v60, vcc
	v_mov_b32_e32 v1, v61
	v_add_u32_e32 v2, 20, v36
	v_bfi_b32 v37, v37, 0, v0
	v_lshlrev_b64 v[50:51], v2, 1
	v_lshrrev_b64 v[0:1], v36, v[0:1]
	v_bfi_b32 v38, v38, 0, 0
	v_cmp_eq_u64_e64 s[40:41], v[37:38], v[50:51]
	v_mov_b32_e32 v2, v1
	v_mov_b32_e32 v1, v0
	s_and_saveexec_b64 s[50:51], s[40:41]
; %bb.4487:                             ;   in Loop: Header=BB4_4111 Depth=3
	v_bfe_u32 v1, v0, 21, 1
	v_add_co_u32_e64 v1, s[40:41], v0, v1
	v_add_co_u32_e64 v1, s[40:41], -1, v1
; %bb.4488:                             ;   in Loop: Header=BB4_4111 Depth=3
	s_or_b64 exec, exec, s[50:51]
	v_add_u32_e32 v2, 0xffffff81, v9
	v_mov_b32_e32 v9, 0xffffff82
	v_cndmask_b32_e32 v2, v2, v9, vcc
	v_lshrrev_b32_e32 v9, 23, v0
	v_add3_u32 v36, v36, v2, v9
	v_add_u32_e32 v9, 14, v36
	v_and_b32_e32 v1, 0x1fffff, v1
	v_add_u32_e32 v60, v1, v0
	v_cmp_ne_u32_e32 vcc, 0, v9
                                        ; implicit-def: $vgpr0_vgpr1
                                        ; implicit-def: $vgpr2
	s_and_saveexec_b64 s[40:41], vcc
	s_xor_b64 s[40:41], exec, s[40:41]
; %bb.4489:                             ;   in Loop: Header=BB4_4111 Depth=3
	v_cmp_lt_u64_e32 vcc, s[88:89], v[60:61]
	v_add_u32_e32 v0, 15, v36
	v_cndmask_b32_e32 v2, v9, v0, vcc
	v_cndmask_b32_e64 v0, 0, 1, vcc
	v_lshrrev_b64 v[0:1], v0, v[60:61]
; %bb.4490:                             ;   in Loop: Header=BB4_4111 Depth=3
	s_andn2_saveexec_b64 s[40:41], s[40:41]
; %bb.4491:                             ;   in Loop: Header=BB4_4111 Depth=3
	v_mov_b32_e32 v0, v60
	v_mov_b32_e32 v1, v61
	v_bfe_u32 v2, v60, 23, 1
; %bb.4492:                             ;   in Loop: Header=BB4_4111 Depth=3
	s_or_b64 exec, exec, s[40:41]
	v_lshrrev_b64 v[0:1], 21, v[0:1]
	v_cmp_gt_i32_e32 vcc, 32, v2
	v_cndmask_b32_e32 v1, 0, v1, vcc
	v_cndmask_b32_e32 v0, 3, v0, vcc
	v_cmp_eq_u64_e64 s[40:41], 0, v[0:1]
	v_min_i32_e32 v1, 31, v2
	v_lshlrev_b32_e32 v1, 2, v1
	v_cmp_eq_u32_e32 vcc, 0, v2
	v_and_b32_e32 v1, 0xfc, v1
	v_and_or_b32 v0, v0, 3, v1
	s_and_b64 s[40:41], vcc, s[40:41]
	v_cndmask_b32_e64 v0, v0, 0, s[40:41]
	v_or_b32_e32 v36, v0, v3
.LBB4_4493:                             ;   in Loop: Header=BB4_4111 Depth=3
	s_or_b64 exec, exec, s[48:49]
                                        ; implicit-def: $vgpr3
.LBB4_4494:                             ;   in Loop: Header=BB4_4111 Depth=3
	s_andn2_saveexec_b64 s[40:41], s[38:39]
; %bb.4495:                             ;   in Loop: Header=BB4_4111 Depth=3
	v_or_b32_e32 v36, 0x7b, v3
; %bb.4496:                             ;   in Loop: Header=BB4_4111 Depth=3
	s_or_b64 exec, exec, s[40:41]
                                        ; implicit-def: $vgpr0
.LBB4_4497:                             ;   in Loop: Header=BB4_4111 Depth=3
	s_andn2_saveexec_b64 s[40:41], s[42:43]
	s_cbranch_execz .LBB4_4503
; %bb.4498:                             ;   in Loop: Header=BB4_4111 Depth=3
	v_cmp_ne_u64_e32 vcc, 0, v[60:61]
                                        ; implicit-def: $vgpr36
	s_and_saveexec_b64 s[42:43], vcc
	s_xor_b64 s[42:43], exec, s[42:43]
; %bb.4499:                             ;   in Loop: Header=BB4_4111 Depth=3
	v_or_b32_sdwa v36, v0, s44 dst_sel:DWORD dst_unused:UNUSED_PAD src0_sel:BYTE_3 src1_sel:DWORD
                                        ; implicit-def: $vgpr0
; %bb.4500:                             ;   in Loop: Header=BB4_4111 Depth=3
	s_andn2_saveexec_b64 s[42:43], s[42:43]
; %bb.4501:                             ;   in Loop: Header=BB4_4111 Depth=3
	v_cmp_lt_i32_e32 vcc, -1, v0
	v_bfrev_b32_e32 v0, 0.5
	v_mov_b32_e32 v1, 0x7c
	v_cndmask_b32_e32 v36, v0, v1, vcc
; %bb.4502:                             ;   in Loop: Header=BB4_4111 Depth=3
	s_or_b64 exec, exec, s[42:43]
.LBB4_4503:                             ;   in Loop: Header=BB4_4111 Depth=3
	s_or_b64 exec, exec, s[40:41]
	v_mov_b32_e32 v60, v15
	v_cmp_ne_u16_sdwa s[42:43], v15, v61 src0_sel:BYTE_0 src1_sel:DWORD
	v_mov_b32_e32 v2, 0
	s_and_saveexec_b64 s[40:41], s[42:43]
	s_cbranch_execz .LBB4_4511
; %bb.4504:                             ;   in Loop: Header=BB4_4111 Depth=3
	v_cmp_ne_u16_sdwa vcc, v15, s81 src0_sel:BYTE_0 src1_sel:DWORD
	v_bfrev_b32_e32 v2, 1
	s_and_saveexec_b64 s[42:43], vcc
	s_cbranch_execz .LBB4_4510
; %bb.4505:                             ;   in Loop: Header=BB4_4111 Depth=3
	v_and_b32_e32 v1, 0x7c, v15
	v_and_b32_e32 v0, 3, v15
	v_cmp_ne_u32_e32 vcc, s71, v1
                                        ; implicit-def: $vgpr2
	s_and_saveexec_b64 s[38:39], vcc
	s_xor_b64 s[38:39], exec, s[38:39]
	s_cbranch_execz .LBB4_4507
; %bb.4506:                             ;   in Loop: Header=BB4_4111 Depth=3
	v_ffbh_u32_e32 v1, v0
	v_min_u32_e32 v9, 32, v1
	v_subrev_u32_e32 v1, 29, v9
	v_lshlrev_b64 v[1:2], v1, v[60:61]
	v_bfe_u32 v3, v15, 2, 5
	v_and_b32_e32 v1, 3, v1
	v_cmp_eq_u32_e32 vcc, 0, v3
	v_sub_u32_e32 v2, 30, v9
	v_cndmask_b32_e32 v0, v0, v1, vcc
	v_lshlrev_b32_e32 v1, 24, v15
	v_cndmask_b32_e32 v2, v3, v2, vcc
	v_and_b32_e32 v1, 0x80000000, v1
	v_lshl_add_u32 v1, v2, 23, v1
	v_lshl_or_b32 v0, v0, 21, v1
	v_add_u32_e32 v2, 0x38000000, v0
                                        ; implicit-def: $vgpr0
.LBB4_4507:                             ;   in Loop: Header=BB4_4111 Depth=3
	s_andn2_saveexec_b64 s[38:39], s[38:39]
; %bb.4508:                             ;   in Loop: Header=BB4_4111 Depth=3
	v_mov_b32_e32 v1, -1
	v_cmp_gt_i16_sdwa vcc, sext(v15), v1 src0_sel:BYTE_0 src1_sel:DWORD
	v_mov_b32_e32 v1, 0xff800000
	v_cndmask_b32_e32 v1, v1, v47, vcc
	v_cmp_eq_u32_e32 vcc, 0, v0
	v_mov_b32_e32 v0, 0x7f800001
	v_cndmask_b32_e32 v2, v0, v1, vcc
; %bb.4509:                             ;   in Loop: Header=BB4_4111 Depth=3
	s_or_b64 exec, exec, s[38:39]
.LBB4_4510:                             ;   in Loop: Header=BB4_4111 Depth=3
	s_or_b64 exec, exec, s[42:43]
.LBB4_4511:                             ;   in Loop: Header=BB4_4111 Depth=3
	s_or_b64 exec, exec, s[40:41]
	v_cmp_gt_i16_sdwa s[42:43], v11, s44 src0_sel:BYTE_0 src1_sel:DWORD
	s_mov_b64 s[40:41], 0
	s_and_saveexec_b64 vcc, s[42:43]
	s_xor_b64 s[42:43], exec, vcc
	s_cbranch_execz .LBB4_4515
; %bb.4512:                             ;   in Loop: Header=BB4_4111 Depth=3
	v_cmp_eq_u16_sdwa s[38:39], v11, s81 src0_sel:BYTE_0 src1_sel:DWORD
	s_mov_b64 s[40:41], -1
	s_and_saveexec_b64 vcc, s[38:39]
; %bb.4513:                             ;   in Loop: Header=BB4_4111 Depth=3
	s_xor_b64 s[40:41], exec, -1
; %bb.4514:                             ;   in Loop: Header=BB4_4111 Depth=3
	s_or_b64 exec, exec, vcc
	s_and_b64 s[40:41], s[40:41], exec
.LBB4_4515:                             ;   in Loop: Header=BB4_4111 Depth=3
	s_or_saveexec_b64 s[42:43], s[42:43]
	v_bfrev_b32_e32 v3, 1
	s_xor_b64 exec, exec, s[42:43]
; %bb.4516:                             ;   in Loop: Header=BB4_4111 Depth=3
	v_cmp_ne_u16_sdwa vcc, v11, v61 src0_sel:BYTE_0 src1_sel:DWORD
	s_andn2_b64 s[40:41], s[40:41], exec
	s_and_b64 vcc, vcc, exec
	v_mov_b32_e32 v3, 0
	s_or_b64 s[40:41], s[40:41], vcc
; %bb.4517:                             ;   in Loop: Header=BB4_4111 Depth=3
	s_or_b64 exec, exec, s[42:43]
	v_mov_b32_e32 v0, v11
	v_mov_b32_e32 v1, v61
	s_and_saveexec_b64 s[38:39], s[40:41]
	s_cbranch_execz .LBB4_4519
; %bb.4518:                             ;   in Loop: Header=BB4_4111 Depth=3
	v_and_b32_e32 v3, 3, v11
	v_and_b32_e32 v37, 0x7c, v11
	v_cmp_eq_u32_e32 vcc, s71, v37
	v_ffbh_u32_e32 v37, v3
	v_min_u32_e32 v39, 32, v37
	v_subrev_u32_e32 v37, 29, v39
	v_lshlrev_b64 v[37:38], v37, v[0:1]
	v_bfe_u32 v9, v11, 2, 5
	v_cmp_eq_u32_e64 s[40:41], 0, v9
	v_sub_u32_e32 v1, 30, v39
	v_and_b32_e32 v37, 3, v37
	v_cndmask_b32_e64 v1, v9, v1, s[40:41]
	v_cndmask_b32_e64 v9, v3, v37, s[40:41]
	v_lshlrev_b32_e32 v37, 24, v11
	v_and_b32_e32 v37, 0x80000000, v37
	v_cmp_eq_u32_e64 s[40:41], 0, v3
	v_mov_b32_e32 v3, -1
	v_lshl_add_u32 v1, v1, 23, v37
	v_cmp_gt_i16_sdwa s[42:43], sext(v11), v3 src0_sel:BYTE_0 src1_sel:DWORD
	v_mov_b32_e32 v3, 0xff800000
	v_lshl_or_b32 v1, v9, 21, v1
	v_cndmask_b32_e64 v3, v3, v47, s[42:43]
	v_mov_b32_e32 v9, 0x7f800001
	v_add_u32_e32 v1, 0x38000000, v1
	v_cndmask_b32_e64 v3, v9, v3, s[40:41]
	v_cndmask_b32_e32 v3, v1, v3, vcc
.LBB4_4519:                             ;   in Loop: Header=BB4_4111 Depth=3
	s_or_b64 exec, exec, s[38:39]
	v_mul_f32_e32 v37, v2, v3
	v_and_b32_e32 v2, 0x7f800000, v37
	v_mov_b32_e32 v3, v61
	v_cmp_ne_u64_e32 vcc, s[62:63], v[2:3]
	v_and_b32_e32 v1, 0x7fffff, v37
	v_mov_b32_e32 v2, v61
                                        ; implicit-def: $vgpr3
	s_and_saveexec_b64 s[40:41], vcc
	s_xor_b64 s[42:43], exec, s[40:41]
	s_cbranch_execz .LBB4_4533
; %bb.4520:                             ;   in Loop: Header=BB4_4111 Depth=3
	v_and_b32_e32 v38, 0x7fffffff, v37
	v_mov_b32_e32 v39, v61
	v_cmp_gt_u64_e32 vcc, s[78:79], v[38:39]
	v_and_b32_sdwa v9, v37, s81 dst_sel:DWORD dst_unused:UNUSED_PAD src0_sel:BYTE_3 src1_sel:DWORD
                                        ; implicit-def: $vgpr3
	s_and_saveexec_b64 s[40:41], vcc
	s_xor_b64 s[38:39], exec, s[40:41]
	s_cbranch_execz .LBB4_4530
; %bb.4521:                             ;   in Loop: Header=BB4_4111 Depth=3
	v_mov_b32_e32 v3, 0
	v_cmp_ne_u32_e32 vcc, 0, v37
	s_and_saveexec_b64 s[48:49], vcc
	s_cbranch_execz .LBB4_4529
; %bb.4522:                             ;   in Loop: Header=BB4_4111 Depth=3
	v_bfe_u32 v37, v37, 23, 8
	v_cmp_gt_u32_e64 s[40:41], s47, v37
	v_sub_u32_e32 v3, 0x71, v37
	v_cmp_eq_u32_e32 vcc, 0, v37
	v_cndmask_b32_e64 v3, 0, v3, s[40:41]
	v_mov_b32_e32 v38, 0x70
	v_cndmask_b32_e32 v38, v3, v38, vcc
	v_add_u32_e32 v3, 21, v38
	v_or_b32_e32 v39, 0x800000, v1
	v_lshlrev_b64 v[50:51], v3, -1
	v_cndmask_b32_e32 v1, v39, v1, vcc
	v_add_u32_e32 v3, 20, v38
	v_bfi_b32 v50, v50, 0, v1
	v_lshlrev_b64 v[52:53], v3, 1
	v_lshrrev_b64 v[1:2], v38, v[1:2]
	v_bfi_b32 v51, v51, 0, 0
	v_cmp_eq_u64_e64 s[40:41], v[50:51], v[52:53]
	v_mov_b32_e32 v3, v2
	v_mov_b32_e32 v2, v1
	s_and_saveexec_b64 s[50:51], s[40:41]
; %bb.4523:                             ;   in Loop: Header=BB4_4111 Depth=3
	v_bfe_u32 v2, v1, 21, 1
	v_add_co_u32_e64 v2, s[40:41], v1, v2
	v_add_co_u32_e64 v2, s[40:41], -1, v2
; %bb.4524:                             ;   in Loop: Header=BB4_4111 Depth=3
	s_or_b64 exec, exec, s[50:51]
	v_add_u32_e32 v3, 0xffffff81, v37
	v_mov_b32_e32 v37, 0xffffff82
	v_cndmask_b32_e32 v3, v3, v37, vcc
	v_lshrrev_b32_e32 v37, 23, v1
	v_add3_u32 v38, v38, v3, v37
	v_add_u32_e32 v37, 14, v38
	v_and_b32_e32 v2, 0x1fffff, v2
	v_add_u32_e32 v1, v2, v1
	v_mov_b32_e32 v2, v61
	v_cmp_ne_u32_e32 vcc, 0, v37
                                        ; implicit-def: $vgpr3
	s_and_saveexec_b64 s[40:41], vcc
	s_xor_b64 s[40:41], exec, s[40:41]
; %bb.4525:                             ;   in Loop: Header=BB4_4111 Depth=3
	v_cmp_lt_u64_e32 vcc, s[88:89], v[1:2]
	v_add_u32_e32 v3, 15, v38
	v_cndmask_b32_e32 v3, v37, v3, vcc
	v_cndmask_b32_e64 v37, 0, 1, vcc
	v_lshrrev_b64 v[1:2], v37, v[1:2]
; %bb.4526:                             ;   in Loop: Header=BB4_4111 Depth=3
	s_andn2_saveexec_b64 s[40:41], s[40:41]
; %bb.4527:                             ;   in Loop: Header=BB4_4111 Depth=3
	v_bfe_u32 v3, v1, 23, 1
; %bb.4528:                             ;   in Loop: Header=BB4_4111 Depth=3
	s_or_b64 exec, exec, s[40:41]
	v_lshrrev_b64 v[1:2], 21, v[1:2]
	v_cmp_gt_i32_e32 vcc, 32, v3
	v_cndmask_b32_e32 v2, 0, v2, vcc
	v_cndmask_b32_e32 v1, 3, v1, vcc
	v_cmp_eq_u64_e64 s[40:41], 0, v[1:2]
	v_min_i32_e32 v2, 31, v3
	v_lshlrev_b32_e32 v2, 2, v2
	v_cmp_eq_u32_e32 vcc, 0, v3
	v_and_b32_e32 v2, 0xfc, v2
	v_and_or_b32 v1, v1, 3, v2
	s_and_b64 s[40:41], vcc, s[40:41]
	v_cndmask_b32_e64 v1, v1, 0, s[40:41]
	v_or_b32_e32 v3, v1, v9
.LBB4_4529:                             ;   in Loop: Header=BB4_4111 Depth=3
	s_or_b64 exec, exec, s[48:49]
                                        ; implicit-def: $vgpr9
.LBB4_4530:                             ;   in Loop: Header=BB4_4111 Depth=3
	s_andn2_saveexec_b64 s[40:41], s[38:39]
; %bb.4531:                             ;   in Loop: Header=BB4_4111 Depth=3
	v_or_b32_e32 v3, 0x7b, v9
; %bb.4532:                             ;   in Loop: Header=BB4_4111 Depth=3
	s_or_b64 exec, exec, s[40:41]
                                        ; implicit-def: $vgpr37
                                        ; implicit-def: $vgpr1_vgpr2
.LBB4_4533:                             ;   in Loop: Header=BB4_4111 Depth=3
	s_andn2_saveexec_b64 s[40:41], s[42:43]
	s_cbranch_execz .LBB4_4539
; %bb.4534:                             ;   in Loop: Header=BB4_4111 Depth=3
	v_cmp_ne_u64_e32 vcc, 0, v[1:2]
                                        ; implicit-def: $vgpr3
	s_and_saveexec_b64 s[42:43], vcc
	s_xor_b64 s[42:43], exec, s[42:43]
; %bb.4535:                             ;   in Loop: Header=BB4_4111 Depth=3
	v_or_b32_sdwa v3, v37, s44 dst_sel:DWORD dst_unused:UNUSED_PAD src0_sel:BYTE_3 src1_sel:DWORD
                                        ; implicit-def: $vgpr37
; %bb.4536:                             ;   in Loop: Header=BB4_4111 Depth=3
	s_andn2_saveexec_b64 s[42:43], s[42:43]
; %bb.4537:                             ;   in Loop: Header=BB4_4111 Depth=3
	v_cmp_lt_i32_e32 vcc, -1, v37
	v_bfrev_b32_e32 v1, 0.5
	v_mov_b32_e32 v2, 0x7c
	v_cndmask_b32_e32 v3, v1, v2, vcc
; %bb.4538:                             ;   in Loop: Header=BB4_4111 Depth=3
	s_or_b64 exec, exec, s[42:43]
.LBB4_4539:                             ;   in Loop: Header=BB4_4111 Depth=3
	s_or_b64 exec, exec, s[40:41]
	v_lshrrev_b16_e32 v1, 8, v60
	v_cmp_ne_u16_e32 vcc, 0, v1
	v_mov_b32_e32 v9, 0
	s_and_saveexec_b64 s[40:41], vcc
	s_cbranch_execz .LBB4_4547
; %bb.4540:                             ;   in Loop: Header=BB4_4111 Depth=3
	v_cmp_ne_u16_e32 vcc, s81, v1
	v_bfrev_b32_e32 v9, 1
	s_and_saveexec_b64 s[42:43], vcc
	s_cbranch_execz .LBB4_4546
; %bb.4541:                             ;   in Loop: Header=BB4_4111 Depth=3
	v_and_b32_e32 v2, 0x7c, v1
	v_and_b32_e32 v37, 3, v1
	v_cmp_ne_u32_e32 vcc, s71, v2
                                        ; implicit-def: $vgpr9
	s_and_saveexec_b64 s[38:39], vcc
	s_xor_b64 s[38:39], exec, s[38:39]
	s_cbranch_execz .LBB4_4543
; %bb.4542:                             ;   in Loop: Header=BB4_4111 Depth=3
	v_ffbh_u32_e32 v38, v37
	v_min_u32_e32 v38, 32, v38
	v_mov_b32_e32 v2, v61
	v_subrev_u32_e32 v39, 29, v38
	v_bfe_u32 v9, v1, 2, 5
	v_lshlrev_b64 v[1:2], v39, v[1:2]
	v_sub_u32_e32 v2, 30, v38
	v_cmp_eq_u32_e32 vcc, 0, v9
	v_cndmask_b32_e32 v2, v9, v2, vcc
	v_lshlrev_b32_e32 v9, 16, v60
	v_and_b32_e32 v1, 3, v1
	v_and_b32_e32 v9, 0x80000000, v9
	v_cndmask_b32_e32 v1, v37, v1, vcc
	v_lshl_add_u32 v2, v2, 23, v9
	v_lshl_or_b32 v1, v1, 21, v2
	v_add_u32_e32 v9, 0x38000000, v1
                                        ; implicit-def: $vgpr37
.LBB4_4543:                             ;   in Loop: Header=BB4_4111 Depth=3
	s_andn2_saveexec_b64 s[38:39], s[38:39]
; %bb.4544:                             ;   in Loop: Header=BB4_4111 Depth=3
	v_cmp_lt_i16_e32 vcc, -1, v60
	v_mov_b32_e32 v1, 0xff800000
	v_cndmask_b32_e32 v1, v1, v47, vcc
	v_cmp_eq_u32_e32 vcc, 0, v37
	v_mov_b32_e32 v2, 0x7f800001
	v_cndmask_b32_e32 v9, v2, v1, vcc
; %bb.4545:                             ;   in Loop: Header=BB4_4111 Depth=3
	s_or_b64 exec, exec, s[38:39]
.LBB4_4546:                             ;   in Loop: Header=BB4_4111 Depth=3
	s_or_b64 exec, exec, s[42:43]
.LBB4_4547:                             ;   in Loop: Header=BB4_4111 Depth=3
	s_or_b64 exec, exec, s[40:41]
	v_lshrrev_b16_e32 v1, 8, v0
	v_cmp_lt_i16_e32 vcc, s44, v1
	s_mov_b64 s[40:41], 0
	s_and_saveexec_b64 s[42:43], vcc
	s_xor_b64 s[42:43], exec, s[42:43]
	s_cbranch_execz .LBB4_4654
; %bb.4548:                             ;   in Loop: Header=BB4_4111 Depth=3
	v_cmp_eq_u16_e32 vcc, s81, v1
	s_mov_b64 s[40:41], -1
	s_and_saveexec_b64 s[38:39], vcc
; %bb.4549:                             ;   in Loop: Header=BB4_4111 Depth=3
	s_xor_b64 s[40:41], exec, -1
; %bb.4550:                             ;   in Loop: Header=BB4_4111 Depth=3
	s_or_b64 exec, exec, s[38:39]
	s_and_b64 s[40:41], s[40:41], exec
	s_or_saveexec_b64 s[42:43], s[42:43]
	v_bfrev_b32_e32 v2, 1
	s_xor_b64 exec, exec, s[42:43]
	s_cbranch_execnz .LBB4_4655
.LBB4_4551:                             ;   in Loop: Header=BB4_4111 Depth=3
	s_or_b64 exec, exec, s[42:43]
	s_and_saveexec_b64 s[38:39], s[40:41]
	s_cbranch_execz .LBB4_4553
.LBB4_4552:                             ;   in Loop: Header=BB4_4111 Depth=3
	v_and_b32_e32 v39, 3, v1
	v_and_b32_e32 v37, 0x7c, v1
	v_cmp_eq_u32_e32 vcc, s71, v37
	v_ffbh_u32_e32 v37, v39
	v_min_u32_e32 v51, 32, v37
	v_mov_b32_e32 v2, v61
	v_subrev_u32_e32 v37, 29, v51
	v_bfe_u32 v50, v1, 2, 5
	v_lshlrev_b64 v[37:38], v37, v[1:2]
	v_cmp_eq_u32_e64 s[40:41], 0, v50
	v_sub_u32_e32 v2, 30, v51
	v_lshlrev_b32_e32 v1, 24, v1
	v_and_b32_e32 v37, 3, v37
	v_cndmask_b32_e64 v2, v50, v2, s[40:41]
	v_and_b32_e32 v1, 0x80000000, v1
	v_cndmask_b32_e64 v37, v39, v37, s[40:41]
	v_lshl_add_u32 v1, v2, 23, v1
	v_cmp_lt_i16_e64 s[42:43], -1, v0
	v_mov_b32_e32 v0, 0xff800000
	v_lshl_or_b32 v1, v37, 21, v1
	v_cmp_eq_u32_e64 s[40:41], 0, v39
	v_cndmask_b32_e64 v0, v0, v47, s[42:43]
	v_mov_b32_e32 v2, 0x7f800001
	v_add_u32_e32 v1, 0x38000000, v1
	v_cndmask_b32_e64 v0, v2, v0, s[40:41]
	v_cndmask_b32_e32 v2, v1, v0, vcc
.LBB4_4553:                             ;   in Loop: Header=BB4_4111 Depth=3
	s_or_b64 exec, exec, s[38:39]
	v_mul_f32_e32 v0, v9, v2
	v_and_b32_e32 v1, 0x7f800000, v0
	v_mov_b32_e32 v2, v61
	v_cmp_ne_u64_e32 vcc, s[62:63], v[1:2]
	v_and_b32_e32 v60, 0x7fffff, v0
                                        ; implicit-def: $vgpr37
	s_and_saveexec_b64 s[40:41], vcc
	s_xor_b64 s[42:43], exec, s[40:41]
	s_cbranch_execz .LBB4_4567
; %bb.4554:                             ;   in Loop: Header=BB4_4111 Depth=3
	v_and_b32_e32 v1, 0x7fffffff, v0
	v_mov_b32_e32 v2, v61
	v_cmp_gt_u64_e32 vcc, s[78:79], v[1:2]
	v_and_b32_sdwa v9, v0, s81 dst_sel:DWORD dst_unused:UNUSED_PAD src0_sel:BYTE_3 src1_sel:DWORD
                                        ; implicit-def: $vgpr37
	s_and_saveexec_b64 s[40:41], vcc
	s_xor_b64 s[38:39], exec, s[40:41]
	s_cbranch_execz .LBB4_4564
; %bb.4555:                             ;   in Loop: Header=BB4_4111 Depth=3
	v_mov_b32_e32 v37, 0
	v_cmp_ne_u32_e32 vcc, 0, v0
	s_and_saveexec_b64 s[48:49], vcc
	s_cbranch_execz .LBB4_4563
; %bb.4556:                             ;   in Loop: Header=BB4_4111 Depth=3
	v_bfe_u32 v37, v0, 23, 8
	v_cmp_gt_u32_e64 s[40:41], s47, v37
	v_sub_u32_e32 v0, 0x71, v37
	v_cmp_eq_u32_e32 vcc, 0, v37
	v_cndmask_b32_e64 v0, 0, v0, s[40:41]
	v_mov_b32_e32 v2, 0x70
	v_cndmask_b32_e32 v38, v0, v2, vcc
	v_add_u32_e32 v2, 21, v38
	v_or_b32_e32 v1, 0x800000, v60
	v_lshlrev_b64 v[50:51], v2, -1
	v_cndmask_b32_e32 v0, v1, v60, vcc
	v_mov_b32_e32 v1, v61
	v_add_u32_e32 v2, 20, v38
	v_bfi_b32 v50, v50, 0, v0
	v_lshlrev_b64 v[52:53], v2, 1
	v_lshrrev_b64 v[0:1], v38, v[0:1]
	v_bfi_b32 v51, v51, 0, 0
	v_cmp_eq_u64_e64 s[40:41], v[50:51], v[52:53]
	v_mov_b32_e32 v2, v1
	v_mov_b32_e32 v1, v0
	s_and_saveexec_b64 s[50:51], s[40:41]
; %bb.4557:                             ;   in Loop: Header=BB4_4111 Depth=3
	v_bfe_u32 v1, v0, 21, 1
	v_add_co_u32_e64 v1, s[40:41], v0, v1
	v_add_co_u32_e64 v1, s[40:41], -1, v1
; %bb.4558:                             ;   in Loop: Header=BB4_4111 Depth=3
	s_or_b64 exec, exec, s[50:51]
	v_add_u32_e32 v2, 0xffffff81, v37
	v_mov_b32_e32 v37, 0xffffff82
	v_cndmask_b32_e32 v2, v2, v37, vcc
	v_lshrrev_b32_e32 v37, 23, v0
	v_add3_u32 v38, v38, v2, v37
	v_add_u32_e32 v37, 14, v38
	v_and_b32_e32 v1, 0x1fffff, v1
	v_add_u32_e32 v60, v1, v0
	v_cmp_ne_u32_e32 vcc, 0, v37
                                        ; implicit-def: $vgpr0_vgpr1
                                        ; implicit-def: $vgpr2
	s_and_saveexec_b64 s[40:41], vcc
	s_xor_b64 s[40:41], exec, s[40:41]
; %bb.4559:                             ;   in Loop: Header=BB4_4111 Depth=3
	v_cmp_lt_u64_e32 vcc, s[88:89], v[60:61]
	v_add_u32_e32 v0, 15, v38
	v_cndmask_b32_e32 v2, v37, v0, vcc
	v_cndmask_b32_e64 v0, 0, 1, vcc
	v_lshrrev_b64 v[0:1], v0, v[60:61]
; %bb.4560:                             ;   in Loop: Header=BB4_4111 Depth=3
	s_andn2_saveexec_b64 s[40:41], s[40:41]
; %bb.4561:                             ;   in Loop: Header=BB4_4111 Depth=3
	v_mov_b32_e32 v0, v60
	v_mov_b32_e32 v1, v61
	v_bfe_u32 v2, v60, 23, 1
; %bb.4562:                             ;   in Loop: Header=BB4_4111 Depth=3
	s_or_b64 exec, exec, s[40:41]
	v_lshrrev_b64 v[0:1], 21, v[0:1]
	v_cmp_gt_i32_e32 vcc, 32, v2
	v_cndmask_b32_e32 v1, 0, v1, vcc
	v_cndmask_b32_e32 v0, 3, v0, vcc
	v_cmp_eq_u64_e64 s[40:41], 0, v[0:1]
	v_min_i32_e32 v1, 31, v2
	v_lshlrev_b32_e32 v1, 2, v1
	v_cmp_eq_u32_e32 vcc, 0, v2
	v_and_b32_e32 v1, 0xfc, v1
	v_and_or_b32 v0, v0, 3, v1
	s_and_b64 s[40:41], vcc, s[40:41]
	v_cndmask_b32_e64 v0, v0, 0, s[40:41]
	v_or_b32_e32 v37, v0, v9
.LBB4_4563:                             ;   in Loop: Header=BB4_4111 Depth=3
	s_or_b64 exec, exec, s[48:49]
                                        ; implicit-def: $vgpr9
.LBB4_4564:                             ;   in Loop: Header=BB4_4111 Depth=3
	s_andn2_saveexec_b64 s[40:41], s[38:39]
; %bb.4565:                             ;   in Loop: Header=BB4_4111 Depth=3
	v_or_b32_e32 v37, 0x7b, v9
; %bb.4566:                             ;   in Loop: Header=BB4_4111 Depth=3
	s_or_b64 exec, exec, s[40:41]
                                        ; implicit-def: $vgpr0
.LBB4_4567:                             ;   in Loop: Header=BB4_4111 Depth=3
	s_andn2_saveexec_b64 s[40:41], s[42:43]
	s_cbranch_execz .LBB4_4573
; %bb.4568:                             ;   in Loop: Header=BB4_4111 Depth=3
	v_cmp_ne_u64_e32 vcc, 0, v[60:61]
                                        ; implicit-def: $vgpr37
	s_and_saveexec_b64 s[42:43], vcc
	s_xor_b64 s[42:43], exec, s[42:43]
; %bb.4569:                             ;   in Loop: Header=BB4_4111 Depth=3
	v_or_b32_sdwa v37, v0, s44 dst_sel:DWORD dst_unused:UNUSED_PAD src0_sel:BYTE_3 src1_sel:DWORD
                                        ; implicit-def: $vgpr0
; %bb.4570:                             ;   in Loop: Header=BB4_4111 Depth=3
	s_andn2_saveexec_b64 s[42:43], s[42:43]
; %bb.4571:                             ;   in Loop: Header=BB4_4111 Depth=3
	v_cmp_lt_i32_e32 vcc, -1, v0
	v_bfrev_b32_e32 v0, 0.5
	v_mov_b32_e32 v1, 0x7c
	v_cndmask_b32_e32 v37, v0, v1, vcc
; %bb.4572:                             ;   in Loop: Header=BB4_4111 Depth=3
	s_or_b64 exec, exec, s[42:43]
.LBB4_4573:                             ;   in Loop: Header=BB4_4111 Depth=3
	s_or_b64 exec, exec, s[40:41]
	v_lshrrev_b32_e32 v0, 16, v15
	v_cmp_ne_u16_sdwa s[42:43], v0, v61 src0_sel:BYTE_0 src1_sel:DWORD
	v_mov_b32_e32 v1, 0
	s_and_saveexec_b64 s[40:41], s[42:43]
	s_cbranch_execz .LBB4_4581
; %bb.4574:                             ;   in Loop: Header=BB4_4111 Depth=3
	v_cmp_ne_u16_sdwa vcc, v0, s81 src0_sel:BYTE_0 src1_sel:DWORD
	v_bfrev_b32_e32 v1, 1
	s_and_saveexec_b64 s[42:43], vcc
	s_cbranch_execz .LBB4_4580
; %bb.4575:                             ;   in Loop: Header=BB4_4111 Depth=3
	v_and_b32_e32 v1, 0x7c0000, v15
	v_bfe_u32 v2, v15, 16, 2
	v_cmp_ne_u32_e32 vcc, s45, v1
                                        ; implicit-def: $vgpr1
	s_and_saveexec_b64 s[38:39], vcc
	s_xor_b64 s[38:39], exec, s[38:39]
	s_cbranch_execz .LBB4_4577
; %bb.4576:                             ;   in Loop: Header=BB4_4111 Depth=3
	v_ffbh_u32_e32 v1, v2
	v_min_u32_e32 v38, 32, v1
	v_subrev_u32_e32 v1, 29, v38
	v_lshlrev_b64 v[0:1], v1, v[0:1]
	v_bfe_u32 v9, v15, 18, 5
	v_and_b32_e32 v0, 3, v0
	v_cmp_eq_u32_e32 vcc, 0, v9
	v_sub_u32_e32 v1, 30, v38
	v_cndmask_b32_e32 v0, v2, v0, vcc
	v_lshlrev_b32_e32 v2, 8, v15
	v_cndmask_b32_e32 v1, v9, v1, vcc
	v_and_b32_e32 v2, 0x80000000, v2
	v_lshl_add_u32 v1, v1, 23, v2
	v_lshl_or_b32 v0, v0, 21, v1
	v_add_u32_e32 v1, 0x38000000, v0
                                        ; implicit-def: $vgpr2
                                        ; implicit-def: $vgpr0
.LBB4_4577:                             ;   in Loop: Header=BB4_4111 Depth=3
	s_andn2_saveexec_b64 s[38:39], s[38:39]
; %bb.4578:                             ;   in Loop: Header=BB4_4111 Depth=3
	v_mov_b32_e32 v1, -1
	v_cmp_gt_i16_sdwa vcc, sext(v0), v1 src0_sel:BYTE_0 src1_sel:DWORD
	v_mov_b32_e32 v0, 0xff800000
	v_cndmask_b32_e32 v0, v0, v47, vcc
	v_cmp_eq_u32_e32 vcc, 0, v2
	v_mov_b32_e32 v1, 0x7f800001
	v_cndmask_b32_e32 v1, v1, v0, vcc
; %bb.4579:                             ;   in Loop: Header=BB4_4111 Depth=3
	s_or_b64 exec, exec, s[38:39]
.LBB4_4580:                             ;   in Loop: Header=BB4_4111 Depth=3
	s_or_b64 exec, exec, s[42:43]
.LBB4_4581:                             ;   in Loop: Header=BB4_4111 Depth=3
	s_or_b64 exec, exec, s[40:41]
	v_lshrrev_b32_e32 v0, 16, v11
	v_cmp_gt_i16_sdwa s[42:43], v0, s44 src0_sel:BYTE_0 src1_sel:DWORD
	s_mov_b64 s[40:41], 0
	s_and_saveexec_b64 vcc, s[42:43]
	s_xor_b64 s[42:43], exec, vcc
	s_cbranch_execz .LBB4_4656
; %bb.4582:                             ;   in Loop: Header=BB4_4111 Depth=3
	v_cmp_eq_u16_sdwa s[38:39], v0, s81 src0_sel:BYTE_0 src1_sel:DWORD
	s_mov_b64 s[40:41], -1
	s_and_saveexec_b64 vcc, s[38:39]
; %bb.4583:                             ;   in Loop: Header=BB4_4111 Depth=3
	s_xor_b64 s[40:41], exec, -1
; %bb.4584:                             ;   in Loop: Header=BB4_4111 Depth=3
	s_or_b64 exec, exec, vcc
	s_and_b64 s[40:41], s[40:41], exec
	s_or_saveexec_b64 s[42:43], s[42:43]
	v_bfrev_b32_e32 v2, 1
	s_xor_b64 exec, exec, s[42:43]
	s_cbranch_execnz .LBB4_4657
.LBB4_4585:                             ;   in Loop: Header=BB4_4111 Depth=3
	s_or_b64 exec, exec, s[42:43]
	s_and_saveexec_b64 s[38:39], s[40:41]
	s_cbranch_execz .LBB4_4587
.LBB4_4586:                             ;   in Loop: Header=BB4_4111 Depth=3
	v_and_b32_e32 v2, 3, v0
	v_and_b32_e32 v38, 0x7c0000, v11
	v_cmp_eq_u32_e32 vcc, s45, v38
	v_ffbh_u32_e32 v38, v2
	v_min_u32_e32 v50, 32, v38
	v_subrev_u32_e32 v38, 29, v50
	v_bfe_u32 v9, v11, 18, 5
	v_lshlrev_b64 v[38:39], v38, v[0:1]
	v_cmp_eq_u32_e64 s[40:41], 0, v9
	v_sub_u32_e32 v39, 30, v50
	v_and_b32_e32 v38, 3, v38
	v_cndmask_b32_e64 v9, v9, v39, s[40:41]
	v_lshlrev_b32_e32 v39, 24, v0
	v_cndmask_b32_e64 v38, v2, v38, s[40:41]
	v_and_b32_e32 v39, 0x80000000, v39
	v_cmp_eq_u32_e64 s[40:41], 0, v2
	v_mov_b32_e32 v2, -1
	v_lshl_add_u32 v9, v9, 23, v39
	v_cmp_gt_i16_sdwa s[42:43], sext(v0), v2 src0_sel:BYTE_0 src1_sel:DWORD
	v_mov_b32_e32 v0, 0xff800000
	v_lshl_or_b32 v9, v38, 21, v9
	v_cndmask_b32_e64 v0, v0, v47, s[42:43]
	v_mov_b32_e32 v2, 0x7f800001
	v_add_u32_e32 v9, 0x38000000, v9
	v_cndmask_b32_e64 v0, v2, v0, s[40:41]
	v_cndmask_b32_e32 v2, v9, v0, vcc
.LBB4_4587:                             ;   in Loop: Header=BB4_4111 Depth=3
	s_or_b64 exec, exec, s[38:39]
	v_mul_f32_e32 v0, v1, v2
	v_and_b32_e32 v1, 0x7f800000, v0
	v_mov_b32_e32 v2, v61
	v_cmp_ne_u64_e32 vcc, s[62:63], v[1:2]
	v_and_b32_e32 v60, 0x7fffff, v0
                                        ; implicit-def: $vgpr38
	s_and_saveexec_b64 s[40:41], vcc
	s_xor_b64 s[42:43], exec, s[40:41]
	s_cbranch_execz .LBB4_4601
; %bb.4588:                             ;   in Loop: Header=BB4_4111 Depth=3
	v_and_b32_e32 v1, 0x7fffffff, v0
	v_mov_b32_e32 v2, v61
	v_cmp_gt_u64_e32 vcc, s[78:79], v[1:2]
	v_and_b32_sdwa v9, v0, s81 dst_sel:DWORD dst_unused:UNUSED_PAD src0_sel:BYTE_3 src1_sel:DWORD
                                        ; implicit-def: $vgpr38
	s_and_saveexec_b64 s[40:41], vcc
	s_xor_b64 s[38:39], exec, s[40:41]
	s_cbranch_execz .LBB4_4598
; %bb.4589:                             ;   in Loop: Header=BB4_4111 Depth=3
	v_mov_b32_e32 v38, 0
	v_cmp_ne_u32_e32 vcc, 0, v0
	s_and_saveexec_b64 s[48:49], vcc
	s_cbranch_execz .LBB4_4597
; %bb.4590:                             ;   in Loop: Header=BB4_4111 Depth=3
	v_bfe_u32 v38, v0, 23, 8
	v_cmp_gt_u32_e64 s[40:41], s47, v38
	v_sub_u32_e32 v0, 0x71, v38
	v_cmp_eq_u32_e32 vcc, 0, v38
	v_cndmask_b32_e64 v0, 0, v0, s[40:41]
	v_mov_b32_e32 v2, 0x70
	v_cndmask_b32_e32 v39, v0, v2, vcc
	v_add_u32_e32 v2, 21, v39
	v_or_b32_e32 v1, 0x800000, v60
	v_lshlrev_b64 v[50:51], v2, -1
	v_cndmask_b32_e32 v0, v1, v60, vcc
	v_mov_b32_e32 v1, v61
	v_add_u32_e32 v2, 20, v39
	v_bfi_b32 v50, v50, 0, v0
	v_lshlrev_b64 v[52:53], v2, 1
	v_lshrrev_b64 v[0:1], v39, v[0:1]
	v_bfi_b32 v51, v51, 0, 0
	v_cmp_eq_u64_e64 s[40:41], v[50:51], v[52:53]
	v_mov_b32_e32 v2, v1
	v_mov_b32_e32 v1, v0
	s_and_saveexec_b64 s[50:51], s[40:41]
; %bb.4591:                             ;   in Loop: Header=BB4_4111 Depth=3
	v_bfe_u32 v1, v0, 21, 1
	v_add_co_u32_e64 v1, s[40:41], v0, v1
	v_add_co_u32_e64 v1, s[40:41], -1, v1
; %bb.4592:                             ;   in Loop: Header=BB4_4111 Depth=3
	s_or_b64 exec, exec, s[50:51]
	v_add_u32_e32 v2, 0xffffff81, v38
	v_mov_b32_e32 v38, 0xffffff82
	v_cndmask_b32_e32 v2, v2, v38, vcc
	v_lshrrev_b32_e32 v38, 23, v0
	v_add3_u32 v39, v39, v2, v38
	v_add_u32_e32 v38, 14, v39
	v_and_b32_e32 v1, 0x1fffff, v1
	v_add_u32_e32 v60, v1, v0
	v_cmp_ne_u32_e32 vcc, 0, v38
                                        ; implicit-def: $vgpr0_vgpr1
                                        ; implicit-def: $vgpr2
	s_and_saveexec_b64 s[40:41], vcc
	s_xor_b64 s[40:41], exec, s[40:41]
; %bb.4593:                             ;   in Loop: Header=BB4_4111 Depth=3
	v_cmp_lt_u64_e32 vcc, s[88:89], v[60:61]
	v_add_u32_e32 v0, 15, v39
	v_cndmask_b32_e32 v2, v38, v0, vcc
	v_cndmask_b32_e64 v0, 0, 1, vcc
	v_lshrrev_b64 v[0:1], v0, v[60:61]
; %bb.4594:                             ;   in Loop: Header=BB4_4111 Depth=3
	s_andn2_saveexec_b64 s[40:41], s[40:41]
; %bb.4595:                             ;   in Loop: Header=BB4_4111 Depth=3
	v_mov_b32_e32 v0, v60
	v_mov_b32_e32 v1, v61
	v_bfe_u32 v2, v60, 23, 1
; %bb.4596:                             ;   in Loop: Header=BB4_4111 Depth=3
	s_or_b64 exec, exec, s[40:41]
	v_lshrrev_b64 v[0:1], 21, v[0:1]
	v_cmp_gt_i32_e32 vcc, 32, v2
	v_cndmask_b32_e32 v1, 0, v1, vcc
	v_cndmask_b32_e32 v0, 3, v0, vcc
	v_cmp_eq_u64_e64 s[40:41], 0, v[0:1]
	v_min_i32_e32 v1, 31, v2
	v_lshlrev_b32_e32 v1, 2, v1
	v_cmp_eq_u32_e32 vcc, 0, v2
	v_and_b32_e32 v1, 0xfc, v1
	v_and_or_b32 v0, v0, 3, v1
	s_and_b64 s[40:41], vcc, s[40:41]
	v_cndmask_b32_e64 v0, v0, 0, s[40:41]
	v_or_b32_e32 v38, v0, v9
.LBB4_4597:                             ;   in Loop: Header=BB4_4111 Depth=3
	s_or_b64 exec, exec, s[48:49]
                                        ; implicit-def: $vgpr9
.LBB4_4598:                             ;   in Loop: Header=BB4_4111 Depth=3
	s_andn2_saveexec_b64 s[40:41], s[38:39]
; %bb.4599:                             ;   in Loop: Header=BB4_4111 Depth=3
	v_or_b32_e32 v38, 0x7b, v9
; %bb.4600:                             ;   in Loop: Header=BB4_4111 Depth=3
	s_or_b64 exec, exec, s[40:41]
                                        ; implicit-def: $vgpr0
.LBB4_4601:                             ;   in Loop: Header=BB4_4111 Depth=3
	s_andn2_saveexec_b64 s[40:41], s[42:43]
	s_cbranch_execz .LBB4_4607
; %bb.4602:                             ;   in Loop: Header=BB4_4111 Depth=3
	v_cmp_ne_u64_e32 vcc, 0, v[60:61]
                                        ; implicit-def: $vgpr38
	s_and_saveexec_b64 s[42:43], vcc
	s_xor_b64 s[42:43], exec, s[42:43]
; %bb.4603:                             ;   in Loop: Header=BB4_4111 Depth=3
	v_or_b32_sdwa v38, v0, s44 dst_sel:DWORD dst_unused:UNUSED_PAD src0_sel:BYTE_3 src1_sel:DWORD
                                        ; implicit-def: $vgpr0
; %bb.4604:                             ;   in Loop: Header=BB4_4111 Depth=3
	s_andn2_saveexec_b64 s[42:43], s[42:43]
; %bb.4605:                             ;   in Loop: Header=BB4_4111 Depth=3
	v_cmp_lt_i32_e32 vcc, -1, v0
	v_bfrev_b32_e32 v0, 0.5
	v_mov_b32_e32 v1, 0x7c
	v_cndmask_b32_e32 v38, v0, v1, vcc
; %bb.4606:                             ;   in Loop: Header=BB4_4111 Depth=3
	s_or_b64 exec, exec, s[42:43]
.LBB4_4607:                             ;   in Loop: Header=BB4_4111 Depth=3
	s_or_b64 exec, exec, s[40:41]
	v_cmp_lt_u64_e32 vcc, s[56:57], v[14:15]
	v_mov_b32_e32 v1, 0
	s_and_saveexec_b64 s[40:41], vcc
	s_cbranch_execz .LBB4_4615
; %bb.4608:                             ;   in Loop: Header=BB4_4111 Depth=3
	v_lshrrev_b32_e32 v0, 24, v15
	v_cmp_ne_u32_e32 vcc, s81, v0
	v_bfrev_b32_e32 v1, 1
	s_and_saveexec_b64 s[42:43], vcc
	s_cbranch_execz .LBB4_4614
; %bb.4609:                             ;   in Loop: Header=BB4_4111 Depth=3
	v_and_b32_e32 v1, 0x7c000000, v15
	v_bfe_u32 v2, v15, 24, 2
	v_cmp_ne_u32_e32 vcc, s82, v1
                                        ; implicit-def: $vgpr1
	s_and_saveexec_b64 s[38:39], vcc
	s_xor_b64 s[38:39], exec, s[38:39]
	s_cbranch_execz .LBB4_4611
; %bb.4610:                             ;   in Loop: Header=BB4_4111 Depth=3
	v_ffbh_u32_e32 v1, v2
	v_min_u32_e32 v14, 32, v1
	v_subrev_u32_e32 v1, 29, v14
	v_lshlrev_b64 v[0:1], v1, v[0:1]
	v_bfe_u32 v9, v15, 26, 5
	v_sub_u32_e32 v1, 30, v14
	v_and_b32_e32 v0, 3, v0
	v_cmp_eq_u32_e32 vcc, 0, v9
	v_cndmask_b32_e32 v1, v9, v1, vcc
	v_cndmask_b32_e32 v0, v2, v0, vcc
	v_and_b32_e32 v2, 0x80000000, v15
	v_lshl_add_u32 v1, v1, 23, v2
	v_lshl_or_b32 v0, v0, 21, v1
	v_add_u32_e32 v1, 0x38000000, v0
                                        ; implicit-def: $vgpr2
                                        ; implicit-def: $vgpr14_vgpr15
.LBB4_4611:                             ;   in Loop: Header=BB4_4111 Depth=3
	s_andn2_saveexec_b64 s[38:39], s[38:39]
; %bb.4612:                             ;   in Loop: Header=BB4_4111 Depth=3
	v_cmp_lt_i64_e32 vcc, -1, v[14:15]
	v_mov_b32_e32 v0, 0xff800000
	v_cndmask_b32_e32 v0, v0, v47, vcc
	v_cmp_eq_u32_e32 vcc, 0, v2
	v_mov_b32_e32 v1, 0x7f800001
	v_cndmask_b32_e32 v1, v1, v0, vcc
; %bb.4613:                             ;   in Loop: Header=BB4_4111 Depth=3
	s_or_b64 exec, exec, s[38:39]
.LBB4_4614:                             ;   in Loop: Header=BB4_4111 Depth=3
	s_or_b64 exec, exec, s[42:43]
.LBB4_4615:                             ;   in Loop: Header=BB4_4111 Depth=3
	s_or_b64 exec, exec, s[40:41]
	v_bfe_u32 v2, v11, 24, 2
	v_and_b32_e32 v14, 0x7c000000, v11
	v_cmp_eq_u32_e32 vcc, s82, v14
	v_ffbh_u32_e32 v14, v2
	v_min_u32_e32 v39, 32, v14
	v_lshrrev_b32_e32 v0, 24, v11
	v_subrev_u32_e32 v14, 29, v39
	v_bfe_u32 v9, v11, 26, 5
	v_lshlrev_b64 v[14:15], v14, v[0:1]
	v_cmp_eq_u32_e64 s[40:41], 0, v9
	v_sub_u32_e32 v15, 30, v39
	v_and_b32_e32 v14, 3, v14
	v_cndmask_b32_e64 v9, v9, v15, s[40:41]
	v_and_b32_e32 v15, 0x80000000, v11
	v_cmp_lt_i64_e64 s[42:43], -1, v[10:11]
	v_cndmask_b32_e64 v14, v2, v14, s[40:41]
	v_lshl_add_u32 v9, v9, 23, v15
	v_cmp_eq_u32_e64 s[40:41], 0, v2
	v_mov_b32_e32 v2, 0xff800000
	v_lshl_or_b32 v9, v14, 21, v9
	v_cndmask_b32_e64 v2, v2, v47, s[42:43]
	v_mov_b32_e32 v14, 0x7f800001
	v_add_u32_e32 v9, 0x38000000, v9
	v_cndmask_b32_e64 v2, v14, v2, s[40:41]
	v_cndmask_b32_e32 v2, v9, v2, vcc
	v_cmp_ne_u32_e32 vcc, s81, v0
	v_bfrev_b32_e32 v0, 1
	v_cndmask_b32_e32 v0, v0, v2, vcc
	v_cmp_lt_u64_e32 vcc, s[56:57], v[10:11]
	v_mov_b32_e32 v10, v61
	v_cndmask_b32_e32 v0, 0, v0, vcc
	v_mul_f32_e32 v1, v0, v1
	v_and_b32_e32 v9, 0x7f800000, v1
	v_cmp_ne_u64_e32 vcc, s[62:63], v[9:10]
	v_and_b32_e32 v60, 0x7fffff, v1
                                        ; implicit-def: $vgpr0
	s_and_saveexec_b64 s[40:41], vcc
	s_xor_b64 s[42:43], exec, s[40:41]
	s_cbranch_execz .LBB4_4629
; %bb.4616:                             ;   in Loop: Header=BB4_4111 Depth=3
	v_and_b32_e32 v9, 0x7fffffff, v1
	v_mov_b32_e32 v10, v61
	v_cmp_gt_u64_e32 vcc, s[78:79], v[9:10]
	v_and_b32_sdwa v9, v1, s81 dst_sel:DWORD dst_unused:UNUSED_PAD src0_sel:BYTE_3 src1_sel:DWORD
                                        ; implicit-def: $vgpr0
	s_and_saveexec_b64 s[40:41], vcc
	s_xor_b64 s[38:39], exec, s[40:41]
	s_cbranch_execz .LBB4_4626
; %bb.4617:                             ;   in Loop: Header=BB4_4111 Depth=3
	v_mov_b32_e32 v0, 0
	v_cmp_ne_u32_e32 vcc, 0, v1
	s_and_saveexec_b64 s[48:49], vcc
	s_cbranch_execz .LBB4_4625
; %bb.4618:                             ;   in Loop: Header=BB4_4111 Depth=3
	v_bfe_u32 v10, v1, 23, 8
	v_cmp_gt_u32_e64 s[40:41], s47, v10
	v_sub_u32_e32 v0, 0x71, v10
	v_cmp_eq_u32_e32 vcc, 0, v10
	v_cndmask_b32_e64 v0, 0, v0, s[40:41]
	v_mov_b32_e32 v2, 0x70
	v_cndmask_b32_e32 v11, v0, v2, vcc
	v_add_u32_e32 v2, 21, v11
	v_or_b32_e32 v1, 0x800000, v60
	v_lshlrev_b64 v[14:15], v2, -1
	v_cndmask_b32_e32 v0, v1, v60, vcc
	v_mov_b32_e32 v1, v61
	v_add_u32_e32 v2, 20, v11
	v_bfi_b32 v14, v14, 0, v0
	v_lshlrev_b64 v[50:51], v2, 1
	v_lshrrev_b64 v[0:1], v11, v[0:1]
	v_bfi_b32 v15, v15, 0, 0
	v_cmp_eq_u64_e64 s[40:41], v[14:15], v[50:51]
	v_mov_b32_e32 v2, v1
	v_mov_b32_e32 v1, v0
	s_and_saveexec_b64 s[50:51], s[40:41]
; %bb.4619:                             ;   in Loop: Header=BB4_4111 Depth=3
	v_bfe_u32 v1, v0, 21, 1
	v_add_co_u32_e64 v1, s[40:41], v0, v1
	v_add_co_u32_e64 v1, s[40:41], -1, v1
; %bb.4620:                             ;   in Loop: Header=BB4_4111 Depth=3
	s_or_b64 exec, exec, s[50:51]
	v_add_u32_e32 v2, 0xffffff81, v10
	v_mov_b32_e32 v10, 0xffffff82
	v_cndmask_b32_e32 v2, v2, v10, vcc
	v_lshrrev_b32_e32 v10, 23, v0
	v_add3_u32 v11, v11, v2, v10
	v_add_u32_e32 v10, 14, v11
	v_and_b32_e32 v1, 0x1fffff, v1
	v_add_u32_e32 v60, v1, v0
	v_cmp_ne_u32_e32 vcc, 0, v10
                                        ; implicit-def: $vgpr0_vgpr1
                                        ; implicit-def: $vgpr2
	s_and_saveexec_b64 s[40:41], vcc
	s_xor_b64 s[40:41], exec, s[40:41]
; %bb.4621:                             ;   in Loop: Header=BB4_4111 Depth=3
	v_cmp_lt_u64_e32 vcc, s[88:89], v[60:61]
	v_add_u32_e32 v0, 15, v11
	v_cndmask_b32_e32 v2, v10, v0, vcc
	v_cndmask_b32_e64 v0, 0, 1, vcc
	v_lshrrev_b64 v[0:1], v0, v[60:61]
; %bb.4622:                             ;   in Loop: Header=BB4_4111 Depth=3
	s_andn2_saveexec_b64 s[40:41], s[40:41]
; %bb.4623:                             ;   in Loop: Header=BB4_4111 Depth=3
	v_mov_b32_e32 v0, v60
	v_mov_b32_e32 v1, v61
	v_bfe_u32 v2, v60, 23, 1
; %bb.4624:                             ;   in Loop: Header=BB4_4111 Depth=3
	s_or_b64 exec, exec, s[40:41]
	v_lshrrev_b64 v[0:1], 21, v[0:1]
	v_cmp_gt_i32_e32 vcc, 32, v2
	v_cndmask_b32_e32 v1, 0, v1, vcc
	v_cndmask_b32_e32 v0, 3, v0, vcc
	v_cmp_eq_u64_e64 s[40:41], 0, v[0:1]
	v_min_i32_e32 v1, 31, v2
	v_lshlrev_b32_e32 v1, 2, v1
	v_cmp_eq_u32_e32 vcc, 0, v2
	v_and_b32_e32 v1, 0xfc, v1
	v_and_or_b32 v0, v0, 3, v1
	s_and_b64 s[40:41], vcc, s[40:41]
	v_cndmask_b32_e64 v0, v0, 0, s[40:41]
	v_or_b32_e32 v0, v0, v9
.LBB4_4625:                             ;   in Loop: Header=BB4_4111 Depth=3
	s_or_b64 exec, exec, s[48:49]
                                        ; implicit-def: $vgpr9
.LBB4_4626:                             ;   in Loop: Header=BB4_4111 Depth=3
	s_andn2_saveexec_b64 s[40:41], s[38:39]
; %bb.4627:                             ;   in Loop: Header=BB4_4111 Depth=3
	v_or_b32_e32 v0, 0x7b, v9
; %bb.4628:                             ;   in Loop: Header=BB4_4111 Depth=3
	s_or_b64 exec, exec, s[40:41]
                                        ; implicit-def: $vgpr1
.LBB4_4629:                             ;   in Loop: Header=BB4_4111 Depth=3
	s_andn2_saveexec_b64 s[40:41], s[42:43]
	s_cbranch_execz .LBB4_4635
; %bb.4630:                             ;   in Loop: Header=BB4_4111 Depth=3
	v_cmp_ne_u64_e32 vcc, 0, v[60:61]
                                        ; implicit-def: $vgpr0
	s_and_saveexec_b64 s[42:43], vcc
	s_xor_b64 s[42:43], exec, s[42:43]
; %bb.4631:                             ;   in Loop: Header=BB4_4111 Depth=3
	v_or_b32_sdwa v0, v1, s44 dst_sel:DWORD dst_unused:UNUSED_PAD src0_sel:BYTE_3 src1_sel:DWORD
                                        ; implicit-def: $vgpr1
; %bb.4632:                             ;   in Loop: Header=BB4_4111 Depth=3
	s_andn2_saveexec_b64 s[42:43], s[42:43]
; %bb.4633:                             ;   in Loop: Header=BB4_4111 Depth=3
	v_cmp_lt_i32_e32 vcc, -1, v1
	v_bfrev_b32_e32 v0, 0.5
	v_mov_b32_e32 v1, 0x7c
	v_cndmask_b32_e32 v0, v0, v1, vcc
; %bb.4634:                             ;   in Loop: Header=BB4_4111 Depth=3
	s_or_b64 exec, exec, s[42:43]
.LBB4_4635:                             ;   in Loop: Header=BB4_4111 Depth=3
	s_or_b64 exec, exec, s[40:41]
	v_lshl_or_b32 v1, v31, 8, v30
	v_lshlrev_b32_e32 v2, 16, v34
	v_lshlrev_b32_e32 v8, 24, v8
	v_or3_b32 v9, v1, v2, v8
	v_lshl_or_b32 v1, v27, 8, v26
	v_lshlrev_b32_e32 v2, 16, v28
	v_lshlrev_b32_e32 v8, 24, v29
	v_or3_b32 v8, v1, v2, v8
	;; [unrolled: 4-line block ×3, first 2 shown]
	v_lshlrev_b32_e32 v0, 24, v0
	v_lshlrev_b32_e32 v1, 16, v38
	v_lshl_or_b32 v2, v37, 8, v3
	v_or3_b32 v11, v2, v1, v0
	s_mov_b64 s[48:49], 0
	s_mov_b64 s[38:39], -1
.LBB4_4636:                             ;   Parent Loop BB4_47 Depth=1
                                        ;     Parent Loop BB4_2871 Depth=2
                                        ;       Parent Loop BB4_4111 Depth=3
                                        ; =>      This Inner Loop Header: Depth=4
	s_cmp_eq_u32 s48, 1
	s_cselect_b64 s[40:41], -1, 0
	v_cndmask_b32_e64 v1, v23, v25, s[40:41]
	v_cndmask_b32_e64 v0, v22, v24, s[40:41]
	global_store_dwordx4 v[0:1], v[8:11], off glc slc
	v_add_co_u32_e32 v0, vcc, 0x400, v0
	s_cmp_eq_u32 s48, 0
	v_addc_co_u32_e32 v1, vcc, 0, v1, vcc
	s_cselect_b64 vcc, -1, 0
	s_and_b64 s[42:43], exec, s[38:39]
	s_mov_b64 s[48:49], 1
	v_cndmask_b32_e64 v24, v24, v0, s[40:41]
	s_mov_b64 s[38:39], 0
	v_cndmask_b32_e64 v25, v25, v1, s[40:41]
	v_cndmask_b32_e32 v23, v23, v1, vcc
	v_cndmask_b32_e32 v22, v22, v0, vcc
	s_mov_b64 vcc, s[42:43]
	s_cbranch_vccnz .LBB4_4636
; %bb.4637:                             ;   in Loop: Header=BB4_4111 Depth=3
	buffer_load_dword v0, off, s[0:3], s33 offset:168 ; 4-byte Folded Reload
	buffer_load_dword v1, off, s[0:3], s33 offset:172 ; 4-byte Folded Reload
	s_waitcnt vmcnt(1)
	v_add_co_u32_e32 v16, vcc, v16, v0
	s_waitcnt vmcnt(0)
	v_addc_co_u32_e32 v17, vcc, v17, v1, vcc
	v_add_co_u32_e32 v18, vcc, v18, v0
	buffer_load_dword v0, off, s[0:3], s33 offset:160 ; 4-byte Folded Reload
	v_addc_co_u32_e32 v19, vcc, v19, v1, vcc
	buffer_load_dword v1, off, s[0:3], s33 offset:164 ; 4-byte Folded Reload
	s_waitcnt vmcnt(1)
	v_add_co_u32_e32 v22, vcc, v22, v0
	s_waitcnt vmcnt(0)
	v_addc_co_u32_e32 v23, vcc, v23, v1, vcc
	v_add_co_u32_e32 v24, vcc, v24, v0
	buffer_load_dword v0, off, s[0:3], s33 offset:68 ; 4-byte Folded Reload
	v_addc_co_u32_e32 v25, vcc, v25, v1, vcc
	s_waitcnt vmcnt(0)
	v_sub_u32_e32 v21, v21, v0
	buffer_load_dword v0, off, s[0:3], s33 offset:64 ; 4-byte Folded Reload
	v_cmp_gt_i32_e32 vcc, 16, v21
	s_or_b64 s[36:37], vcc, s[36:37]
	s_waitcnt vmcnt(0)
	v_sub_u32_e32 v7, v7, v0
	s_andn2_b64 exec, exec, s[36:37]
	s_cbranch_execnz .LBB4_4111
	s_branch .LBB4_4658
.LBB4_4638:                             ;   in Loop: Header=BB4_4111 Depth=3
	s_or_saveexec_b64 s[42:43], s[42:43]
	v_bfrev_b32_e32 v1, 1
	s_xor_b64 exec, exec, s[42:43]
	s_cbranch_execz .LBB4_4123
.LBB4_4639:                             ;   in Loop: Header=BB4_4111 Depth=3
	v_cmp_ne_u16_sdwa vcc, v8, v61 src0_sel:BYTE_0 src1_sel:DWORD
	s_andn2_b64 s[40:41], s[40:41], exec
	s_and_b64 vcc, vcc, exec
	v_mov_b32_e32 v1, 0
	s_or_b64 s[40:41], s[40:41], vcc
	s_or_b64 exec, exec, s[42:43]
	s_and_saveexec_b64 s[38:39], s[40:41]
	s_cbranch_execnz .LBB4_4124
	s_branch .LBB4_4125
.LBB4_4640:                             ;   in Loop: Header=BB4_4111 Depth=3
	s_or_saveexec_b64 s[42:43], s[42:43]
	v_bfrev_b32_e32 v1, 1
	s_xor_b64 exec, exec, s[42:43]
	s_cbranch_execz .LBB4_4157
.LBB4_4641:                             ;   in Loop: Header=BB4_4111 Depth=3
	v_cmp_ne_u16_e32 vcc, 0, v0
	s_andn2_b64 s[40:41], s[40:41], exec
	s_and_b64 vcc, vcc, exec
	v_mov_b32_e32 v1, 0
	s_or_b64 s[40:41], s[40:41], vcc
	s_or_b64 exec, exec, s[42:43]
	s_and_saveexec_b64 s[38:39], s[40:41]
	s_cbranch_execnz .LBB4_4158
	s_branch .LBB4_4159
.LBB4_4642:                             ;   in Loop: Header=BB4_4111 Depth=3
	s_or_saveexec_b64 s[42:43], s[42:43]
	v_bfrev_b32_e32 v2, 1
	s_xor_b64 exec, exec, s[42:43]
	s_cbranch_execz .LBB4_4191
.LBB4_4643:                             ;   in Loop: Header=BB4_4111 Depth=3
	v_cmp_ne_u16_sdwa vcc, v0, v61 src0_sel:BYTE_0 src1_sel:DWORD
	s_andn2_b64 s[40:41], s[40:41], exec
	s_and_b64 vcc, vcc, exec
	v_mov_b32_e32 v2, 0
	s_or_b64 s[40:41], s[40:41], vcc
	s_or_b64 exec, exec, s[42:43]
	s_and_saveexec_b64 s[38:39], s[40:41]
	s_cbranch_execnz .LBB4_4192
	s_branch .LBB4_4193
.LBB4_4644:                             ;   in Loop: Header=BB4_4111 Depth=3
	s_or_saveexec_b64 s[42:43], s[42:43]
	v_bfrev_b32_e32 v2, 1
	s_xor_b64 exec, exec, s[42:43]
	s_cbranch_execz .LBB4_4289
.LBB4_4645:                             ;   in Loop: Header=BB4_4111 Depth=3
	v_cmp_ne_u16_e32 vcc, 0, v1
	s_andn2_b64 s[40:41], s[40:41], exec
	s_and_b64 vcc, vcc, exec
	v_mov_b32_e32 v2, 0
	s_or_b64 s[40:41], s[40:41], vcc
	s_or_b64 exec, exec, s[42:43]
	s_and_saveexec_b64 s[38:39], s[40:41]
	s_cbranch_execnz .LBB4_4290
	s_branch .LBB4_4291
.LBB4_4646:                             ;   in Loop: Header=BB4_4111 Depth=3
	s_or_saveexec_b64 s[42:43], s[42:43]
	v_bfrev_b32_e32 v2, 1
	s_xor_b64 exec, exec, s[42:43]
	s_cbranch_execz .LBB4_4323
.LBB4_4647:                             ;   in Loop: Header=BB4_4111 Depth=3
	v_cmp_ne_u16_sdwa vcc, v0, v61 src0_sel:BYTE_0 src1_sel:DWORD
	s_andn2_b64 s[40:41], s[40:41], exec
	s_and_b64 vcc, vcc, exec
	v_mov_b32_e32 v2, 0
	s_or_b64 s[40:41], s[40:41], vcc
	s_or_b64 exec, exec, s[42:43]
	s_and_saveexec_b64 s[38:39], s[40:41]
	s_cbranch_execnz .LBB4_4324
	s_branch .LBB4_4325
.LBB4_4648:                             ;   in Loop: Header=BB4_4111 Depth=3
	s_or_saveexec_b64 s[42:43], s[42:43]
	v_bfrev_b32_e32 v1, 1
	s_xor_b64 exec, exec, s[42:43]
	s_cbranch_execz .LBB4_4385
.LBB4_4649:                             ;   in Loop: Header=BB4_4111 Depth=3
	v_cmp_ne_u16_sdwa vcc, v10, v61 src0_sel:BYTE_0 src1_sel:DWORD
	s_andn2_b64 s[40:41], s[40:41], exec
	s_and_b64 vcc, vcc, exec
	v_mov_b32_e32 v1, 0
	s_or_b64 s[40:41], s[40:41], vcc
	s_or_b64 exec, exec, s[42:43]
	s_and_saveexec_b64 s[38:39], s[40:41]
	s_cbranch_execnz .LBB4_4386
	s_branch .LBB4_4387
.LBB4_4650:                             ;   in Loop: Header=BB4_4111 Depth=3
	s_or_saveexec_b64 s[42:43], s[42:43]
	v_bfrev_b32_e32 v1, 1
	s_xor_b64 exec, exec, s[42:43]
	s_cbranch_execz .LBB4_4419
.LBB4_4651:                             ;   in Loop: Header=BB4_4111 Depth=3
	v_cmp_ne_u16_e32 vcc, 0, v0
	s_andn2_b64 s[40:41], s[40:41], exec
	s_and_b64 vcc, vcc, exec
	v_mov_b32_e32 v1, 0
	s_or_b64 s[40:41], s[40:41], vcc
	s_or_b64 exec, exec, s[42:43]
	s_and_saveexec_b64 s[38:39], s[40:41]
	s_cbranch_execnz .LBB4_4420
	s_branch .LBB4_4421
.LBB4_4652:                             ;   in Loop: Header=BB4_4111 Depth=3
	s_or_saveexec_b64 s[42:43], s[42:43]
	v_bfrev_b32_e32 v2, 1
	s_xor_b64 exec, exec, s[42:43]
	s_cbranch_execz .LBB4_4453
.LBB4_4653:                             ;   in Loop: Header=BB4_4111 Depth=3
	v_cmp_ne_u16_sdwa vcc, v0, v61 src0_sel:BYTE_0 src1_sel:DWORD
	s_andn2_b64 s[40:41], s[40:41], exec
	s_and_b64 vcc, vcc, exec
	v_mov_b32_e32 v2, 0
	s_or_b64 s[40:41], s[40:41], vcc
	s_or_b64 exec, exec, s[42:43]
	s_and_saveexec_b64 s[38:39], s[40:41]
	s_cbranch_execnz .LBB4_4454
	s_branch .LBB4_4455
.LBB4_4654:                             ;   in Loop: Header=BB4_4111 Depth=3
	s_or_saveexec_b64 s[42:43], s[42:43]
	v_bfrev_b32_e32 v2, 1
	s_xor_b64 exec, exec, s[42:43]
	s_cbranch_execz .LBB4_4551
.LBB4_4655:                             ;   in Loop: Header=BB4_4111 Depth=3
	v_cmp_ne_u16_e32 vcc, 0, v1
	s_andn2_b64 s[40:41], s[40:41], exec
	s_and_b64 vcc, vcc, exec
	v_mov_b32_e32 v2, 0
	s_or_b64 s[40:41], s[40:41], vcc
	s_or_b64 exec, exec, s[42:43]
	s_and_saveexec_b64 s[38:39], s[40:41]
	s_cbranch_execnz .LBB4_4552
	s_branch .LBB4_4553
.LBB4_4656:                             ;   in Loop: Header=BB4_4111 Depth=3
	s_or_saveexec_b64 s[42:43], s[42:43]
	v_bfrev_b32_e32 v2, 1
	s_xor_b64 exec, exec, s[42:43]
	s_cbranch_execz .LBB4_4585
.LBB4_4657:                             ;   in Loop: Header=BB4_4111 Depth=3
	v_cmp_ne_u16_sdwa vcc, v0, v61 src0_sel:BYTE_0 src1_sel:DWORD
	s_andn2_b64 s[40:41], s[40:41], exec
	s_and_b64 vcc, vcc, exec
	v_mov_b32_e32 v2, 0
	s_or_b64 s[40:41], s[40:41], vcc
	s_or_b64 exec, exec, s[42:43]
	s_and_saveexec_b64 s[38:39], s[40:41]
	s_cbranch_execnz .LBB4_4586
	s_branch .LBB4_4587
.LBB4_4658:                             ;   in Loop: Header=BB4_2871 Depth=2
	s_or_b64 exec, exec, s[36:37]
	v_mov_b32_e32 v13, v54
	v_mov_b32_e32 v14, v55
.LBB4_4659:                             ;   in Loop: Header=BB4_2871 Depth=2
	s_or_b64 exec, exec, s[34:35]
	buffer_load_dword v21, off, s[0:3], s33 offset:64 ; 4-byte Folded Reload
	buffer_load_dword v0, off, s[0:3], s33 offset:152 ; 4-byte Folded Reload
	v_mov_b32_e32 v8, 0
	s_mov_b64 s[42:43], 0
                                        ; implicit-def: $vgpr3
	s_waitcnt vmcnt(0)
	v_and_b32_e32 v1, 15, v0
	v_cndmask_b32_e64 v41, v20, v1, s[28:29]
	v_cmp_ne_u32_e32 vcc, 0, v41
                                        ; implicit-def: $vgpr0
	s_and_saveexec_b64 s[40:41], vcc
	s_cbranch_execz .LBB4_4661
; %bb.4660:                             ;   in Loop: Header=BB4_2871 Depth=2
	v_sub_u32_e32 v0, v20, v1
	v_cndmask_b32_e64 v0, 0, v0, s[28:29]
	v_cmp_lt_i32_e32 vcc, 0, v7
	v_add3_u32 v8, v6, v4, v0
	v_cndmask_b32_e32 v0, 0, v21, vcc
	v_sub_u32_e32 v0, v0, v7
	v_lshl_add_u32 v3, v0, 6, v5
	v_ashrrev_i32_e32 v0, 31, v3
	v_lshrrev_b32_e32 v0, 26, v0
	v_add_u32_e32 v0, v3, v0
	v_ashrrev_i32_e32 v0, 6, v0
	s_mov_b64 s[42:43], exec
.LBB4_4661:                             ;   in Loop: Header=BB4_2871 Depth=2
	s_or_b64 exec, exec, s[40:41]
	s_and_b64 s[28:29], s[42:43], exec
.LBB4_4662:                             ;   in Loop: Header=BB4_2871 Depth=2
	s_or_b64 exec, exec, s[30:31]
	s_and_saveexec_b64 s[42:43], s[28:29]
	s_cbranch_execz .LBB4_5353
.LBB4_4663:                             ;   in Loop: Header=BB4_2871 Depth=2
	s_waitcnt vmcnt(0)
	v_ashrrev_i32_e32 v1, 31, v41
	v_lshrrev_b32_e32 v1, 22, v1
	v_add_u32_e32 v1, v41, v1
	v_ashrrev_i32_e32 v2, 10, v1
	s_waitcnt vmcnt(0)
	v_sub_u32_e32 v38, v2, v0
	v_ashrrev_i32_e32 v1, 31, v3
	v_cmp_lt_i32_e32 vcc, 0, v38
	v_lshrrev_b32_e32 v1, 26, v1
	s_and_saveexec_b64 s[40:41], vcc
	s_cbranch_execz .LBB4_5307
; %bb.4664:                             ;   in Loop: Header=BB4_2871 Depth=2
	buffer_store_dword v2, off, s[0:3], s33 offset:284 ; 4-byte Folded Spill
	buffer_store_dword v1, off, s[0:3], s33 offset:276 ; 4-byte Folded Spill
	v_add_u32_e32 v1, v3, v1
	v_and_b32_e32 v1, 0xffffffc0, v1
	buffer_store_dword v3, off, s[0:3], s33 offset:288 ; 4-byte Folded Spill
	v_sub_u32_e32 v1, v3, v1
	v_lshlrev_b32_e32 v0, 10, v0
	buffer_store_dword v8, off, s[0:3], s33 offset:292 ; 4-byte Folded Spill
	v_add3_u32 v2, v8, v1, v0
	buffer_load_dword v0, off, s[0:3], s33 offset:116 ; 4-byte Folded Reload
	buffer_load_dword v1, off, s[0:3], s33 offset:120 ; 4-byte Folded Reload
	v_ashrrev_i32_e32 v3, 31, v2
	s_trap 2
	s_mov_b64 s[30:31], 0
	s_waitcnt vmcnt(1)
	v_add_co_u32_e32 v8, vcc, v2, v0
	s_waitcnt vmcnt(0)
	v_addc_co_u32_e32 v9, vcc, v3, v1, vcc
	ds_read_b64 v[0:1], v0
	buffer_load_dword v4, off, s[0:3], s33 offset:184 ; 4-byte Folded Reload
	buffer_load_dword v5, off, s[0:3], s33 offset:188 ; 4-byte Folded Reload
	v_add_co_u32_e32 v10, vcc, v2, v13
	v_addc_co_u32_e32 v11, vcc, v3, v14, vcc
	s_waitcnt vmcnt(1)
	v_add_co_u32_e32 v12, vcc, v2, v4
	s_waitcnt vmcnt(0)
	v_addc_co_u32_e32 v13, vcc, v3, v5, vcc
	s_waitcnt lgkmcnt(0)
	v_add_co_u32_e32 v14, vcc, v0, v2
	v_addc_co_u32_e32 v15, vcc, v1, v3, vcc
	s_branch .LBB4_4667
.LBB4_4665:                             ;   in Loop: Header=BB4_4667 Depth=3
	s_or_b64 exec, exec, s[34:35]
.LBB4_4666:                             ;   in Loop: Header=BB4_4667 Depth=3
	s_or_b64 exec, exec, s[28:29]
	flat_store_byte v[8:9], v34 glc slc
	flat_store_byte v[8:9], v7 offset:64 glc slc
	flat_store_byte v[8:9], v6 offset:128 glc slc
	;; [unrolled: 1-line block ×15, first 2 shown]
	flat_store_byte v[10:11], v34 glc slc
	flat_store_byte v[10:11], v7 offset:64 glc slc
	flat_store_byte v[10:11], v6 offset:128 glc slc
	;; [unrolled: 1-line block ×15, first 2 shown]
	buffer_load_dword v0, off, s[0:3], s33 offset:68 ; 4-byte Folded Reload
	s_nop 0
	buffer_load_dword v21, off, s[0:3], s33 offset:64 ; 4-byte Folded Reload
	s_waitcnt vmcnt(0)
	v_add_co_u32_e32 v12, vcc, v12, v0
	v_addc_co_u32_e32 v13, vcc, 0, v13, vcc
	v_add_co_u32_e32 v14, vcc, v14, v0
	v_addc_co_u32_e32 v15, vcc, 0, v15, vcc
	;; [unrolled: 2-line block ×3, first 2 shown]
	v_sub_u32_e32 v38, v38, v21
	v_cmp_gt_i32_e32 vcc, 1, v38
	s_or_b64 s[30:31], vcc, s[30:31]
	v_add_co_u32_e32 v10, vcc, v10, v0
	v_addc_co_u32_e32 v11, vcc, 0, v11, vcc
	s_andn2_b64 exec, exec, s[30:31]
	s_cbranch_execz .LBB4_5306
.LBB4_4667:                             ;   Parent Loop BB4_47 Depth=1
                                        ;     Parent Loop BB4_2871 Depth=2
                                        ; =>    This Inner Loop Header: Depth=3
	flat_load_sbyte v34, v[12:13] glc slc
	flat_load_sbyte v5, v[12:13] offset:64 glc slc
	flat_load_sbyte v0, v[12:13] offset:128 glc slc
	;; [unrolled: 1-line block ×15, first 2 shown]
	flat_load_sbyte v6, v[14:15] glc slc
	flat_load_sbyte v54, v[14:15] offset:64 glc slc
	flat_load_sbyte v43, v[14:15] offset:128 glc slc
	;; [unrolled: 1-line block ×15, first 2 shown]
	v_mov_b32_e32 v1, 0
	v_mov_b32_e32 v3, 0
	s_waitcnt vmcnt(0) lgkmcnt(0)
	v_cmp_ne_u16_e32 vcc, 0, v34
	s_and_saveexec_b64 s[28:29], vcc
	s_cbranch_execz .LBB4_4675
; %bb.4668:                             ;   in Loop: Header=BB4_4667 Depth=3
	v_cmp_ne_u16_e32 vcc, s70, v34
	v_bfrev_b32_e32 v3, 1
	s_and_saveexec_b64 s[34:35], vcc
	s_cbranch_execz .LBB4_4674
; %bb.4669:                             ;   in Loop: Header=BB4_4667 Depth=3
	v_and_b32_e32 v3, 0x7c, v34
	v_and_b32_e32 v7, 3, v34
	v_cmp_ne_u32_e32 vcc, s71, v3
                                        ; implicit-def: $vgpr3
	s_and_saveexec_b64 s[36:37], vcc
	s_xor_b64 s[36:37], exec, s[36:37]
	s_cbranch_execz .LBB4_4671
; %bb.4670:                             ;   in Loop: Header=BB4_4667 Depth=3
	v_ffbh_u32_e32 v18, v7
	v_min_u32_e32 v18, 32, v18
	v_and_b32_e32 v3, 0xff, v34
	v_mov_b32_e32 v35, v61
	v_subrev_u32_e32 v25, 29, v18
	v_bfe_u32 v3, v3, 2, 5
	v_mov_b32_e32 v31, v44
	v_lshlrev_b64 v[44:45], v25, v[34:35]
	v_sub_u32_e32 v18, 30, v18
	v_cmp_eq_u32_e32 vcc, 0, v3
	v_and_b32_e32 v25, 3, v44
	v_cndmask_b32_e32 v3, v3, v18, vcc
	v_and_b32_sdwa v18, sext(v34), s80 dst_sel:DWORD dst_unused:UNUSED_PAD src0_sel:WORD_0 src1_sel:DWORD
	v_cndmask_b32_e32 v7, v7, v25, vcc
	v_lshl_add_u32 v3, v3, 23, v18
	v_lshl_or_b32 v3, v7, 21, v3
	v_mov_b32_e32 v44, v31
	v_add_u32_e32 v3, 0x38000000, v3
                                        ; implicit-def: $vgpr7
                                        ; implicit-def: $vgpr34
.LBB4_4671:                             ;   in Loop: Header=BB4_4667 Depth=3
	s_andn2_saveexec_b64 s[36:37], s[36:37]
; %bb.4672:                             ;   in Loop: Header=BB4_4667 Depth=3
	v_cmp_lt_i16_e32 vcc, -1, v34
	v_mov_b32_e32 v3, 0xff800000
	v_cndmask_b32_e32 v3, v3, v47, vcc
	v_cmp_eq_u32_e32 vcc, 0, v7
	v_mov_b32_e32 v7, 0x7f800001
	v_cndmask_b32_e32 v3, v7, v3, vcc
; %bb.4673:                             ;   in Loop: Header=BB4_4667 Depth=3
	s_or_b64 exec, exec, s[36:37]
.LBB4_4674:                             ;   in Loop: Header=BB4_4667 Depth=3
	s_or_b64 exec, exec, s[34:35]
.LBB4_4675:                             ;   in Loop: Header=BB4_4667 Depth=3
	s_or_b64 exec, exec, s[28:29]
	v_cmp_ne_u16_e32 vcc, 0, v6
	s_and_saveexec_b64 s[28:29], vcc
	s_cbranch_execz .LBB4_4683
; %bb.4676:                             ;   in Loop: Header=BB4_4667 Depth=3
	v_cmp_ne_u16_e32 vcc, s70, v6
	v_bfrev_b32_e32 v1, 1
	s_and_saveexec_b64 s[34:35], vcc
	s_cbranch_execz .LBB4_4682
; %bb.4677:                             ;   in Loop: Header=BB4_4667 Depth=3
	v_and_b32_e32 v1, 0x7c, v6
	v_and_b32_e32 v18, 3, v6
	v_cmp_ne_u32_e32 vcc, s71, v1
                                        ; implicit-def: $vgpr1
	s_and_saveexec_b64 s[36:37], vcc
	s_xor_b64 s[36:37], exec, s[36:37]
	s_cbranch_execz .LBB4_4679
; %bb.4678:                             ;   in Loop: Header=BB4_4667 Depth=3
	v_ffbh_u32_e32 v25, v18
	v_min_u32_e32 v25, 32, v25
	v_and_b32_e32 v1, 0xff, v6
	v_mov_b32_e32 v7, v61
	v_subrev_u32_e32 v31, 29, v25
	v_bfe_u32 v1, v1, 2, 5
	v_lshlrev_b64 v[34:35], v31, v[6:7]
	v_sub_u32_e32 v7, 30, v25
	v_cmp_eq_u32_e32 vcc, 0, v1
	v_and_b32_e32 v25, 3, v34
	v_cndmask_b32_e32 v1, v1, v7, vcc
	v_and_b32_sdwa v6, sext(v6), s80 dst_sel:DWORD dst_unused:UNUSED_PAD src0_sel:WORD_0 src1_sel:DWORD
	v_cndmask_b32_e32 v7, v18, v25, vcc
	v_lshl_add_u32 v1, v1, 23, v6
	v_lshl_or_b32 v1, v7, 21, v1
	v_add_u32_e32 v1, 0x38000000, v1
                                        ; implicit-def: $vgpr18
                                        ; implicit-def: $vgpr6
.LBB4_4679:                             ;   in Loop: Header=BB4_4667 Depth=3
	s_andn2_saveexec_b64 s[36:37], s[36:37]
; %bb.4680:                             ;   in Loop: Header=BB4_4667 Depth=3
	v_cmp_lt_i16_e32 vcc, -1, v6
	v_mov_b32_e32 v1, 0xff800000
	v_cndmask_b32_e32 v1, v1, v47, vcc
	v_cmp_eq_u32_e32 vcc, 0, v18
	v_mov_b32_e32 v6, 0x7f800001
	v_cndmask_b32_e32 v1, v6, v1, vcc
; %bb.4681:                             ;   in Loop: Header=BB4_4667 Depth=3
	s_or_b64 exec, exec, s[36:37]
.LBB4_4682:                             ;   in Loop: Header=BB4_4667 Depth=3
	s_or_b64 exec, exec, s[34:35]
.LBB4_4683:                             ;   in Loop: Header=BB4_4667 Depth=3
	s_or_b64 exec, exec, s[28:29]
	v_mul_f32_e32 v3, v3, v1
	v_and_b32_e32 v6, 0x7f800000, v3
	v_mov_b32_e32 v7, v61
	v_cmp_ne_u64_e32 vcc, s[62:63], v[6:7]
	v_and_b32_e32 v60, 0x7fffff, v3
                                        ; implicit-def: $vgpr34
	s_and_saveexec_b64 s[28:29], vcc
	s_xor_b64 s[34:35], exec, s[28:29]
	s_cbranch_execz .LBB4_4701
; %bb.4684:                             ;   in Loop: Header=BB4_4667 Depth=3
	v_and_b32_e32 v6, 0x7fffffff, v3
	v_mov_b32_e32 v7, v61
	v_cmp_gt_u64_e32 vcc, s[78:79], v[6:7]
	v_and_b32_sdwa v1, v3, s81 dst_sel:DWORD dst_unused:UNUSED_PAD src0_sel:BYTE_3 src1_sel:DWORD
                                        ; implicit-def: $vgpr34
	s_and_saveexec_b64 s[28:29], vcc
	s_xor_b64 s[36:37], exec, s[28:29]
	s_cbranch_execz .LBB4_4698
; %bb.4685:                             ;   in Loop: Header=BB4_4667 Depth=3
	v_cmp_ne_u32_e32 vcc, 0, v3
	v_mov_b32_e32 v34, 0
	s_and_saveexec_b64 s[38:39], vcc
	s_cbranch_execz .LBB4_4697
; %bb.4686:                             ;   in Loop: Header=BB4_4667 Depth=3
	v_bfe_u32 v3, v3, 23, 8
	v_cmp_gt_u32_e64 s[28:29], s47, v3
	v_sub_u32_e32 v6, 0x71, v3
	v_cmp_eq_u32_e32 vcc, 0, v3
	v_cndmask_b32_e64 v6, 0, v6, s[28:29]
	v_mov_b32_e32 v18, 0x70
	v_cndmask_b32_e32 v18, v6, v18, vcc
	v_add_u32_e32 v25, 21, v18
	v_or_b32_e32 v7, 0x800000, v60
	v_lshlrev_b64 v[34:35], v25, -1
	v_cndmask_b32_e32 v6, v7, v60, vcc
	v_mov_b32_e32 v7, v61
	v_add_u32_e32 v25, 20, v18
	v_mov_b32_e32 v31, v44
	v_bfi_b32 v34, v34, 0, v6
	v_lshlrev_b64 v[44:45], v25, 1
	v_lshrrev_b64 v[6:7], v18, v[6:7]
	v_bfi_b32 v35, v35, 0, 0
	v_cmp_eq_u64_e64 s[28:29], v[34:35], v[44:45]
	v_mov_b32_e32 v35, v7
	v_mov_b32_e32 v34, v6
	s_and_saveexec_b64 s[48:49], s[28:29]
; %bb.4687:                             ;   in Loop: Header=BB4_4667 Depth=3
	v_bfe_u32 v7, v6, 21, 1
	v_add_co_u32_e64 v7, s[28:29], v6, v7
	v_add_co_u32_e64 v34, s[28:29], -1, v7
; %bb.4688:                             ;   in Loop: Header=BB4_4667 Depth=3
	s_or_b64 exec, exec, s[48:49]
	v_add_u32_e32 v3, 0xffffff81, v3
	v_mov_b32_e32 v7, 0xffffff82
	v_cndmask_b32_e32 v3, v3, v7, vcc
	v_lshrrev_b32_e32 v7, 23, v6
	v_add3_u32 v25, v18, v3, v7
	v_add_u32_e32 v18, 14, v25
	v_and_b32_e32 v3, 0x1fffff, v34
	v_add_u32_e32 v60, v3, v6
	v_cmp_ne_u32_e32 vcc, 0, v18
                                        ; implicit-def: $vgpr6_vgpr7
                                        ; implicit-def: $vgpr3
	s_and_saveexec_b64 s[28:29], vcc
	s_xor_b64 s[28:29], exec, s[28:29]
; %bb.4689:                             ;   in Loop: Header=BB4_4667 Depth=3
	v_cmp_lt_u64_e32 vcc, s[88:89], v[60:61]
	v_add_u32_e32 v3, 15, v25
	v_cndmask_b32_e64 v6, 0, 1, vcc
	v_cndmask_b32_e32 v3, v18, v3, vcc
	v_lshrrev_b64 v[6:7], v6, v[60:61]
; %bb.4690:                             ;   in Loop: Header=BB4_4667 Depth=3
	s_or_saveexec_b64 s[28:29], s[28:29]
	v_mov_b32_e32 v44, v31
	s_xor_b64 exec, exec, s[28:29]
; %bb.4691:                             ;   in Loop: Header=BB4_4667 Depth=3
	v_mov_b32_e32 v6, v60
	v_mov_b32_e32 v7, v61
	v_bfe_u32 v3, v60, 23, 1
; %bb.4692:                             ;   in Loop: Header=BB4_4667 Depth=3
	s_or_b64 exec, exec, s[28:29]
	v_lshrrev_b64 v[6:7], 21, v[6:7]
	v_cmp_gt_i32_e32 vcc, 32, v3
	v_cndmask_b32_e32 v7, 0, v7, vcc
	v_cndmask_b32_e32 v6, 3, v6, vcc
	v_cmp_ne_u64_e32 vcc, 0, v[6:7]
	v_cmp_ne_u32_e64 s[28:29], 0, v3
	s_or_b64 s[28:29], s[28:29], vcc
                                        ; implicit-def: $vgpr34
	s_and_saveexec_b64 vcc, s[28:29]
	s_xor_b64 s[28:29], exec, vcc
; %bb.4693:                             ;   in Loop: Header=BB4_4667 Depth=3
	v_min_i32_e32 v3, 31, v3
	v_lshl_or_b32 v1, v3, 2, v1
	v_and_or_b32 v34, v6, 3, v1
                                        ; implicit-def: $vgpr1
; %bb.4694:                             ;   in Loop: Header=BB4_4667 Depth=3
	s_andn2_saveexec_b64 s[28:29], s[28:29]
; %bb.4695:                             ;   in Loop: Header=BB4_4667 Depth=3
	v_mov_b32_e32 v34, v1
; %bb.4696:                             ;   in Loop: Header=BB4_4667 Depth=3
	s_or_b64 exec, exec, s[28:29]
.LBB4_4697:                             ;   in Loop: Header=BB4_4667 Depth=3
	s_or_b64 exec, exec, s[38:39]
                                        ; implicit-def: $vgpr1
.LBB4_4698:                             ;   in Loop: Header=BB4_4667 Depth=3
	s_andn2_saveexec_b64 s[28:29], s[36:37]
; %bb.4699:                             ;   in Loop: Header=BB4_4667 Depth=3
	v_or_b32_e32 v34, 0x7b, v1
; %bb.4700:                             ;   in Loop: Header=BB4_4667 Depth=3
	s_or_b64 exec, exec, s[28:29]
                                        ; implicit-def: $vgpr3
.LBB4_4701:                             ;   in Loop: Header=BB4_4667 Depth=3
	s_andn2_saveexec_b64 s[28:29], s[34:35]
	s_cbranch_execz .LBB4_4707
; %bb.4702:                             ;   in Loop: Header=BB4_4667 Depth=3
	v_cmp_ne_u64_e32 vcc, 0, v[60:61]
                                        ; implicit-def: $vgpr34
	s_and_saveexec_b64 s[34:35], vcc
	s_xor_b64 vcc, exec, s[34:35]
; %bb.4703:                             ;   in Loop: Header=BB4_4667 Depth=3
	v_or_b32_sdwa v34, v3, s44 dst_sel:DWORD dst_unused:UNUSED_PAD src0_sel:BYTE_3 src1_sel:DWORD
                                        ; implicit-def: $vgpr3
; %bb.4704:                             ;   in Loop: Header=BB4_4667 Depth=3
	s_andn2_saveexec_b64 s[34:35], vcc
; %bb.4705:                             ;   in Loop: Header=BB4_4667 Depth=3
	v_cmp_lt_i32_e32 vcc, -1, v3
	v_mov_b32_e32 v1, 0x7c
	v_cndmask_b32_e32 v34, -4, v1, vcc
; %bb.4706:                             ;   in Loop: Header=BB4_4667 Depth=3
	s_or_b64 exec, exec, s[34:35]
.LBB4_4707:                             ;   in Loop: Header=BB4_4667 Depth=3
	s_or_b64 exec, exec, s[28:29]
	v_cmp_ne_u16_e32 vcc, 0, v5
	v_mov_b32_e32 v1, 0
	v_mov_b32_e32 v3, 0
	s_and_saveexec_b64 s[28:29], vcc
	s_cbranch_execz .LBB4_4715
; %bb.4708:                             ;   in Loop: Header=BB4_4667 Depth=3
	v_cmp_ne_u16_e32 vcc, s70, v5
	v_bfrev_b32_e32 v3, 1
	s_and_saveexec_b64 s[34:35], vcc
	s_cbranch_execz .LBB4_4714
; %bb.4709:                             ;   in Loop: Header=BB4_4667 Depth=3
	v_and_b32_e32 v3, 0x7c, v5
	v_and_b32_e32 v7, 3, v5
	v_cmp_ne_u32_e32 vcc, s71, v3
                                        ; implicit-def: $vgpr3
	s_and_saveexec_b64 s[36:37], vcc
	s_xor_b64 s[36:37], exec, s[36:37]
	s_cbranch_execz .LBB4_4711
; %bb.4710:                             ;   in Loop: Header=BB4_4667 Depth=3
	v_ffbh_u32_e32 v18, v7
	v_min_u32_e32 v18, 32, v18
	v_and_b32_e32 v3, 0xff, v5
	v_mov_b32_e32 v6, v61
	v_subrev_u32_e32 v25, 29, v18
	v_bfe_u32 v3, v3, 2, 5
	v_mov_b32_e32 v31, v44
	v_lshlrev_b64 v[44:45], v25, v[5:6]
	v_sub_u32_e32 v6, 30, v18
	v_cmp_eq_u32_e32 vcc, 0, v3
	v_and_b32_e32 v18, 3, v44
	v_cndmask_b32_e32 v3, v3, v6, vcc
	v_and_b32_sdwa v5, sext(v5), s80 dst_sel:DWORD dst_unused:UNUSED_PAD src0_sel:WORD_0 src1_sel:DWORD
	v_cndmask_b32_e32 v6, v7, v18, vcc
	v_lshl_add_u32 v3, v3, 23, v5
	v_lshl_or_b32 v3, v6, 21, v3
	v_mov_b32_e32 v44, v31
	v_add_u32_e32 v3, 0x38000000, v3
                                        ; implicit-def: $vgpr7
                                        ; implicit-def: $vgpr5
.LBB4_4711:                             ;   in Loop: Header=BB4_4667 Depth=3
	s_andn2_saveexec_b64 s[36:37], s[36:37]
; %bb.4712:                             ;   in Loop: Header=BB4_4667 Depth=3
	v_cmp_lt_i16_e32 vcc, -1, v5
	v_mov_b32_e32 v3, 0xff800000
	v_cndmask_b32_e32 v3, v3, v47, vcc
	v_cmp_eq_u32_e32 vcc, 0, v7
	v_mov_b32_e32 v5, 0x7f800001
	v_cndmask_b32_e32 v3, v5, v3, vcc
; %bb.4713:                             ;   in Loop: Header=BB4_4667 Depth=3
	s_or_b64 exec, exec, s[36:37]
.LBB4_4714:                             ;   in Loop: Header=BB4_4667 Depth=3
	s_or_b64 exec, exec, s[34:35]
.LBB4_4715:                             ;   in Loop: Header=BB4_4667 Depth=3
	s_or_b64 exec, exec, s[28:29]
	v_cmp_ne_u16_e32 vcc, 0, v54
	s_and_saveexec_b64 s[28:29], vcc
	s_cbranch_execz .LBB4_4723
; %bb.4716:                             ;   in Loop: Header=BB4_4667 Depth=3
	v_cmp_ne_u16_e32 vcc, s70, v54
	v_bfrev_b32_e32 v1, 1
	s_and_saveexec_b64 s[34:35], vcc
	s_cbranch_execz .LBB4_4722
; %bb.4717:                             ;   in Loop: Header=BB4_4667 Depth=3
	v_and_b32_e32 v1, 0x7c, v54
	v_and_b32_e32 v5, 3, v54
	v_cmp_ne_u32_e32 vcc, s71, v1
                                        ; implicit-def: $vgpr1
	s_and_saveexec_b64 s[36:37], vcc
	s_xor_b64 s[36:37], exec, s[36:37]
	s_cbranch_execz .LBB4_4719
; %bb.4718:                             ;   in Loop: Header=BB4_4667 Depth=3
	v_ffbh_u32_e32 v6, v5
	v_min_u32_e32 v18, 32, v6
	v_mov_b32_e32 v55, v61
	v_subrev_u32_e32 v6, 29, v18
	v_and_b32_e32 v1, 0xff, v54
	v_lshlrev_b64 v[6:7], v6, v[54:55]
	v_bfe_u32 v1, v1, 2, 5
	v_sub_u32_e32 v7, 30, v18
	v_and_b32_e32 v6, 3, v6
	v_cmp_eq_u32_e32 vcc, 0, v1
	v_cndmask_b32_e32 v1, v1, v7, vcc
	v_cndmask_b32_e32 v5, v5, v6, vcc
	v_and_b32_sdwa v6, sext(v54), s80 dst_sel:DWORD dst_unused:UNUSED_PAD src0_sel:WORD_0 src1_sel:DWORD
	v_lshl_add_u32 v1, v1, 23, v6
	v_lshl_or_b32 v1, v5, 21, v1
	v_add_u32_e32 v1, 0x38000000, v1
                                        ; implicit-def: $vgpr5
                                        ; implicit-def: $vgpr54
.LBB4_4719:                             ;   in Loop: Header=BB4_4667 Depth=3
	s_andn2_saveexec_b64 s[36:37], s[36:37]
; %bb.4720:                             ;   in Loop: Header=BB4_4667 Depth=3
	v_cmp_lt_i16_e32 vcc, -1, v54
	v_mov_b32_e32 v1, 0xff800000
	v_cndmask_b32_e32 v1, v1, v47, vcc
	v_cmp_eq_u32_e32 vcc, 0, v5
	v_mov_b32_e32 v5, 0x7f800001
	v_cndmask_b32_e32 v1, v5, v1, vcc
; %bb.4721:                             ;   in Loop: Header=BB4_4667 Depth=3
	s_or_b64 exec, exec, s[36:37]
.LBB4_4722:                             ;   in Loop: Header=BB4_4667 Depth=3
	s_or_b64 exec, exec, s[34:35]
.LBB4_4723:                             ;   in Loop: Header=BB4_4667 Depth=3
	s_or_b64 exec, exec, s[28:29]
	v_mul_f32_e32 v3, v3, v1
	v_and_b32_e32 v5, 0x7f800000, v3
	v_mov_b32_e32 v6, v61
	v_cmp_ne_u64_e32 vcc, s[62:63], v[5:6]
	v_and_b32_e32 v60, 0x7fffff, v3
                                        ; implicit-def: $vgpr7
	s_and_saveexec_b64 s[28:29], vcc
	s_xor_b64 s[34:35], exec, s[28:29]
	s_cbranch_execz .LBB4_4741
; %bb.4724:                             ;   in Loop: Header=BB4_4667 Depth=3
	v_and_b32_e32 v5, 0x7fffffff, v3
	v_mov_b32_e32 v6, v61
	v_cmp_gt_u64_e32 vcc, s[78:79], v[5:6]
	v_and_b32_sdwa v1, v3, s81 dst_sel:DWORD dst_unused:UNUSED_PAD src0_sel:BYTE_3 src1_sel:DWORD
                                        ; implicit-def: $vgpr7
	s_and_saveexec_b64 s[28:29], vcc
	s_xor_b64 s[36:37], exec, s[28:29]
	s_cbranch_execz .LBB4_4738
; %bb.4725:                             ;   in Loop: Header=BB4_4667 Depth=3
	v_cmp_ne_u32_e32 vcc, 0, v3
	v_mov_b32_e32 v7, 0
	s_and_saveexec_b64 s[38:39], vcc
	s_cbranch_execz .LBB4_4737
; %bb.4726:                             ;   in Loop: Header=BB4_4667 Depth=3
	v_bfe_u32 v3, v3, 23, 8
	v_cmp_gt_u32_e64 s[28:29], s47, v3
	v_sub_u32_e32 v5, 0x71, v3
	v_cmp_eq_u32_e32 vcc, 0, v3
	v_cndmask_b32_e64 v5, 0, v5, s[28:29]
	v_mov_b32_e32 v7, 0x70
	v_cndmask_b32_e32 v18, v5, v7, vcc
	v_add_u32_e32 v7, 21, v18
	v_or_b32_e32 v6, 0x800000, v60
	v_lshlrev_b64 v[54:55], v7, -1
	v_cndmask_b32_e32 v5, v6, v60, vcc
	v_mov_b32_e32 v6, v61
	v_add_u32_e32 v7, 20, v18
	v_mov_b32_e32 v25, v44
	v_bfi_b32 v54, v54, 0, v5
	v_lshlrev_b64 v[44:45], v7, 1
	v_lshrrev_b64 v[5:6], v18, v[5:6]
	v_bfi_b32 v55, v55, 0, 0
	v_cmp_eq_u64_e64 s[28:29], v[54:55], v[44:45]
	v_mov_b32_e32 v7, v6
	v_mov_b32_e32 v6, v5
	s_and_saveexec_b64 s[48:49], s[28:29]
; %bb.4727:                             ;   in Loop: Header=BB4_4667 Depth=3
	v_bfe_u32 v6, v5, 21, 1
	v_add_co_u32_e64 v6, s[28:29], v5, v6
	v_add_co_u32_e64 v6, s[28:29], -1, v6
; %bb.4728:                             ;   in Loop: Header=BB4_4667 Depth=3
	s_or_b64 exec, exec, s[48:49]
	v_add_u32_e32 v3, 0xffffff81, v3
	v_mov_b32_e32 v7, 0xffffff82
	v_cndmask_b32_e32 v3, v3, v7, vcc
	v_lshrrev_b32_e32 v7, 23, v5
	v_add3_u32 v18, v18, v3, v7
	v_add_u32_e32 v7, 14, v18
	v_and_b32_e32 v3, 0x1fffff, v6
	v_add_u32_e32 v60, v3, v5
	v_cmp_ne_u32_e32 vcc, 0, v7
                                        ; implicit-def: $vgpr5_vgpr6
                                        ; implicit-def: $vgpr3
	s_and_saveexec_b64 s[28:29], vcc
	s_xor_b64 s[28:29], exec, s[28:29]
; %bb.4729:                             ;   in Loop: Header=BB4_4667 Depth=3
	v_cmp_lt_u64_e32 vcc, s[88:89], v[60:61]
	v_add_u32_e32 v3, 15, v18
	v_cndmask_b32_e64 v5, 0, 1, vcc
	v_lshrrev_b64 v[5:6], v5, v[60:61]
	v_cndmask_b32_e32 v3, v7, v3, vcc
; %bb.4730:                             ;   in Loop: Header=BB4_4667 Depth=3
	s_or_saveexec_b64 s[28:29], s[28:29]
	v_mov_b32_e32 v44, v25
	s_xor_b64 exec, exec, s[28:29]
; %bb.4731:                             ;   in Loop: Header=BB4_4667 Depth=3
	v_mov_b32_e32 v5, v60
	v_mov_b32_e32 v6, v61
	v_bfe_u32 v3, v60, 23, 1
; %bb.4732:                             ;   in Loop: Header=BB4_4667 Depth=3
	s_or_b64 exec, exec, s[28:29]
	v_lshrrev_b64 v[5:6], 21, v[5:6]
	v_cmp_gt_i32_e32 vcc, 32, v3
	v_cndmask_b32_e32 v6, 0, v6, vcc
	v_cndmask_b32_e32 v5, 3, v5, vcc
	v_cmp_ne_u64_e32 vcc, 0, v[5:6]
	v_cmp_ne_u32_e64 s[28:29], 0, v3
	s_or_b64 s[28:29], s[28:29], vcc
                                        ; implicit-def: $vgpr7
	s_and_saveexec_b64 vcc, s[28:29]
	s_xor_b64 s[28:29], exec, vcc
; %bb.4733:                             ;   in Loop: Header=BB4_4667 Depth=3
	v_min_i32_e32 v3, 31, v3
	v_lshl_or_b32 v1, v3, 2, v1
	v_and_or_b32 v7, v5, 3, v1
                                        ; implicit-def: $vgpr1
; %bb.4734:                             ;   in Loop: Header=BB4_4667 Depth=3
	s_andn2_saveexec_b64 s[28:29], s[28:29]
; %bb.4735:                             ;   in Loop: Header=BB4_4667 Depth=3
	v_mov_b32_e32 v7, v1
; %bb.4736:                             ;   in Loop: Header=BB4_4667 Depth=3
	s_or_b64 exec, exec, s[28:29]
.LBB4_4737:                             ;   in Loop: Header=BB4_4667 Depth=3
	s_or_b64 exec, exec, s[38:39]
                                        ; implicit-def: $vgpr1
.LBB4_4738:                             ;   in Loop: Header=BB4_4667 Depth=3
	s_andn2_saveexec_b64 s[28:29], s[36:37]
; %bb.4739:                             ;   in Loop: Header=BB4_4667 Depth=3
	v_or_b32_e32 v7, 0x7b, v1
; %bb.4740:                             ;   in Loop: Header=BB4_4667 Depth=3
	s_or_b64 exec, exec, s[28:29]
                                        ; implicit-def: $vgpr3
.LBB4_4741:                             ;   in Loop: Header=BB4_4667 Depth=3
	s_andn2_saveexec_b64 s[28:29], s[34:35]
	s_cbranch_execz .LBB4_4747
; %bb.4742:                             ;   in Loop: Header=BB4_4667 Depth=3
	v_cmp_ne_u64_e32 vcc, 0, v[60:61]
                                        ; implicit-def: $vgpr7
	s_and_saveexec_b64 s[34:35], vcc
	s_xor_b64 vcc, exec, s[34:35]
; %bb.4743:                             ;   in Loop: Header=BB4_4667 Depth=3
	v_or_b32_sdwa v7, v3, s44 dst_sel:DWORD dst_unused:UNUSED_PAD src0_sel:BYTE_3 src1_sel:DWORD
                                        ; implicit-def: $vgpr3
; %bb.4744:                             ;   in Loop: Header=BB4_4667 Depth=3
	s_andn2_saveexec_b64 s[34:35], vcc
; %bb.4745:                             ;   in Loop: Header=BB4_4667 Depth=3
	v_cmp_lt_i32_e32 vcc, -1, v3
	v_mov_b32_e32 v1, 0x7c
	v_cndmask_b32_e32 v7, -4, v1, vcc
; %bb.4746:                             ;   in Loop: Header=BB4_4667 Depth=3
	s_or_b64 exec, exec, s[34:35]
.LBB4_4747:                             ;   in Loop: Header=BB4_4667 Depth=3
	s_or_b64 exec, exec, s[28:29]
	v_cmp_ne_u16_e32 vcc, 0, v0
	v_mov_b32_e32 v3, 0
	v_mov_b32_e32 v1, 0
	s_and_saveexec_b64 s[28:29], vcc
	s_cbranch_execz .LBB4_4755
; %bb.4748:                             ;   in Loop: Header=BB4_4667 Depth=3
	v_cmp_ne_u16_e32 vcc, s70, v0
	v_bfrev_b32_e32 v1, 1
	s_and_saveexec_b64 s[34:35], vcc
	s_cbranch_execz .LBB4_4754
; %bb.4749:                             ;   in Loop: Header=BB4_4667 Depth=3
	v_and_b32_e32 v1, 0x7c, v0
	v_and_b32_e32 v5, 3, v0
	v_cmp_ne_u32_e32 vcc, s71, v1
                                        ; implicit-def: $vgpr1
	s_and_saveexec_b64 s[36:37], vcc
	s_xor_b64 s[36:37], exec, s[36:37]
	s_cbranch_execz .LBB4_4751
; %bb.4750:                             ;   in Loop: Header=BB4_4667 Depth=3
	v_ffbh_u32_e32 v18, v5
	v_min_u32_e32 v18, 32, v18
	v_and_b32_e32 v6, 0xff, v0
	v_mov_b32_e32 v1, v61
	v_subrev_u32_e32 v25, 29, v18
	v_bfe_u32 v6, v6, 2, 5
	v_lshlrev_b64 v[54:55], v25, v[0:1]
	v_sub_u32_e32 v1, 30, v18
	v_cmp_eq_u32_e32 vcc, 0, v6
	v_and_b32_e32 v18, 3, v54
	v_cndmask_b32_e32 v1, v6, v1, vcc
	v_and_b32_sdwa v0, sext(v0), s80 dst_sel:DWORD dst_unused:UNUSED_PAD src0_sel:WORD_0 src1_sel:DWORD
	v_cndmask_b32_e32 v5, v5, v18, vcc
	v_lshl_add_u32 v0, v1, 23, v0
	v_lshl_or_b32 v0, v5, 21, v0
	v_add_u32_e32 v1, 0x38000000, v0
                                        ; implicit-def: $vgpr5
                                        ; implicit-def: $vgpr0
.LBB4_4751:                             ;   in Loop: Header=BB4_4667 Depth=3
	s_andn2_saveexec_b64 s[36:37], s[36:37]
; %bb.4752:                             ;   in Loop: Header=BB4_4667 Depth=3
	v_cmp_lt_i16_e32 vcc, -1, v0
	v_mov_b32_e32 v0, 0xff800000
	v_cndmask_b32_e32 v0, v0, v47, vcc
	v_cmp_eq_u32_e32 vcc, 0, v5
	v_mov_b32_e32 v1, 0x7f800001
	v_cndmask_b32_e32 v1, v1, v0, vcc
; %bb.4753:                             ;   in Loop: Header=BB4_4667 Depth=3
	s_or_b64 exec, exec, s[36:37]
.LBB4_4754:                             ;   in Loop: Header=BB4_4667 Depth=3
	s_or_b64 exec, exec, s[34:35]
.LBB4_4755:                             ;   in Loop: Header=BB4_4667 Depth=3
	s_or_b64 exec, exec, s[28:29]
	v_cmp_ne_u16_e32 vcc, 0, v43
	s_and_saveexec_b64 s[28:29], vcc
	s_cbranch_execz .LBB4_4763
; %bb.4756:                             ;   in Loop: Header=BB4_4667 Depth=3
	v_cmp_ne_u16_e32 vcc, s70, v43
	v_bfrev_b32_e32 v3, 1
	s_and_saveexec_b64 s[34:35], vcc
	s_cbranch_execz .LBB4_4762
; %bb.4757:                             ;   in Loop: Header=BB4_4667 Depth=3
	v_and_b32_e32 v3, 0x7c, v43
	v_and_b32_e32 v0, 3, v43
	v_cmp_ne_u32_e32 vcc, s71, v3
                                        ; implicit-def: $vgpr3
	s_and_saveexec_b64 s[36:37], vcc
	s_xor_b64 s[36:37], exec, s[36:37]
	s_cbranch_execz .LBB4_4759
; %bb.4758:                             ;   in Loop: Header=BB4_4667 Depth=3
	v_ffbh_u32_e32 v5, v0
	v_min_u32_e32 v18, 32, v5
	v_mov_b32_e32 v25, v44
	v_mov_b32_e32 v44, v61
	v_subrev_u32_e32 v5, 29, v18
	v_and_b32_e32 v3, 0xff, v43
	v_lshlrev_b64 v[5:6], v5, v[43:44]
	v_bfe_u32 v3, v3, 2, 5
	v_sub_u32_e32 v6, 30, v18
	v_and_b32_e32 v5, 3, v5
	v_cmp_eq_u32_e32 vcc, 0, v3
	v_cndmask_b32_e32 v3, v3, v6, vcc
	v_cndmask_b32_e32 v0, v0, v5, vcc
	v_and_b32_sdwa v5, sext(v43), s80 dst_sel:DWORD dst_unused:UNUSED_PAD src0_sel:WORD_0 src1_sel:DWORD
	v_lshl_add_u32 v3, v3, 23, v5
	v_lshl_or_b32 v0, v0, 21, v3
	v_mov_b32_e32 v44, v25
	v_add_u32_e32 v3, 0x38000000, v0
                                        ; implicit-def: $vgpr0
                                        ; implicit-def: $vgpr43
.LBB4_4759:                             ;   in Loop: Header=BB4_4667 Depth=3
	s_andn2_saveexec_b64 s[36:37], s[36:37]
; %bb.4760:                             ;   in Loop: Header=BB4_4667 Depth=3
	v_cmp_lt_i16_e32 vcc, -1, v43
	v_mov_b32_e32 v3, 0xff800000
	v_cndmask_b32_e32 v3, v3, v47, vcc
	v_cmp_eq_u32_e32 vcc, 0, v0
	v_mov_b32_e32 v0, 0x7f800001
	v_cndmask_b32_e32 v3, v0, v3, vcc
; %bb.4761:                             ;   in Loop: Header=BB4_4667 Depth=3
	s_or_b64 exec, exec, s[36:37]
.LBB4_4762:                             ;   in Loop: Header=BB4_4667 Depth=3
	s_or_b64 exec, exec, s[34:35]
.LBB4_4763:                             ;   in Loop: Header=BB4_4667 Depth=3
	s_or_b64 exec, exec, s[28:29]
	v_mul_f32_e32 v0, v1, v3
	v_and_b32_e32 v5, 0x7f800000, v0
	v_mov_b32_e32 v6, v61
	v_cmp_ne_u64_e32 vcc, s[62:63], v[5:6]
	v_and_b32_e32 v60, 0x7fffff, v0
                                        ; implicit-def: $vgpr6
	s_and_saveexec_b64 s[28:29], vcc
	s_xor_b64 s[34:35], exec, s[28:29]
	s_cbranch_execz .LBB4_4781
; %bb.4764:                             ;   in Loop: Header=BB4_4667 Depth=3
	v_and_b32_e32 v5, 0x7fffffff, v0
	v_mov_b32_e32 v6, v61
	v_cmp_gt_u64_e32 vcc, s[78:79], v[5:6]
	v_and_b32_sdwa v3, v0, s81 dst_sel:DWORD dst_unused:UNUSED_PAD src0_sel:BYTE_3 src1_sel:DWORD
                                        ; implicit-def: $vgpr6
	s_and_saveexec_b64 s[28:29], vcc
	s_xor_b64 s[36:37], exec, s[28:29]
	s_cbranch_execz .LBB4_4778
; %bb.4765:                             ;   in Loop: Header=BB4_4667 Depth=3
	v_cmp_ne_u32_e32 vcc, 0, v0
	v_mov_b32_e32 v6, 0
	s_and_saveexec_b64 s[38:39], vcc
	s_cbranch_execz .LBB4_4777
; %bb.4766:                             ;   in Loop: Header=BB4_4667 Depth=3
	v_bfe_u32 v18, v0, 23, 8
	v_cmp_gt_u32_e64 s[28:29], s47, v18
	v_sub_u32_e32 v0, 0x71, v18
	v_cmp_eq_u32_e32 vcc, 0, v18
	v_cndmask_b32_e64 v0, 0, v0, s[28:29]
	v_mov_b32_e32 v5, 0x70
	v_cndmask_b32_e32 v25, v0, v5, vcc
	v_add_u32_e32 v5, 21, v25
	v_or_b32_e32 v1, 0x800000, v60
	v_lshlrev_b64 v[5:6], v5, -1
	v_cndmask_b32_e32 v0, v1, v60, vcc
	v_mov_b32_e32 v1, v61
	v_add_u32_e32 v31, 20, v25
	v_bfi_b32 v5, v5, 0, v0
	v_lshlrev_b64 v[54:55], v31, 1
	v_lshrrev_b64 v[0:1], v25, v[0:1]
	v_bfi_b32 v6, v6, 0, 0
	v_cmp_eq_u64_e64 s[28:29], v[5:6], v[54:55]
	v_mov_b32_e32 v6, v1
	v_mov_b32_e32 v5, v0
	s_and_saveexec_b64 s[48:49], s[28:29]
; %bb.4767:                             ;   in Loop: Header=BB4_4667 Depth=3
	v_bfe_u32 v1, v0, 21, 1
	v_add_co_u32_e64 v1, s[28:29], v0, v1
	v_add_co_u32_e64 v5, s[28:29], -1, v1
; %bb.4768:                             ;   in Loop: Header=BB4_4667 Depth=3
	s_or_b64 exec, exec, s[48:49]
	v_add_u32_e32 v1, 0xffffff81, v18
	v_mov_b32_e32 v6, 0xffffff82
	v_cndmask_b32_e32 v1, v1, v6, vcc
	v_lshrrev_b32_e32 v6, 23, v0
	v_add3_u32 v18, v25, v1, v6
	v_add_u32_e32 v6, 14, v18
	v_and_b32_e32 v1, 0x1fffff, v5
	v_add_u32_e32 v60, v1, v0
	v_cmp_ne_u32_e32 vcc, 0, v6
                                        ; implicit-def: $vgpr0_vgpr1
                                        ; implicit-def: $vgpr5
	s_and_saveexec_b64 s[28:29], vcc
	s_xor_b64 s[28:29], exec, s[28:29]
; %bb.4769:                             ;   in Loop: Header=BB4_4667 Depth=3
	v_cmp_lt_u64_e32 vcc, s[88:89], v[60:61]
	v_add_u32_e32 v0, 15, v18
	v_cndmask_b32_e32 v5, v6, v0, vcc
	v_cndmask_b32_e64 v0, 0, 1, vcc
	v_lshrrev_b64 v[0:1], v0, v[60:61]
; %bb.4770:                             ;   in Loop: Header=BB4_4667 Depth=3
	s_andn2_saveexec_b64 s[28:29], s[28:29]
; %bb.4771:                             ;   in Loop: Header=BB4_4667 Depth=3
	v_mov_b32_e32 v0, v60
	v_mov_b32_e32 v1, v61
	v_bfe_u32 v5, v60, 23, 1
; %bb.4772:                             ;   in Loop: Header=BB4_4667 Depth=3
	s_or_b64 exec, exec, s[28:29]
	v_lshrrev_b64 v[0:1], 21, v[0:1]
	v_cmp_gt_i32_e32 vcc, 32, v5
	v_cndmask_b32_e32 v1, 0, v1, vcc
	v_cndmask_b32_e32 v0, 3, v0, vcc
	v_cmp_ne_u64_e32 vcc, 0, v[0:1]
	v_cmp_ne_u32_e64 s[28:29], 0, v5
	s_or_b64 s[28:29], s[28:29], vcc
                                        ; implicit-def: $vgpr6
	s_and_saveexec_b64 vcc, s[28:29]
	s_xor_b64 s[28:29], exec, vcc
; %bb.4773:                             ;   in Loop: Header=BB4_4667 Depth=3
	v_min_i32_e32 v1, 31, v5
	v_lshl_or_b32 v1, v1, 2, v3
	v_and_or_b32 v6, v0, 3, v1
                                        ; implicit-def: $vgpr3
; %bb.4774:                             ;   in Loop: Header=BB4_4667 Depth=3
	s_andn2_saveexec_b64 s[28:29], s[28:29]
; %bb.4775:                             ;   in Loop: Header=BB4_4667 Depth=3
	v_mov_b32_e32 v6, v3
; %bb.4776:                             ;   in Loop: Header=BB4_4667 Depth=3
	s_or_b64 exec, exec, s[28:29]
.LBB4_4777:                             ;   in Loop: Header=BB4_4667 Depth=3
	s_or_b64 exec, exec, s[38:39]
                                        ; implicit-def: $vgpr3
.LBB4_4778:                             ;   in Loop: Header=BB4_4667 Depth=3
	s_andn2_saveexec_b64 s[28:29], s[36:37]
; %bb.4779:                             ;   in Loop: Header=BB4_4667 Depth=3
	v_or_b32_e32 v6, 0x7b, v3
; %bb.4780:                             ;   in Loop: Header=BB4_4667 Depth=3
	s_or_b64 exec, exec, s[28:29]
                                        ; implicit-def: $vgpr0
.LBB4_4781:                             ;   in Loop: Header=BB4_4667 Depth=3
	s_andn2_saveexec_b64 s[28:29], s[34:35]
	s_cbranch_execz .LBB4_4787
; %bb.4782:                             ;   in Loop: Header=BB4_4667 Depth=3
	v_cmp_ne_u64_e32 vcc, 0, v[60:61]
                                        ; implicit-def: $vgpr6
	s_and_saveexec_b64 s[34:35], vcc
	s_xor_b64 vcc, exec, s[34:35]
; %bb.4783:                             ;   in Loop: Header=BB4_4667 Depth=3
	v_or_b32_sdwa v6, v0, s44 dst_sel:DWORD dst_unused:UNUSED_PAD src0_sel:BYTE_3 src1_sel:DWORD
                                        ; implicit-def: $vgpr0
; %bb.4784:                             ;   in Loop: Header=BB4_4667 Depth=3
	s_andn2_saveexec_b64 s[34:35], vcc
; %bb.4785:                             ;   in Loop: Header=BB4_4667 Depth=3
	v_cmp_lt_i32_e32 vcc, -1, v0
	v_mov_b32_e32 v0, 0x7c
	v_cndmask_b32_e32 v6, -4, v0, vcc
; %bb.4786:                             ;   in Loop: Header=BB4_4667 Depth=3
	s_or_b64 exec, exec, s[34:35]
.LBB4_4787:                             ;   in Loop: Header=BB4_4667 Depth=3
	s_or_b64 exec, exec, s[28:29]
	v_cmp_ne_u16_e32 vcc, 0, v53
	v_mov_b32_e32 v0, 0
	v_mov_b32_e32 v1, 0
	s_and_saveexec_b64 s[28:29], vcc
	s_cbranch_execz .LBB4_4795
; %bb.4788:                             ;   in Loop: Header=BB4_4667 Depth=3
	v_cmp_ne_u16_e32 vcc, s70, v53
	v_bfrev_b32_e32 v1, 1
	s_and_saveexec_b64 s[34:35], vcc
	s_cbranch_execz .LBB4_4794
; %bb.4789:                             ;   in Loop: Header=BB4_4667 Depth=3
	v_and_b32_e32 v1, 0x7c, v53
	v_and_b32_e32 v3, 3, v53
	v_cmp_ne_u32_e32 vcc, s71, v1
                                        ; implicit-def: $vgpr1
	s_and_saveexec_b64 s[36:37], vcc
	s_xor_b64 s[36:37], exec, s[36:37]
	s_cbranch_execz .LBB4_4791
; %bb.4790:                             ;   in Loop: Header=BB4_4667 Depth=3
	v_ffbh_u32_e32 v5, v3
	v_min_u32_e32 v5, 32, v5
	v_and_b32_e32 v1, 0xff, v53
	v_mov_b32_e32 v54, v61
	v_subrev_u32_e32 v18, 29, v5
	v_bfe_u32 v1, v1, 2, 5
	v_lshlrev_b64 v[54:55], v18, v[53:54]
	v_sub_u32_e32 v5, 30, v5
	v_cmp_eq_u32_e32 vcc, 0, v1
	v_and_b32_e32 v18, 3, v54
	v_cndmask_b32_e32 v1, v1, v5, vcc
	v_and_b32_sdwa v5, sext(v53), s80 dst_sel:DWORD dst_unused:UNUSED_PAD src0_sel:WORD_0 src1_sel:DWORD
	v_cndmask_b32_e32 v3, v3, v18, vcc
	v_lshl_add_u32 v1, v1, 23, v5
	v_lshl_or_b32 v1, v3, 21, v1
	v_add_u32_e32 v1, 0x38000000, v1
                                        ; implicit-def: $vgpr3
                                        ; implicit-def: $vgpr53
.LBB4_4791:                             ;   in Loop: Header=BB4_4667 Depth=3
	s_andn2_saveexec_b64 s[36:37], s[36:37]
; %bb.4792:                             ;   in Loop: Header=BB4_4667 Depth=3
	v_cmp_lt_i16_e32 vcc, -1, v53
	v_mov_b32_e32 v1, 0xff800000
	v_cndmask_b32_e32 v1, v1, v47, vcc
	v_cmp_eq_u32_e32 vcc, 0, v3
	v_mov_b32_e32 v3, 0x7f800001
	v_cndmask_b32_e32 v1, v3, v1, vcc
; %bb.4793:                             ;   in Loop: Header=BB4_4667 Depth=3
	s_or_b64 exec, exec, s[36:37]
.LBB4_4794:                             ;   in Loop: Header=BB4_4667 Depth=3
	s_or_b64 exec, exec, s[34:35]
.LBB4_4795:                             ;   in Loop: Header=BB4_4667 Depth=3
	s_or_b64 exec, exec, s[28:29]
	v_cmp_ne_u16_e32 vcc, 0, v2
	s_and_saveexec_b64 s[28:29], vcc
	s_cbranch_execz .LBB4_4803
; %bb.4796:                             ;   in Loop: Header=BB4_4667 Depth=3
	v_cmp_ne_u16_e32 vcc, s70, v2
	v_bfrev_b32_e32 v0, 1
	s_and_saveexec_b64 s[34:35], vcc
	s_cbranch_execz .LBB4_4802
; %bb.4797:                             ;   in Loop: Header=BB4_4667 Depth=3
	v_and_b32_e32 v0, 0x7c, v2
	v_and_b32_e32 v5, 3, v2
	v_cmp_ne_u32_e32 vcc, s71, v0
                                        ; implicit-def: $vgpr0
	s_and_saveexec_b64 s[36:37], vcc
	s_xor_b64 s[36:37], exec, s[36:37]
	s_cbranch_execz .LBB4_4799
; %bb.4798:                             ;   in Loop: Header=BB4_4667 Depth=3
	v_ffbh_u32_e32 v18, v5
	v_min_u32_e32 v18, 32, v18
	v_and_b32_e32 v0, 0xff, v2
	v_mov_b32_e32 v3, v61
	v_subrev_u32_e32 v25, 29, v18
	v_bfe_u32 v0, v0, 2, 5
	v_lshlrev_b64 v[53:54], v25, v[2:3]
	v_sub_u32_e32 v3, 30, v18
	v_cmp_eq_u32_e32 vcc, 0, v0
	v_and_b32_e32 v18, 3, v53
	v_cndmask_b32_e32 v0, v0, v3, vcc
	v_and_b32_sdwa v2, sext(v2), s80 dst_sel:DWORD dst_unused:UNUSED_PAD src0_sel:WORD_0 src1_sel:DWORD
	v_cndmask_b32_e32 v3, v5, v18, vcc
	v_lshl_add_u32 v0, v0, 23, v2
	v_lshl_or_b32 v0, v3, 21, v0
	v_add_u32_e32 v0, 0x38000000, v0
                                        ; implicit-def: $vgpr5
                                        ; implicit-def: $vgpr2
.LBB4_4799:                             ;   in Loop: Header=BB4_4667 Depth=3
	s_andn2_saveexec_b64 s[36:37], s[36:37]
; %bb.4800:                             ;   in Loop: Header=BB4_4667 Depth=3
	v_cmp_lt_i16_e32 vcc, -1, v2
	v_mov_b32_e32 v0, 0xff800000
	v_cndmask_b32_e32 v0, v0, v47, vcc
	v_cmp_eq_u32_e32 vcc, 0, v5
	v_mov_b32_e32 v2, 0x7f800001
	v_cndmask_b32_e32 v0, v2, v0, vcc
; %bb.4801:                             ;   in Loop: Header=BB4_4667 Depth=3
	s_or_b64 exec, exec, s[36:37]
.LBB4_4802:                             ;   in Loop: Header=BB4_4667 Depth=3
	s_or_b64 exec, exec, s[34:35]
.LBB4_4803:                             ;   in Loop: Header=BB4_4667 Depth=3
	s_or_b64 exec, exec, s[28:29]
	v_mul_f32_e32 v0, v1, v0
	v_and_b32_e32 v1, 0x7f800000, v0
	v_mov_b32_e32 v2, v61
	v_cmp_ne_u64_e32 vcc, s[62:63], v[1:2]
	v_and_b32_e32 v60, 0x7fffff, v0
                                        ; implicit-def: $vgpr3
	s_and_saveexec_b64 s[28:29], vcc
	s_xor_b64 s[34:35], exec, s[28:29]
	s_cbranch_execz .LBB4_4821
; %bb.4804:                             ;   in Loop: Header=BB4_4667 Depth=3
	v_and_b32_e32 v1, 0x7fffffff, v0
	v_mov_b32_e32 v2, v61
	v_cmp_gt_u64_e32 vcc, s[78:79], v[1:2]
	v_and_b32_sdwa v5, v0, s81 dst_sel:DWORD dst_unused:UNUSED_PAD src0_sel:BYTE_3 src1_sel:DWORD
                                        ; implicit-def: $vgpr3
	s_and_saveexec_b64 s[28:29], vcc
	s_xor_b64 s[36:37], exec, s[28:29]
	s_cbranch_execz .LBB4_4818
; %bb.4805:                             ;   in Loop: Header=BB4_4667 Depth=3
	v_cmp_ne_u32_e32 vcc, 0, v0
	v_mov_b32_e32 v3, 0
	s_and_saveexec_b64 s[38:39], vcc
	s_cbranch_execz .LBB4_4817
; %bb.4806:                             ;   in Loop: Header=BB4_4667 Depth=3
	v_bfe_u32 v3, v0, 23, 8
	v_cmp_gt_u32_e64 s[28:29], s47, v3
	v_sub_u32_e32 v0, 0x71, v3
	v_cmp_eq_u32_e32 vcc, 0, v3
	v_cndmask_b32_e64 v0, 0, v0, s[28:29]
	v_mov_b32_e32 v2, 0x70
	v_cndmask_b32_e32 v18, v0, v2, vcc
	v_add_u32_e32 v2, 21, v18
	v_or_b32_e32 v1, 0x800000, v60
	v_lshlrev_b64 v[53:54], v2, -1
	v_cndmask_b32_e32 v0, v1, v60, vcc
	v_mov_b32_e32 v1, v61
	v_add_u32_e32 v2, 20, v18
	v_mov_b32_e32 v25, v44
	v_bfi_b32 v53, v53, 0, v0
	v_lshlrev_b64 v[43:44], v2, 1
	v_lshrrev_b64 v[0:1], v18, v[0:1]
	v_bfi_b32 v54, v54, 0, 0
	v_cmp_eq_u64_e64 s[28:29], v[53:54], v[43:44]
	v_mov_b32_e32 v2, v1
	v_mov_b32_e32 v1, v0
	s_and_saveexec_b64 s[48:49], s[28:29]
; %bb.4807:                             ;   in Loop: Header=BB4_4667 Depth=3
	v_bfe_u32 v1, v0, 21, 1
	v_add_co_u32_e64 v1, s[28:29], v0, v1
	v_add_co_u32_e64 v1, s[28:29], -1, v1
; %bb.4808:                             ;   in Loop: Header=BB4_4667 Depth=3
	s_or_b64 exec, exec, s[48:49]
	v_add_u32_e32 v2, 0xffffff81, v3
	v_mov_b32_e32 v3, 0xffffff82
	v_cndmask_b32_e32 v2, v2, v3, vcc
	v_lshrrev_b32_e32 v3, 23, v0
	v_add3_u32 v18, v18, v2, v3
	v_add_u32_e32 v3, 14, v18
	v_and_b32_e32 v1, 0x1fffff, v1
	v_add_u32_e32 v60, v1, v0
	v_cmp_ne_u32_e32 vcc, 0, v3
                                        ; implicit-def: $vgpr0_vgpr1
                                        ; implicit-def: $vgpr2
	s_and_saveexec_b64 s[28:29], vcc
	s_xor_b64 s[28:29], exec, s[28:29]
; %bb.4809:                             ;   in Loop: Header=BB4_4667 Depth=3
	v_cmp_lt_u64_e32 vcc, s[88:89], v[60:61]
	v_add_u32_e32 v0, 15, v18
	v_cndmask_b32_e32 v2, v3, v0, vcc
	v_cndmask_b32_e64 v0, 0, 1, vcc
	v_lshrrev_b64 v[0:1], v0, v[60:61]
; %bb.4810:                             ;   in Loop: Header=BB4_4667 Depth=3
	s_or_saveexec_b64 s[28:29], s[28:29]
	v_mov_b32_e32 v44, v25
	s_xor_b64 exec, exec, s[28:29]
; %bb.4811:                             ;   in Loop: Header=BB4_4667 Depth=3
	v_mov_b32_e32 v0, v60
	v_mov_b32_e32 v1, v61
	v_bfe_u32 v2, v60, 23, 1
; %bb.4812:                             ;   in Loop: Header=BB4_4667 Depth=3
	s_or_b64 exec, exec, s[28:29]
	v_lshrrev_b64 v[0:1], 21, v[0:1]
	v_cmp_gt_i32_e32 vcc, 32, v2
	v_cndmask_b32_e32 v1, 0, v1, vcc
	v_cndmask_b32_e32 v0, 3, v0, vcc
	v_cmp_ne_u64_e32 vcc, 0, v[0:1]
	v_cmp_ne_u32_e64 s[28:29], 0, v2
	s_or_b64 s[28:29], s[28:29], vcc
                                        ; implicit-def: $vgpr3
	s_and_saveexec_b64 vcc, s[28:29]
	s_xor_b64 s[28:29], exec, vcc
; %bb.4813:                             ;   in Loop: Header=BB4_4667 Depth=3
	v_min_i32_e32 v1, 31, v2
	v_lshl_or_b32 v1, v1, 2, v5
	v_and_or_b32 v3, v0, 3, v1
                                        ; implicit-def: $vgpr5
; %bb.4814:                             ;   in Loop: Header=BB4_4667 Depth=3
	s_andn2_saveexec_b64 s[28:29], s[28:29]
; %bb.4815:                             ;   in Loop: Header=BB4_4667 Depth=3
	v_mov_b32_e32 v3, v5
; %bb.4816:                             ;   in Loop: Header=BB4_4667 Depth=3
	s_or_b64 exec, exec, s[28:29]
.LBB4_4817:                             ;   in Loop: Header=BB4_4667 Depth=3
	s_or_b64 exec, exec, s[38:39]
                                        ; implicit-def: $vgpr5
.LBB4_4818:                             ;   in Loop: Header=BB4_4667 Depth=3
	s_andn2_saveexec_b64 s[28:29], s[36:37]
; %bb.4819:                             ;   in Loop: Header=BB4_4667 Depth=3
	v_or_b32_e32 v3, 0x7b, v5
; %bb.4820:                             ;   in Loop: Header=BB4_4667 Depth=3
	s_or_b64 exec, exec, s[28:29]
                                        ; implicit-def: $vgpr0
.LBB4_4821:                             ;   in Loop: Header=BB4_4667 Depth=3
	s_andn2_saveexec_b64 s[28:29], s[34:35]
	s_cbranch_execz .LBB4_4827
; %bb.4822:                             ;   in Loop: Header=BB4_4667 Depth=3
	v_cmp_ne_u64_e32 vcc, 0, v[60:61]
                                        ; implicit-def: $vgpr3
	s_and_saveexec_b64 s[34:35], vcc
	s_xor_b64 vcc, exec, s[34:35]
; %bb.4823:                             ;   in Loop: Header=BB4_4667 Depth=3
	v_or_b32_sdwa v3, v0, s44 dst_sel:DWORD dst_unused:UNUSED_PAD src0_sel:BYTE_3 src1_sel:DWORD
                                        ; implicit-def: $vgpr0
; %bb.4824:                             ;   in Loop: Header=BB4_4667 Depth=3
	s_andn2_saveexec_b64 s[34:35], vcc
; %bb.4825:                             ;   in Loop: Header=BB4_4667 Depth=3
	v_cmp_lt_i32_e32 vcc, -1, v0
	v_mov_b32_e32 v0, 0x7c
	v_cndmask_b32_e32 v3, -4, v0, vcc
; %bb.4826:                             ;   in Loop: Header=BB4_4667 Depth=3
	s_or_b64 exec, exec, s[34:35]
.LBB4_4827:                             ;   in Loop: Header=BB4_4667 Depth=3
	s_or_b64 exec, exec, s[28:29]
	v_cmp_ne_u16_e32 vcc, 0, v56
	v_mov_b32_e32 v0, 0
	v_mov_b32_e32 v1, 0
	s_and_saveexec_b64 s[28:29], vcc
	s_cbranch_execz .LBB4_4835
; %bb.4828:                             ;   in Loop: Header=BB4_4667 Depth=3
	v_cmp_ne_u16_e32 vcc, s70, v56
	v_bfrev_b32_e32 v1, 1
	s_and_saveexec_b64 s[34:35], vcc
	s_cbranch_execz .LBB4_4834
; %bb.4829:                             ;   in Loop: Header=BB4_4667 Depth=3
	v_and_b32_e32 v1, 0x7c, v56
	v_and_b32_e32 v2, 3, v56
	v_cmp_ne_u32_e32 vcc, s71, v1
                                        ; implicit-def: $vgpr1
	s_and_saveexec_b64 s[36:37], vcc
	s_xor_b64 s[36:37], exec, s[36:37]
	s_cbranch_execz .LBB4_4831
; %bb.4830:                             ;   in Loop: Header=BB4_4667 Depth=3
	v_ffbh_u32_e32 v5, v2
	v_min_u32_e32 v5, 32, v5
	v_and_b32_e32 v1, 0xff, v56
	v_mov_b32_e32 v57, v61
	v_subrev_u32_e32 v18, 29, v5
	v_bfe_u32 v1, v1, 2, 5
	v_lshlrev_b64 v[53:54], v18, v[56:57]
	v_sub_u32_e32 v5, 30, v5
	v_cmp_eq_u32_e32 vcc, 0, v1
	v_and_b32_e32 v18, 3, v53
	v_cndmask_b32_e32 v1, v1, v5, vcc
	v_and_b32_sdwa v5, sext(v56), s80 dst_sel:DWORD dst_unused:UNUSED_PAD src0_sel:WORD_0 src1_sel:DWORD
	v_cndmask_b32_e32 v2, v2, v18, vcc
	v_lshl_add_u32 v1, v1, 23, v5
	v_lshl_or_b32 v1, v2, 21, v1
	v_add_u32_e32 v1, 0x38000000, v1
                                        ; implicit-def: $vgpr2
                                        ; implicit-def: $vgpr56
.LBB4_4831:                             ;   in Loop: Header=BB4_4667 Depth=3
	s_andn2_saveexec_b64 s[36:37], s[36:37]
; %bb.4832:                             ;   in Loop: Header=BB4_4667 Depth=3
	v_cmp_lt_i16_e32 vcc, -1, v56
	v_mov_b32_e32 v1, 0xff800000
	v_cndmask_b32_e32 v1, v1, v47, vcc
	v_cmp_eq_u32_e32 vcc, 0, v2
	v_mov_b32_e32 v2, 0x7f800001
	v_cndmask_b32_e32 v1, v2, v1, vcc
; %bb.4833:                             ;   in Loop: Header=BB4_4667 Depth=3
	s_or_b64 exec, exec, s[36:37]
.LBB4_4834:                             ;   in Loop: Header=BB4_4667 Depth=3
	s_or_b64 exec, exec, s[34:35]
.LBB4_4835:                             ;   in Loop: Header=BB4_4667 Depth=3
	s_or_b64 exec, exec, s[28:29]
	v_cmp_ne_u16_e32 vcc, 0, v42
	s_and_saveexec_b64 s[28:29], vcc
	s_cbranch_execz .LBB4_4843
; %bb.4836:                             ;   in Loop: Header=BB4_4667 Depth=3
	v_cmp_ne_u16_e32 vcc, s70, v42
	v_bfrev_b32_e32 v0, 1
	s_and_saveexec_b64 s[34:35], vcc
	s_cbranch_execz .LBB4_4842
; %bb.4837:                             ;   in Loop: Header=BB4_4667 Depth=3
	v_and_b32_e32 v0, 0x7c, v42
	v_and_b32_e32 v2, 3, v42
	v_cmp_ne_u32_e32 vcc, s71, v0
                                        ; implicit-def: $vgpr0
	s_and_saveexec_b64 s[36:37], vcc
	s_xor_b64 s[36:37], exec, s[36:37]
	s_cbranch_execz .LBB4_4839
; %bb.4838:                             ;   in Loop: Header=BB4_4667 Depth=3
	v_ffbh_u32_e32 v5, v2
	v_min_u32_e32 v5, 32, v5
	v_and_b32_e32 v0, 0xff, v42
	v_mov_b32_e32 v43, v61
	v_subrev_u32_e32 v18, 29, v5
	v_bfe_u32 v0, v0, 2, 5
	v_lshlrev_b64 v[53:54], v18, v[42:43]
	v_sub_u32_e32 v5, 30, v5
	v_cmp_eq_u32_e32 vcc, 0, v0
	v_and_b32_e32 v18, 3, v53
	v_cndmask_b32_e32 v0, v0, v5, vcc
	v_and_b32_sdwa v5, sext(v42), s80 dst_sel:DWORD dst_unused:UNUSED_PAD src0_sel:WORD_0 src1_sel:DWORD
	v_cndmask_b32_e32 v2, v2, v18, vcc
	v_lshl_add_u32 v0, v0, 23, v5
	v_lshl_or_b32 v0, v2, 21, v0
	v_add_u32_e32 v0, 0x38000000, v0
                                        ; implicit-def: $vgpr2
                                        ; implicit-def: $vgpr42
.LBB4_4839:                             ;   in Loop: Header=BB4_4667 Depth=3
	s_andn2_saveexec_b64 s[36:37], s[36:37]
; %bb.4840:                             ;   in Loop: Header=BB4_4667 Depth=3
	v_cmp_lt_i16_e32 vcc, -1, v42
	v_mov_b32_e32 v0, 0xff800000
	v_cndmask_b32_e32 v0, v0, v47, vcc
	v_cmp_eq_u32_e32 vcc, 0, v2
	v_mov_b32_e32 v2, 0x7f800001
	v_cndmask_b32_e32 v0, v2, v0, vcc
; %bb.4841:                             ;   in Loop: Header=BB4_4667 Depth=3
	s_or_b64 exec, exec, s[36:37]
.LBB4_4842:                             ;   in Loop: Header=BB4_4667 Depth=3
	s_or_b64 exec, exec, s[34:35]
.LBB4_4843:                             ;   in Loop: Header=BB4_4667 Depth=3
	s_or_b64 exec, exec, s[28:29]
	v_mul_f32_e32 v0, v1, v0
	v_and_b32_e32 v1, 0x7f800000, v0
	v_mov_b32_e32 v2, v61
	v_cmp_ne_u64_e32 vcc, s[62:63], v[1:2]
	v_and_b32_e32 v60, 0x7fffff, v0
                                        ; implicit-def: $vgpr35
	s_and_saveexec_b64 s[28:29], vcc
	s_xor_b64 s[34:35], exec, s[28:29]
	s_cbranch_execz .LBB4_4861
; %bb.4844:                             ;   in Loop: Header=BB4_4667 Depth=3
	v_and_b32_e32 v1, 0x7fffffff, v0
	v_mov_b32_e32 v2, v61
	v_cmp_gt_u64_e32 vcc, s[78:79], v[1:2]
	v_and_b32_sdwa v5, v0, s81 dst_sel:DWORD dst_unused:UNUSED_PAD src0_sel:BYTE_3 src1_sel:DWORD
                                        ; implicit-def: $vgpr35
	s_and_saveexec_b64 s[28:29], vcc
	s_xor_b64 s[36:37], exec, s[28:29]
	s_cbranch_execz .LBB4_4858
; %bb.4845:                             ;   in Loop: Header=BB4_4667 Depth=3
	v_cmp_ne_u32_e32 vcc, 0, v0
	v_mov_b32_e32 v35, 0
	s_and_saveexec_b64 s[38:39], vcc
	s_cbranch_execz .LBB4_4857
; %bb.4846:                             ;   in Loop: Header=BB4_4667 Depth=3
	v_bfe_u32 v18, v0, 23, 8
	v_cmp_gt_u32_e64 s[28:29], s47, v18
	v_sub_u32_e32 v0, 0x71, v18
	v_cmp_eq_u32_e32 vcc, 0, v18
	v_cndmask_b32_e64 v0, 0, v0, s[28:29]
	v_mov_b32_e32 v2, 0x70
	v_cndmask_b32_e32 v25, v0, v2, vcc
	v_add_u32_e32 v2, 21, v25
	v_or_b32_e32 v1, 0x800000, v60
	v_lshlrev_b64 v[53:54], v2, -1
	v_cndmask_b32_e32 v0, v1, v60, vcc
	v_mov_b32_e32 v1, v61
	v_add_u32_e32 v2, 20, v25
	v_bfi_b32 v53, v53, 0, v0
	v_lshlrev_b64 v[42:43], v2, 1
	v_lshrrev_b64 v[0:1], v25, v[0:1]
	v_bfi_b32 v54, v54, 0, 0
	v_cmp_eq_u64_e64 s[28:29], v[53:54], v[42:43]
	v_mov_b32_e32 v2, v1
	v_mov_b32_e32 v1, v0
	s_and_saveexec_b64 s[48:49], s[28:29]
; %bb.4847:                             ;   in Loop: Header=BB4_4667 Depth=3
	v_bfe_u32 v1, v0, 21, 1
	v_add_co_u32_e64 v1, s[28:29], v0, v1
	v_add_co_u32_e64 v1, s[28:29], -1, v1
; %bb.4848:                             ;   in Loop: Header=BB4_4667 Depth=3
	s_or_b64 exec, exec, s[48:49]
	v_add_u32_e32 v2, 0xffffff81, v18
	v_mov_b32_e32 v18, 0xffffff82
	v_cndmask_b32_e32 v2, v2, v18, vcc
	v_lshrrev_b32_e32 v18, 23, v0
	v_add3_u32 v25, v25, v2, v18
	v_add_u32_e32 v18, 14, v25
	v_and_b32_e32 v1, 0x1fffff, v1
	v_add_u32_e32 v60, v1, v0
	v_cmp_ne_u32_e32 vcc, 0, v18
                                        ; implicit-def: $vgpr0_vgpr1
                                        ; implicit-def: $vgpr2
	s_and_saveexec_b64 s[28:29], vcc
	s_xor_b64 s[28:29], exec, s[28:29]
; %bb.4849:                             ;   in Loop: Header=BB4_4667 Depth=3
	v_cmp_lt_u64_e32 vcc, s[88:89], v[60:61]
	v_add_u32_e32 v0, 15, v25
	v_cndmask_b32_e32 v2, v18, v0, vcc
	v_cndmask_b32_e64 v0, 0, 1, vcc
	v_lshrrev_b64 v[0:1], v0, v[60:61]
; %bb.4850:                             ;   in Loop: Header=BB4_4667 Depth=3
	s_andn2_saveexec_b64 s[28:29], s[28:29]
; %bb.4851:                             ;   in Loop: Header=BB4_4667 Depth=3
	v_mov_b32_e32 v0, v60
	v_mov_b32_e32 v1, v61
	v_bfe_u32 v2, v60, 23, 1
; %bb.4852:                             ;   in Loop: Header=BB4_4667 Depth=3
	s_or_b64 exec, exec, s[28:29]
	v_lshrrev_b64 v[0:1], 21, v[0:1]
	v_cmp_gt_i32_e32 vcc, 32, v2
	v_cndmask_b32_e32 v1, 0, v1, vcc
	v_cndmask_b32_e32 v0, 3, v0, vcc
	v_cmp_ne_u64_e32 vcc, 0, v[0:1]
	v_cmp_ne_u32_e64 s[28:29], 0, v2
	s_or_b64 s[28:29], s[28:29], vcc
                                        ; implicit-def: $vgpr35
	s_and_saveexec_b64 vcc, s[28:29]
	s_xor_b64 s[28:29], exec, vcc
; %bb.4853:                             ;   in Loop: Header=BB4_4667 Depth=3
	v_min_i32_e32 v1, 31, v2
	v_lshl_or_b32 v1, v1, 2, v5
	v_and_or_b32 v35, v0, 3, v1
                                        ; implicit-def: $vgpr5
; %bb.4854:                             ;   in Loop: Header=BB4_4667 Depth=3
	s_andn2_saveexec_b64 s[28:29], s[28:29]
; %bb.4855:                             ;   in Loop: Header=BB4_4667 Depth=3
	v_mov_b32_e32 v35, v5
; %bb.4856:                             ;   in Loop: Header=BB4_4667 Depth=3
	s_or_b64 exec, exec, s[28:29]
.LBB4_4857:                             ;   in Loop: Header=BB4_4667 Depth=3
	s_or_b64 exec, exec, s[38:39]
                                        ; implicit-def: $vgpr5
.LBB4_4858:                             ;   in Loop: Header=BB4_4667 Depth=3
	s_andn2_saveexec_b64 s[28:29], s[36:37]
; %bb.4859:                             ;   in Loop: Header=BB4_4667 Depth=3
	v_or_b32_e32 v35, 0x7b, v5
; %bb.4860:                             ;   in Loop: Header=BB4_4667 Depth=3
	s_or_b64 exec, exec, s[28:29]
                                        ; implicit-def: $vgpr0
.LBB4_4861:                             ;   in Loop: Header=BB4_4667 Depth=3
	s_andn2_saveexec_b64 s[28:29], s[34:35]
	s_cbranch_execz .LBB4_4867
; %bb.4862:                             ;   in Loop: Header=BB4_4667 Depth=3
	v_cmp_ne_u64_e32 vcc, 0, v[60:61]
                                        ; implicit-def: $vgpr35
	s_and_saveexec_b64 s[34:35], vcc
	s_xor_b64 vcc, exec, s[34:35]
; %bb.4863:                             ;   in Loop: Header=BB4_4667 Depth=3
	v_or_b32_sdwa v35, v0, s44 dst_sel:DWORD dst_unused:UNUSED_PAD src0_sel:BYTE_3 src1_sel:DWORD
                                        ; implicit-def: $vgpr0
; %bb.4864:                             ;   in Loop: Header=BB4_4667 Depth=3
	s_andn2_saveexec_b64 s[34:35], vcc
; %bb.4865:                             ;   in Loop: Header=BB4_4667 Depth=3
	v_cmp_lt_i32_e32 vcc, -1, v0
	v_mov_b32_e32 v0, 0x7c
	v_cndmask_b32_e32 v35, -4, v0, vcc
; %bb.4866:                             ;   in Loop: Header=BB4_4667 Depth=3
	s_or_b64 exec, exec, s[34:35]
.LBB4_4867:                             ;   in Loop: Header=BB4_4667 Depth=3
	s_or_b64 exec, exec, s[28:29]
	v_cmp_ne_u16_e32 vcc, 0, v17
	v_mov_b32_e32 v0, 0
	v_mov_b32_e32 v1, 0
	s_and_saveexec_b64 s[28:29], vcc
	s_cbranch_execz .LBB4_4875
; %bb.4868:                             ;   in Loop: Header=BB4_4667 Depth=3
	v_cmp_ne_u16_e32 vcc, s70, v17
	v_bfrev_b32_e32 v1, 1
	s_and_saveexec_b64 s[34:35], vcc
	s_cbranch_execz .LBB4_4874
; %bb.4869:                             ;   in Loop: Header=BB4_4667 Depth=3
	v_and_b32_e32 v1, 0x7c, v17
	v_and_b32_e32 v2, 3, v17
	v_cmp_ne_u32_e32 vcc, s71, v1
                                        ; implicit-def: $vgpr1
	s_and_saveexec_b64 s[36:37], vcc
	s_xor_b64 s[36:37], exec, s[36:37]
	s_cbranch_execz .LBB4_4871
; %bb.4870:                             ;   in Loop: Header=BB4_4667 Depth=3
	v_ffbh_u32_e32 v5, v2
	v_min_u32_e32 v5, 32, v5
	v_and_b32_e32 v1, 0xff, v17
	v_mov_b32_e32 v18, v61
	v_subrev_u32_e32 v25, 29, v5
	v_bfe_u32 v1, v1, 2, 5
	v_lshlrev_b64 v[53:54], v25, v[17:18]
	v_sub_u32_e32 v5, 30, v5
	v_cmp_eq_u32_e32 vcc, 0, v1
	v_and_b32_e32 v18, 3, v53
	v_cndmask_b32_e32 v1, v1, v5, vcc
	v_and_b32_sdwa v5, sext(v17), s80 dst_sel:DWORD dst_unused:UNUSED_PAD src0_sel:WORD_0 src1_sel:DWORD
	v_cndmask_b32_e32 v2, v2, v18, vcc
	v_lshl_add_u32 v1, v1, 23, v5
	v_lshl_or_b32 v1, v2, 21, v1
	v_add_u32_e32 v1, 0x38000000, v1
                                        ; implicit-def: $vgpr2
                                        ; implicit-def: $vgpr17
.LBB4_4871:                             ;   in Loop: Header=BB4_4667 Depth=3
	s_andn2_saveexec_b64 s[36:37], s[36:37]
; %bb.4872:                             ;   in Loop: Header=BB4_4667 Depth=3
	v_cmp_lt_i16_e32 vcc, -1, v17
	v_mov_b32_e32 v1, 0xff800000
	v_cndmask_b32_e32 v1, v1, v47, vcc
	v_cmp_eq_u32_e32 vcc, 0, v2
	v_mov_b32_e32 v2, 0x7f800001
	v_cndmask_b32_e32 v1, v2, v1, vcc
; %bb.4873:                             ;   in Loop: Header=BB4_4667 Depth=3
	s_or_b64 exec, exec, s[36:37]
.LBB4_4874:                             ;   in Loop: Header=BB4_4667 Depth=3
	s_or_b64 exec, exec, s[34:35]
.LBB4_4875:                             ;   in Loop: Header=BB4_4667 Depth=3
	s_or_b64 exec, exec, s[28:29]
	v_cmp_ne_u16_e32 vcc, 0, v16
	s_and_saveexec_b64 s[28:29], vcc
	s_cbranch_execz .LBB4_4883
; %bb.4876:                             ;   in Loop: Header=BB4_4667 Depth=3
	v_cmp_ne_u16_e32 vcc, s70, v16
	v_bfrev_b32_e32 v0, 1
	s_and_saveexec_b64 s[34:35], vcc
	s_cbranch_execz .LBB4_4882
; %bb.4877:                             ;   in Loop: Header=BB4_4667 Depth=3
	v_and_b32_e32 v0, 0x7c, v16
	v_and_b32_e32 v2, 3, v16
	v_cmp_ne_u32_e32 vcc, s71, v0
                                        ; implicit-def: $vgpr0
	s_and_saveexec_b64 s[36:37], vcc
	s_xor_b64 s[36:37], exec, s[36:37]
	s_cbranch_execz .LBB4_4879
; %bb.4878:                             ;   in Loop: Header=BB4_4667 Depth=3
	v_ffbh_u32_e32 v5, v2
	v_min_u32_e32 v5, 32, v5
	v_and_b32_e32 v0, 0xff, v16
	v_mov_b32_e32 v17, v61
	v_subrev_u32_e32 v18, 29, v5
	v_bfe_u32 v0, v0, 2, 5
	v_lshlrev_b64 v[17:18], v18, v[16:17]
	v_sub_u32_e32 v5, 30, v5
	v_cmp_eq_u32_e32 vcc, 0, v0
	v_and_b32_e32 v17, 3, v17
	v_cndmask_b32_e32 v0, v0, v5, vcc
	v_and_b32_sdwa v5, sext(v16), s80 dst_sel:DWORD dst_unused:UNUSED_PAD src0_sel:WORD_0 src1_sel:DWORD
	v_cndmask_b32_e32 v2, v2, v17, vcc
	v_lshl_add_u32 v0, v0, 23, v5
	v_lshl_or_b32 v0, v2, 21, v0
	v_add_u32_e32 v0, 0x38000000, v0
                                        ; implicit-def: $vgpr2
                                        ; implicit-def: $vgpr16
.LBB4_4879:                             ;   in Loop: Header=BB4_4667 Depth=3
	s_andn2_saveexec_b64 s[36:37], s[36:37]
; %bb.4880:                             ;   in Loop: Header=BB4_4667 Depth=3
	v_cmp_lt_i16_e32 vcc, -1, v16
	v_mov_b32_e32 v0, 0xff800000
	v_cndmask_b32_e32 v0, v0, v47, vcc
	v_cmp_eq_u32_e32 vcc, 0, v2
	v_mov_b32_e32 v2, 0x7f800001
	v_cndmask_b32_e32 v0, v2, v0, vcc
; %bb.4881:                             ;   in Loop: Header=BB4_4667 Depth=3
	s_or_b64 exec, exec, s[36:37]
.LBB4_4882:                             ;   in Loop: Header=BB4_4667 Depth=3
	s_or_b64 exec, exec, s[34:35]
.LBB4_4883:                             ;   in Loop: Header=BB4_4667 Depth=3
	s_or_b64 exec, exec, s[28:29]
	v_mul_f32_e32 v0, v1, v0
	v_and_b32_e32 v1, 0x7f800000, v0
	v_mov_b32_e32 v2, v61
	v_cmp_ne_u64_e32 vcc, s[62:63], v[1:2]
	v_and_b32_e32 v60, 0x7fffff, v0
                                        ; implicit-def: $vgpr16
	s_and_saveexec_b64 s[28:29], vcc
	s_xor_b64 s[34:35], exec, s[28:29]
	s_cbranch_execz .LBB4_4901
; %bb.4884:                             ;   in Loop: Header=BB4_4667 Depth=3
	v_and_b32_e32 v1, 0x7fffffff, v0
	v_mov_b32_e32 v2, v61
	v_cmp_gt_u64_e32 vcc, s[78:79], v[1:2]
	v_and_b32_sdwa v5, v0, s81 dst_sel:DWORD dst_unused:UNUSED_PAD src0_sel:BYTE_3 src1_sel:DWORD
                                        ; implicit-def: $vgpr16
	s_and_saveexec_b64 s[28:29], vcc
	s_xor_b64 s[36:37], exec, s[28:29]
	s_cbranch_execz .LBB4_4898
; %bb.4885:                             ;   in Loop: Header=BB4_4667 Depth=3
	v_cmp_ne_u32_e32 vcc, 0, v0
	v_mov_b32_e32 v16, 0
	s_and_saveexec_b64 s[38:39], vcc
	s_cbranch_execz .LBB4_4897
; %bb.4886:                             ;   in Loop: Header=BB4_4667 Depth=3
	v_bfe_u32 v16, v0, 23, 8
	v_cmp_gt_u32_e64 s[28:29], s47, v16
	v_sub_u32_e32 v0, 0x71, v16
	v_cmp_eq_u32_e32 vcc, 0, v16
	v_cndmask_b32_e64 v0, 0, v0, s[28:29]
	v_mov_b32_e32 v2, 0x70
	v_cndmask_b32_e32 v17, v0, v2, vcc
	v_add_u32_e32 v2, 21, v17
	v_or_b32_e32 v1, 0x800000, v60
	v_lshlrev_b64 v[53:54], v2, -1
	v_cndmask_b32_e32 v0, v1, v60, vcc
	v_mov_b32_e32 v1, v61
	v_add_u32_e32 v2, 20, v17
	v_bfi_b32 v53, v53, 0, v0
	v_lshlrev_b64 v[42:43], v2, 1
	v_lshrrev_b64 v[0:1], v17, v[0:1]
	v_bfi_b32 v54, v54, 0, 0
	v_cmp_eq_u64_e64 s[28:29], v[53:54], v[42:43]
	v_mov_b32_e32 v2, v1
	v_mov_b32_e32 v1, v0
	s_and_saveexec_b64 s[48:49], s[28:29]
; %bb.4887:                             ;   in Loop: Header=BB4_4667 Depth=3
	v_bfe_u32 v1, v0, 21, 1
	v_add_co_u32_e64 v1, s[28:29], v0, v1
	v_add_co_u32_e64 v1, s[28:29], -1, v1
; %bb.4888:                             ;   in Loop: Header=BB4_4667 Depth=3
	s_or_b64 exec, exec, s[48:49]
	v_add_u32_e32 v2, 0xffffff81, v16
	v_mov_b32_e32 v16, 0xffffff82
	v_cndmask_b32_e32 v2, v2, v16, vcc
	v_lshrrev_b32_e32 v16, 23, v0
	v_add3_u32 v17, v17, v2, v16
	v_add_u32_e32 v16, 14, v17
	v_and_b32_e32 v1, 0x1fffff, v1
	v_add_u32_e32 v60, v1, v0
	v_cmp_ne_u32_e32 vcc, 0, v16
                                        ; implicit-def: $vgpr0_vgpr1
                                        ; implicit-def: $vgpr2
	s_and_saveexec_b64 s[28:29], vcc
	s_xor_b64 s[28:29], exec, s[28:29]
; %bb.4889:                             ;   in Loop: Header=BB4_4667 Depth=3
	v_cmp_lt_u64_e32 vcc, s[88:89], v[60:61]
	v_add_u32_e32 v0, 15, v17
	v_cndmask_b32_e32 v2, v16, v0, vcc
	v_cndmask_b32_e64 v0, 0, 1, vcc
	v_lshrrev_b64 v[0:1], v0, v[60:61]
; %bb.4890:                             ;   in Loop: Header=BB4_4667 Depth=3
	s_andn2_saveexec_b64 s[28:29], s[28:29]
; %bb.4891:                             ;   in Loop: Header=BB4_4667 Depth=3
	v_mov_b32_e32 v0, v60
	v_mov_b32_e32 v1, v61
	v_bfe_u32 v2, v60, 23, 1
; %bb.4892:                             ;   in Loop: Header=BB4_4667 Depth=3
	s_or_b64 exec, exec, s[28:29]
	v_lshrrev_b64 v[0:1], 21, v[0:1]
	v_cmp_gt_i32_e32 vcc, 32, v2
	v_cndmask_b32_e32 v1, 0, v1, vcc
	v_cndmask_b32_e32 v0, 3, v0, vcc
	v_cmp_ne_u64_e32 vcc, 0, v[0:1]
	v_cmp_ne_u32_e64 s[28:29], 0, v2
	s_or_b64 s[28:29], s[28:29], vcc
                                        ; implicit-def: $vgpr16
	s_and_saveexec_b64 vcc, s[28:29]
	s_xor_b64 s[28:29], exec, vcc
; %bb.4893:                             ;   in Loop: Header=BB4_4667 Depth=3
	v_min_i32_e32 v1, 31, v2
	v_lshl_or_b32 v1, v1, 2, v5
	v_and_or_b32 v16, v0, 3, v1
                                        ; implicit-def: $vgpr5
; %bb.4894:                             ;   in Loop: Header=BB4_4667 Depth=3
	s_andn2_saveexec_b64 s[28:29], s[28:29]
; %bb.4895:                             ;   in Loop: Header=BB4_4667 Depth=3
	v_mov_b32_e32 v16, v5
; %bb.4896:                             ;   in Loop: Header=BB4_4667 Depth=3
	s_or_b64 exec, exec, s[28:29]
.LBB4_4897:                             ;   in Loop: Header=BB4_4667 Depth=3
	s_or_b64 exec, exec, s[38:39]
                                        ; implicit-def: $vgpr5
.LBB4_4898:                             ;   in Loop: Header=BB4_4667 Depth=3
	s_andn2_saveexec_b64 s[28:29], s[36:37]
; %bb.4899:                             ;   in Loop: Header=BB4_4667 Depth=3
	v_or_b32_e32 v16, 0x7b, v5
; %bb.4900:                             ;   in Loop: Header=BB4_4667 Depth=3
	s_or_b64 exec, exec, s[28:29]
                                        ; implicit-def: $vgpr0
.LBB4_4901:                             ;   in Loop: Header=BB4_4667 Depth=3
	s_andn2_saveexec_b64 s[28:29], s[34:35]
	s_cbranch_execz .LBB4_4907
; %bb.4902:                             ;   in Loop: Header=BB4_4667 Depth=3
	v_cmp_ne_u64_e32 vcc, 0, v[60:61]
                                        ; implicit-def: $vgpr16
	s_and_saveexec_b64 s[34:35], vcc
	s_xor_b64 vcc, exec, s[34:35]
; %bb.4903:                             ;   in Loop: Header=BB4_4667 Depth=3
	v_or_b32_sdwa v16, v0, s44 dst_sel:DWORD dst_unused:UNUSED_PAD src0_sel:BYTE_3 src1_sel:DWORD
                                        ; implicit-def: $vgpr0
; %bb.4904:                             ;   in Loop: Header=BB4_4667 Depth=3
	s_andn2_saveexec_b64 s[34:35], vcc
; %bb.4905:                             ;   in Loop: Header=BB4_4667 Depth=3
	v_cmp_lt_i32_e32 vcc, -1, v0
	v_mov_b32_e32 v0, 0x7c
	v_cndmask_b32_e32 v16, -4, v0, vcc
; %bb.4906:                             ;   in Loop: Header=BB4_4667 Depth=3
	s_or_b64 exec, exec, s[34:35]
.LBB4_4907:                             ;   in Loop: Header=BB4_4667 Depth=3
	s_or_b64 exec, exec, s[28:29]
	v_cmp_ne_u16_e32 vcc, 0, v50
	v_mov_b32_e32 v0, 0
	v_mov_b32_e32 v1, 0
	s_and_saveexec_b64 s[28:29], vcc
	s_cbranch_execz .LBB4_4915
; %bb.4908:                             ;   in Loop: Header=BB4_4667 Depth=3
	v_cmp_ne_u16_e32 vcc, s70, v50
	v_bfrev_b32_e32 v1, 1
	s_and_saveexec_b64 s[34:35], vcc
	s_cbranch_execz .LBB4_4914
; %bb.4909:                             ;   in Loop: Header=BB4_4667 Depth=3
	v_and_b32_e32 v1, 0x7c, v50
	v_and_b32_e32 v2, 3, v50
	v_cmp_ne_u32_e32 vcc, s71, v1
                                        ; implicit-def: $vgpr1
	s_and_saveexec_b64 s[36:37], vcc
	s_xor_b64 s[36:37], exec, s[36:37]
	s_cbranch_execz .LBB4_4911
; %bb.4910:                             ;   in Loop: Header=BB4_4667 Depth=3
	v_ffbh_u32_e32 v5, v2
	v_min_u32_e32 v5, 32, v5
	v_and_b32_e32 v1, 0xff, v50
	v_mov_b32_e32 v51, v61
	v_subrev_u32_e32 v17, 29, v5
	v_bfe_u32 v1, v1, 2, 5
	v_lshlrev_b64 v[17:18], v17, v[50:51]
	v_sub_u32_e32 v5, 30, v5
	v_cmp_eq_u32_e32 vcc, 0, v1
	v_and_b32_e32 v17, 3, v17
	v_cndmask_b32_e32 v1, v1, v5, vcc
	v_and_b32_sdwa v5, sext(v50), s80 dst_sel:DWORD dst_unused:UNUSED_PAD src0_sel:WORD_0 src1_sel:DWORD
	v_cndmask_b32_e32 v2, v2, v17, vcc
	v_lshl_add_u32 v1, v1, 23, v5
	v_lshl_or_b32 v1, v2, 21, v1
	v_add_u32_e32 v1, 0x38000000, v1
                                        ; implicit-def: $vgpr2
                                        ; implicit-def: $vgpr50
.LBB4_4911:                             ;   in Loop: Header=BB4_4667 Depth=3
	s_andn2_saveexec_b64 s[36:37], s[36:37]
; %bb.4912:                             ;   in Loop: Header=BB4_4667 Depth=3
	v_cmp_lt_i16_e32 vcc, -1, v50
	v_mov_b32_e32 v1, 0xff800000
	v_cndmask_b32_e32 v1, v1, v47, vcc
	v_cmp_eq_u32_e32 vcc, 0, v2
	v_mov_b32_e32 v2, 0x7f800001
	v_cndmask_b32_e32 v1, v2, v1, vcc
; %bb.4913:                             ;   in Loop: Header=BB4_4667 Depth=3
	s_or_b64 exec, exec, s[36:37]
.LBB4_4914:                             ;   in Loop: Header=BB4_4667 Depth=3
	s_or_b64 exec, exec, s[34:35]
.LBB4_4915:                             ;   in Loop: Header=BB4_4667 Depth=3
	s_or_b64 exec, exec, s[28:29]
	v_cmp_ne_u16_e32 vcc, 0, v4
	s_and_saveexec_b64 s[28:29], vcc
	s_cbranch_execz .LBB4_4923
; %bb.4916:                             ;   in Loop: Header=BB4_4667 Depth=3
	v_cmp_ne_u16_e32 vcc, s70, v4
	v_bfrev_b32_e32 v0, 1
	s_and_saveexec_b64 s[34:35], vcc
	s_cbranch_execz .LBB4_4922
; %bb.4917:                             ;   in Loop: Header=BB4_4667 Depth=3
	v_and_b32_e32 v0, 0x7c, v4
	v_and_b32_e32 v2, 3, v4
	v_cmp_ne_u32_e32 vcc, s71, v0
                                        ; implicit-def: $vgpr0
	s_and_saveexec_b64 s[36:37], vcc
	s_xor_b64 s[36:37], exec, s[36:37]
	s_cbranch_execz .LBB4_4919
; %bb.4918:                             ;   in Loop: Header=BB4_4667 Depth=3
	v_ffbh_u32_e32 v17, v2
	v_min_u32_e32 v25, 32, v17
	v_and_b32_e32 v0, 0xff, v4
	v_mov_b32_e32 v5, v61
	v_subrev_u32_e32 v17, 29, v25
	v_bfe_u32 v0, v0, 2, 5
	v_lshlrev_b64 v[17:18], v17, v[4:5]
	v_sub_u32_e32 v5, 30, v25
	v_cmp_eq_u32_e32 vcc, 0, v0
	v_and_b32_e32 v17, 3, v17
	v_cndmask_b32_e32 v0, v0, v5, vcc
	v_and_b32_sdwa v4, sext(v4), s80 dst_sel:DWORD dst_unused:UNUSED_PAD src0_sel:WORD_0 src1_sel:DWORD
	v_cndmask_b32_e32 v2, v2, v17, vcc
	v_lshl_add_u32 v0, v0, 23, v4
	v_lshl_or_b32 v0, v2, 21, v0
	v_add_u32_e32 v0, 0x38000000, v0
                                        ; implicit-def: $vgpr2
                                        ; implicit-def: $vgpr4
.LBB4_4919:                             ;   in Loop: Header=BB4_4667 Depth=3
	s_andn2_saveexec_b64 s[36:37], s[36:37]
; %bb.4920:                             ;   in Loop: Header=BB4_4667 Depth=3
	v_cmp_lt_i16_e32 vcc, -1, v4
	v_mov_b32_e32 v0, 0xff800000
	v_cndmask_b32_e32 v0, v0, v47, vcc
	v_cmp_eq_u32_e32 vcc, 0, v2
	v_mov_b32_e32 v2, 0x7f800001
	v_cndmask_b32_e32 v0, v2, v0, vcc
; %bb.4921:                             ;   in Loop: Header=BB4_4667 Depth=3
	s_or_b64 exec, exec, s[36:37]
.LBB4_4922:                             ;   in Loop: Header=BB4_4667 Depth=3
	s_or_b64 exec, exec, s[34:35]
.LBB4_4923:                             ;   in Loop: Header=BB4_4667 Depth=3
	s_or_b64 exec, exec, s[28:29]
	v_mul_f32_e32 v0, v1, v0
	v_and_b32_e32 v1, 0x7f800000, v0
	v_mov_b32_e32 v2, v61
	v_cmp_ne_u64_e32 vcc, s[62:63], v[1:2]
	v_and_b32_e32 v60, 0x7fffff, v0
                                        ; implicit-def: $vgpr4
	s_and_saveexec_b64 s[28:29], vcc
	s_xor_b64 s[34:35], exec, s[28:29]
	s_cbranch_execz .LBB4_4941
; %bb.4924:                             ;   in Loop: Header=BB4_4667 Depth=3
	v_and_b32_e32 v1, 0x7fffffff, v0
	v_mov_b32_e32 v2, v61
	v_cmp_gt_u64_e32 vcc, s[78:79], v[1:2]
	v_and_b32_sdwa v5, v0, s81 dst_sel:DWORD dst_unused:UNUSED_PAD src0_sel:BYTE_3 src1_sel:DWORD
                                        ; implicit-def: $vgpr4
	s_and_saveexec_b64 s[28:29], vcc
	s_xor_b64 s[36:37], exec, s[28:29]
	s_cbranch_execz .LBB4_4938
; %bb.4925:                             ;   in Loop: Header=BB4_4667 Depth=3
	v_cmp_ne_u32_e32 vcc, 0, v0
	v_mov_b32_e32 v4, 0
	s_and_saveexec_b64 s[38:39], vcc
	s_cbranch_execz .LBB4_4937
; %bb.4926:                             ;   in Loop: Header=BB4_4667 Depth=3
	v_bfe_u32 v4, v0, 23, 8
	v_cmp_gt_u32_e64 s[28:29], s47, v4
	v_sub_u32_e32 v0, 0x71, v4
	v_cmp_eq_u32_e32 vcc, 0, v4
	v_cndmask_b32_e64 v0, 0, v0, s[28:29]
	v_mov_b32_e32 v2, 0x70
	v_cndmask_b32_e32 v17, v0, v2, vcc
	v_add_u32_e32 v2, 21, v17
	v_or_b32_e32 v1, 0x800000, v60
	v_lshlrev_b64 v[50:51], v2, -1
	v_cndmask_b32_e32 v0, v1, v60, vcc
	v_mov_b32_e32 v1, v61
	v_add_u32_e32 v2, 20, v17
	v_bfi_b32 v50, v50, 0, v0
	v_lshlrev_b64 v[53:54], v2, 1
	v_lshrrev_b64 v[0:1], v17, v[0:1]
	v_bfi_b32 v51, v51, 0, 0
	v_cmp_eq_u64_e64 s[28:29], v[50:51], v[53:54]
	v_mov_b32_e32 v2, v1
	v_mov_b32_e32 v1, v0
	s_and_saveexec_b64 s[48:49], s[28:29]
; %bb.4927:                             ;   in Loop: Header=BB4_4667 Depth=3
	v_bfe_u32 v1, v0, 21, 1
	v_add_co_u32_e64 v1, s[28:29], v0, v1
	v_add_co_u32_e64 v1, s[28:29], -1, v1
; %bb.4928:                             ;   in Loop: Header=BB4_4667 Depth=3
	s_or_b64 exec, exec, s[48:49]
	v_add_u32_e32 v2, 0xffffff81, v4
	v_mov_b32_e32 v4, 0xffffff82
	v_cndmask_b32_e32 v2, v2, v4, vcc
	v_lshrrev_b32_e32 v4, 23, v0
	v_add3_u32 v17, v17, v2, v4
	v_add_u32_e32 v4, 14, v17
	v_and_b32_e32 v1, 0x1fffff, v1
	v_add_u32_e32 v60, v1, v0
	v_cmp_ne_u32_e32 vcc, 0, v4
                                        ; implicit-def: $vgpr0_vgpr1
                                        ; implicit-def: $vgpr2
	s_and_saveexec_b64 s[28:29], vcc
	s_xor_b64 s[28:29], exec, s[28:29]
; %bb.4929:                             ;   in Loop: Header=BB4_4667 Depth=3
	v_cmp_lt_u64_e32 vcc, s[88:89], v[60:61]
	v_add_u32_e32 v0, 15, v17
	v_cndmask_b32_e32 v2, v4, v0, vcc
	v_cndmask_b32_e64 v0, 0, 1, vcc
	v_lshrrev_b64 v[0:1], v0, v[60:61]
; %bb.4930:                             ;   in Loop: Header=BB4_4667 Depth=3
	s_andn2_saveexec_b64 s[28:29], s[28:29]
; %bb.4931:                             ;   in Loop: Header=BB4_4667 Depth=3
	v_mov_b32_e32 v0, v60
	v_mov_b32_e32 v1, v61
	v_bfe_u32 v2, v60, 23, 1
; %bb.4932:                             ;   in Loop: Header=BB4_4667 Depth=3
	s_or_b64 exec, exec, s[28:29]
	v_lshrrev_b64 v[0:1], 21, v[0:1]
	v_cmp_gt_i32_e32 vcc, 32, v2
	v_cndmask_b32_e32 v1, 0, v1, vcc
	v_cndmask_b32_e32 v0, 3, v0, vcc
	v_cmp_ne_u64_e32 vcc, 0, v[0:1]
	v_cmp_ne_u32_e64 s[28:29], 0, v2
	s_or_b64 s[28:29], s[28:29], vcc
                                        ; implicit-def: $vgpr4
	s_and_saveexec_b64 vcc, s[28:29]
	s_xor_b64 s[28:29], exec, vcc
; %bb.4933:                             ;   in Loop: Header=BB4_4667 Depth=3
	v_min_i32_e32 v1, 31, v2
	v_lshl_or_b32 v1, v1, 2, v5
	v_and_or_b32 v4, v0, 3, v1
                                        ; implicit-def: $vgpr5
; %bb.4934:                             ;   in Loop: Header=BB4_4667 Depth=3
	s_andn2_saveexec_b64 s[28:29], s[28:29]
; %bb.4935:                             ;   in Loop: Header=BB4_4667 Depth=3
	v_mov_b32_e32 v4, v5
; %bb.4936:                             ;   in Loop: Header=BB4_4667 Depth=3
	s_or_b64 exec, exec, s[28:29]
.LBB4_4937:                             ;   in Loop: Header=BB4_4667 Depth=3
	s_or_b64 exec, exec, s[38:39]
                                        ; implicit-def: $vgpr5
.LBB4_4938:                             ;   in Loop: Header=BB4_4667 Depth=3
	s_andn2_saveexec_b64 s[28:29], s[36:37]
; %bb.4939:                             ;   in Loop: Header=BB4_4667 Depth=3
	v_or_b32_e32 v4, 0x7b, v5
; %bb.4940:                             ;   in Loop: Header=BB4_4667 Depth=3
	s_or_b64 exec, exec, s[28:29]
                                        ; implicit-def: $vgpr0
.LBB4_4941:                             ;   in Loop: Header=BB4_4667 Depth=3
	s_andn2_saveexec_b64 s[28:29], s[34:35]
	s_cbranch_execz .LBB4_4947
; %bb.4942:                             ;   in Loop: Header=BB4_4667 Depth=3
	v_cmp_ne_u64_e32 vcc, 0, v[60:61]
                                        ; implicit-def: $vgpr4
	s_and_saveexec_b64 s[34:35], vcc
	s_xor_b64 vcc, exec, s[34:35]
; %bb.4943:                             ;   in Loop: Header=BB4_4667 Depth=3
	v_or_b32_sdwa v4, v0, s44 dst_sel:DWORD dst_unused:UNUSED_PAD src0_sel:BYTE_3 src1_sel:DWORD
                                        ; implicit-def: $vgpr0
; %bb.4944:                             ;   in Loop: Header=BB4_4667 Depth=3
	s_andn2_saveexec_b64 s[34:35], vcc
; %bb.4945:                             ;   in Loop: Header=BB4_4667 Depth=3
	v_cmp_lt_i32_e32 vcc, -1, v0
	v_mov_b32_e32 v0, 0x7c
	v_cndmask_b32_e32 v4, -4, v0, vcc
; %bb.4946:                             ;   in Loop: Header=BB4_4667 Depth=3
	s_or_b64 exec, exec, s[34:35]
.LBB4_4947:                             ;   in Loop: Header=BB4_4667 Depth=3
	s_or_b64 exec, exec, s[28:29]
	v_cmp_ne_u16_e32 vcc, 0, v52
	v_mov_b32_e32 v0, 0
	v_mov_b32_e32 v1, 0
	s_and_saveexec_b64 s[28:29], vcc
	s_cbranch_execz .LBB4_4955
; %bb.4948:                             ;   in Loop: Header=BB4_4667 Depth=3
	v_cmp_ne_u16_e32 vcc, s70, v52
	v_bfrev_b32_e32 v1, 1
	s_and_saveexec_b64 s[34:35], vcc
	s_cbranch_execz .LBB4_4954
; %bb.4949:                             ;   in Loop: Header=BB4_4667 Depth=3
	v_and_b32_e32 v1, 0x7c, v52
	v_and_b32_e32 v2, 3, v52
	v_cmp_ne_u32_e32 vcc, s71, v1
                                        ; implicit-def: $vgpr1
	s_and_saveexec_b64 s[36:37], vcc
	s_xor_b64 s[36:37], exec, s[36:37]
	s_cbranch_execz .LBB4_4951
; %bb.4950:                             ;   in Loop: Header=BB4_4667 Depth=3
	v_ffbh_u32_e32 v5, v2
	v_min_u32_e32 v5, 32, v5
	v_and_b32_e32 v1, 0xff, v52
	v_mov_b32_e32 v53, v61
	v_subrev_u32_e32 v17, 29, v5
	v_bfe_u32 v1, v1, 2, 5
	v_lshlrev_b64 v[17:18], v17, v[52:53]
	v_sub_u32_e32 v5, 30, v5
	v_cmp_eq_u32_e32 vcc, 0, v1
	v_and_b32_e32 v17, 3, v17
	v_cndmask_b32_e32 v1, v1, v5, vcc
	v_and_b32_sdwa v5, sext(v52), s80 dst_sel:DWORD dst_unused:UNUSED_PAD src0_sel:WORD_0 src1_sel:DWORD
	v_cndmask_b32_e32 v2, v2, v17, vcc
	v_lshl_add_u32 v1, v1, 23, v5
	v_lshl_or_b32 v1, v2, 21, v1
	v_add_u32_e32 v1, 0x38000000, v1
                                        ; implicit-def: $vgpr2
                                        ; implicit-def: $vgpr52
.LBB4_4951:                             ;   in Loop: Header=BB4_4667 Depth=3
	s_andn2_saveexec_b64 s[36:37], s[36:37]
; %bb.4952:                             ;   in Loop: Header=BB4_4667 Depth=3
	v_cmp_lt_i16_e32 vcc, -1, v52
	v_mov_b32_e32 v1, 0xff800000
	v_cndmask_b32_e32 v1, v1, v47, vcc
	v_cmp_eq_u32_e32 vcc, 0, v2
	v_mov_b32_e32 v2, 0x7f800001
	v_cndmask_b32_e32 v1, v2, v1, vcc
; %bb.4953:                             ;   in Loop: Header=BB4_4667 Depth=3
	s_or_b64 exec, exec, s[36:37]
.LBB4_4954:                             ;   in Loop: Header=BB4_4667 Depth=3
	s_or_b64 exec, exec, s[34:35]
.LBB4_4955:                             ;   in Loop: Header=BB4_4667 Depth=3
	s_or_b64 exec, exec, s[28:29]
	v_cmp_ne_u16_e32 vcc, 0, v24
	s_and_saveexec_b64 s[28:29], vcc
	s_cbranch_execz .LBB4_4963
; %bb.4956:                             ;   in Loop: Header=BB4_4667 Depth=3
	v_cmp_ne_u16_e32 vcc, s70, v24
	v_bfrev_b32_e32 v0, 1
	s_and_saveexec_b64 s[34:35], vcc
	s_cbranch_execz .LBB4_4962
; %bb.4957:                             ;   in Loop: Header=BB4_4667 Depth=3
	v_and_b32_e32 v0, 0x7c, v24
	v_and_b32_e32 v2, 3, v24
	v_cmp_ne_u32_e32 vcc, s71, v0
                                        ; implicit-def: $vgpr0
	s_and_saveexec_b64 s[36:37], vcc
	s_xor_b64 s[36:37], exec, s[36:37]
	s_cbranch_execz .LBB4_4959
; %bb.4958:                             ;   in Loop: Header=BB4_4667 Depth=3
	v_ffbh_u32_e32 v5, v2
	v_min_u32_e32 v5, 32, v5
	v_and_b32_e32 v0, 0xff, v24
	v_mov_b32_e32 v25, v61
	v_subrev_u32_e32 v17, 29, v5
	v_bfe_u32 v0, v0, 2, 5
	v_lshlrev_b64 v[17:18], v17, v[24:25]
	v_sub_u32_e32 v5, 30, v5
	v_cmp_eq_u32_e32 vcc, 0, v0
	v_and_b32_e32 v17, 3, v17
	v_cndmask_b32_e32 v0, v0, v5, vcc
	v_and_b32_sdwa v5, sext(v24), s80 dst_sel:DWORD dst_unused:UNUSED_PAD src0_sel:WORD_0 src1_sel:DWORD
	v_cndmask_b32_e32 v2, v2, v17, vcc
	v_lshl_add_u32 v0, v0, 23, v5
	v_lshl_or_b32 v0, v2, 21, v0
	v_add_u32_e32 v0, 0x38000000, v0
                                        ; implicit-def: $vgpr2
                                        ; implicit-def: $vgpr24
.LBB4_4959:                             ;   in Loop: Header=BB4_4667 Depth=3
	s_andn2_saveexec_b64 s[36:37], s[36:37]
; %bb.4960:                             ;   in Loop: Header=BB4_4667 Depth=3
	v_cmp_lt_i16_e32 vcc, -1, v24
	v_mov_b32_e32 v0, 0xff800000
	v_cndmask_b32_e32 v0, v0, v47, vcc
	v_cmp_eq_u32_e32 vcc, 0, v2
	v_mov_b32_e32 v2, 0x7f800001
	v_cndmask_b32_e32 v0, v2, v0, vcc
; %bb.4961:                             ;   in Loop: Header=BB4_4667 Depth=3
	s_or_b64 exec, exec, s[36:37]
.LBB4_4962:                             ;   in Loop: Header=BB4_4667 Depth=3
	s_or_b64 exec, exec, s[34:35]
.LBB4_4963:                             ;   in Loop: Header=BB4_4667 Depth=3
	s_or_b64 exec, exec, s[28:29]
	v_mul_f32_e32 v0, v1, v0
	v_and_b32_e32 v1, 0x7f800000, v0
	v_mov_b32_e32 v2, v61
	v_cmp_ne_u64_e32 vcc, s[62:63], v[1:2]
	v_and_b32_e32 v60, 0x7fffff, v0
                                        ; implicit-def: $vgpr5
	s_and_saveexec_b64 s[28:29], vcc
	s_xor_b64 s[34:35], exec, s[28:29]
	s_cbranch_execz .LBB4_4981
; %bb.4964:                             ;   in Loop: Header=BB4_4667 Depth=3
	v_and_b32_e32 v1, 0x7fffffff, v0
	v_mov_b32_e32 v2, v61
	v_cmp_gt_u64_e32 vcc, s[78:79], v[1:2]
	v_and_b32_sdwa v17, v0, s81 dst_sel:DWORD dst_unused:UNUSED_PAD src0_sel:BYTE_3 src1_sel:DWORD
                                        ; implicit-def: $vgpr5
	s_and_saveexec_b64 s[28:29], vcc
	s_xor_b64 s[36:37], exec, s[28:29]
	s_cbranch_execz .LBB4_4978
; %bb.4965:                             ;   in Loop: Header=BB4_4667 Depth=3
	v_cmp_ne_u32_e32 vcc, 0, v0
	v_mov_b32_e32 v5, 0
	s_and_saveexec_b64 s[38:39], vcc
	s_cbranch_execz .LBB4_4977
; %bb.4966:                             ;   in Loop: Header=BB4_4667 Depth=3
	v_bfe_u32 v5, v0, 23, 8
	v_cmp_gt_u32_e64 s[28:29], s47, v5
	v_sub_u32_e32 v0, 0x71, v5
	v_cmp_eq_u32_e32 vcc, 0, v5
	v_cndmask_b32_e64 v0, 0, v0, s[28:29]
	v_mov_b32_e32 v2, 0x70
	v_cndmask_b32_e32 v18, v0, v2, vcc
	v_add_u32_e32 v2, 21, v18
	v_or_b32_e32 v1, 0x800000, v60
	v_lshlrev_b64 v[24:25], v2, -1
	v_cndmask_b32_e32 v0, v1, v60, vcc
	v_mov_b32_e32 v1, v61
	v_add_u32_e32 v2, 20, v18
	v_bfi_b32 v24, v24, 0, v0
	v_lshlrev_b64 v[50:51], v2, 1
	v_lshrrev_b64 v[0:1], v18, v[0:1]
	v_bfi_b32 v25, v25, 0, 0
	v_cmp_eq_u64_e64 s[28:29], v[24:25], v[50:51]
	v_mov_b32_e32 v2, v1
	v_mov_b32_e32 v1, v0
	s_and_saveexec_b64 s[48:49], s[28:29]
; %bb.4967:                             ;   in Loop: Header=BB4_4667 Depth=3
	v_bfe_u32 v1, v0, 21, 1
	v_add_co_u32_e64 v1, s[28:29], v0, v1
	v_add_co_u32_e64 v1, s[28:29], -1, v1
; %bb.4968:                             ;   in Loop: Header=BB4_4667 Depth=3
	s_or_b64 exec, exec, s[48:49]
	v_add_u32_e32 v2, 0xffffff81, v5
	v_mov_b32_e32 v5, 0xffffff82
	v_cndmask_b32_e32 v2, v2, v5, vcc
	v_lshrrev_b32_e32 v5, 23, v0
	v_add3_u32 v18, v18, v2, v5
	v_add_u32_e32 v5, 14, v18
	v_and_b32_e32 v1, 0x1fffff, v1
	v_add_u32_e32 v60, v1, v0
	v_cmp_ne_u32_e32 vcc, 0, v5
                                        ; implicit-def: $vgpr0_vgpr1
                                        ; implicit-def: $vgpr2
	s_and_saveexec_b64 s[28:29], vcc
	s_xor_b64 s[28:29], exec, s[28:29]
; %bb.4969:                             ;   in Loop: Header=BB4_4667 Depth=3
	v_cmp_lt_u64_e32 vcc, s[88:89], v[60:61]
	v_add_u32_e32 v0, 15, v18
	v_cndmask_b32_e32 v2, v5, v0, vcc
	v_cndmask_b32_e64 v0, 0, 1, vcc
	v_lshrrev_b64 v[0:1], v0, v[60:61]
; %bb.4970:                             ;   in Loop: Header=BB4_4667 Depth=3
	s_andn2_saveexec_b64 s[28:29], s[28:29]
; %bb.4971:                             ;   in Loop: Header=BB4_4667 Depth=3
	v_mov_b32_e32 v0, v60
	v_mov_b32_e32 v1, v61
	v_bfe_u32 v2, v60, 23, 1
; %bb.4972:                             ;   in Loop: Header=BB4_4667 Depth=3
	s_or_b64 exec, exec, s[28:29]
	v_lshrrev_b64 v[0:1], 21, v[0:1]
	v_cmp_gt_i32_e32 vcc, 32, v2
	v_cndmask_b32_e32 v1, 0, v1, vcc
	v_cndmask_b32_e32 v0, 3, v0, vcc
	v_cmp_ne_u64_e32 vcc, 0, v[0:1]
	v_cmp_ne_u32_e64 s[28:29], 0, v2
	s_or_b64 s[28:29], s[28:29], vcc
                                        ; implicit-def: $vgpr5
	s_and_saveexec_b64 vcc, s[28:29]
	s_xor_b64 s[28:29], exec, vcc
; %bb.4973:                             ;   in Loop: Header=BB4_4667 Depth=3
	v_min_i32_e32 v1, 31, v2
	v_lshl_or_b32 v1, v1, 2, v17
	v_and_or_b32 v5, v0, 3, v1
                                        ; implicit-def: $vgpr17
; %bb.4974:                             ;   in Loop: Header=BB4_4667 Depth=3
	s_andn2_saveexec_b64 s[28:29], s[28:29]
; %bb.4975:                             ;   in Loop: Header=BB4_4667 Depth=3
	v_mov_b32_e32 v5, v17
; %bb.4976:                             ;   in Loop: Header=BB4_4667 Depth=3
	s_or_b64 exec, exec, s[28:29]
.LBB4_4977:                             ;   in Loop: Header=BB4_4667 Depth=3
	s_or_b64 exec, exec, s[38:39]
                                        ; implicit-def: $vgpr17
.LBB4_4978:                             ;   in Loop: Header=BB4_4667 Depth=3
	s_andn2_saveexec_b64 s[28:29], s[36:37]
; %bb.4979:                             ;   in Loop: Header=BB4_4667 Depth=3
	v_or_b32_e32 v5, 0x7b, v17
; %bb.4980:                             ;   in Loop: Header=BB4_4667 Depth=3
	s_or_b64 exec, exec, s[28:29]
                                        ; implicit-def: $vgpr0
.LBB4_4981:                             ;   in Loop: Header=BB4_4667 Depth=3
	s_andn2_saveexec_b64 s[28:29], s[34:35]
	s_cbranch_execz .LBB4_4987
; %bb.4982:                             ;   in Loop: Header=BB4_4667 Depth=3
	v_cmp_ne_u64_e32 vcc, 0, v[60:61]
                                        ; implicit-def: $vgpr5
	s_and_saveexec_b64 s[34:35], vcc
	s_xor_b64 vcc, exec, s[34:35]
; %bb.4983:                             ;   in Loop: Header=BB4_4667 Depth=3
	v_or_b32_sdwa v5, v0, s44 dst_sel:DWORD dst_unused:UNUSED_PAD src0_sel:BYTE_3 src1_sel:DWORD
                                        ; implicit-def: $vgpr0
; %bb.4984:                             ;   in Loop: Header=BB4_4667 Depth=3
	s_andn2_saveexec_b64 s[34:35], vcc
; %bb.4985:                             ;   in Loop: Header=BB4_4667 Depth=3
	v_cmp_lt_i32_e32 vcc, -1, v0
	v_mov_b32_e32 v0, 0x7c
	v_cndmask_b32_e32 v5, -4, v0, vcc
; %bb.4986:                             ;   in Loop: Header=BB4_4667 Depth=3
	s_or_b64 exec, exec, s[34:35]
.LBB4_4987:                             ;   in Loop: Header=BB4_4667 Depth=3
	s_or_b64 exec, exec, s[28:29]
	v_cmp_ne_u16_e32 vcc, 0, v23
	v_mov_b32_e32 v0, 0
	v_mov_b32_e32 v1, 0
	s_and_saveexec_b64 s[28:29], vcc
	s_cbranch_execz .LBB4_4995
; %bb.4988:                             ;   in Loop: Header=BB4_4667 Depth=3
	v_cmp_ne_u16_e32 vcc, s70, v23
	v_bfrev_b32_e32 v1, 1
	s_and_saveexec_b64 s[34:35], vcc
	s_cbranch_execz .LBB4_4994
; %bb.4989:                             ;   in Loop: Header=BB4_4667 Depth=3
	v_and_b32_e32 v1, 0x7c, v23
	v_and_b32_e32 v2, 3, v23
	v_cmp_ne_u32_e32 vcc, s71, v1
                                        ; implicit-def: $vgpr1
	s_and_saveexec_b64 s[36:37], vcc
	s_xor_b64 s[36:37], exec, s[36:37]
	s_cbranch_execz .LBB4_4991
; %bb.4990:                             ;   in Loop: Header=BB4_4667 Depth=3
	v_ffbh_u32_e32 v17, v2
	v_min_u32_e32 v25, 32, v17
	v_mov_b32_e32 v24, v61
	v_subrev_u32_e32 v17, 29, v25
	v_and_b32_e32 v1, 0xff, v23
	v_lshlrev_b64 v[17:18], v17, v[23:24]
	v_bfe_u32 v1, v1, 2, 5
	v_sub_u32_e32 v18, 30, v25
	v_and_b32_e32 v17, 3, v17
	v_cmp_eq_u32_e32 vcc, 0, v1
	v_cndmask_b32_e32 v1, v1, v18, vcc
	v_cndmask_b32_e32 v2, v2, v17, vcc
	v_and_b32_sdwa v17, sext(v23), s80 dst_sel:DWORD dst_unused:UNUSED_PAD src0_sel:WORD_0 src1_sel:DWORD
	v_lshl_add_u32 v1, v1, 23, v17
	v_lshl_or_b32 v1, v2, 21, v1
	v_add_u32_e32 v1, 0x38000000, v1
                                        ; implicit-def: $vgpr2
                                        ; implicit-def: $vgpr23
.LBB4_4991:                             ;   in Loop: Header=BB4_4667 Depth=3
	s_andn2_saveexec_b64 s[36:37], s[36:37]
; %bb.4992:                             ;   in Loop: Header=BB4_4667 Depth=3
	v_cmp_lt_i16_e32 vcc, -1, v23
	v_mov_b32_e32 v1, 0xff800000
	v_cndmask_b32_e32 v1, v1, v47, vcc
	v_cmp_eq_u32_e32 vcc, 0, v2
	v_mov_b32_e32 v2, 0x7f800001
	v_cndmask_b32_e32 v1, v2, v1, vcc
; %bb.4993:                             ;   in Loop: Header=BB4_4667 Depth=3
	s_or_b64 exec, exec, s[36:37]
.LBB4_4994:                             ;   in Loop: Header=BB4_4667 Depth=3
	s_or_b64 exec, exec, s[34:35]
.LBB4_4995:                             ;   in Loop: Header=BB4_4667 Depth=3
	s_or_b64 exec, exec, s[28:29]
	v_cmp_ne_u16_e32 vcc, 0, v59
	s_and_saveexec_b64 s[28:29], vcc
	s_cbranch_execz .LBB4_5003
; %bb.4996:                             ;   in Loop: Header=BB4_4667 Depth=3
	v_cmp_ne_u16_e32 vcc, s70, v59
	v_bfrev_b32_e32 v0, 1
	s_and_saveexec_b64 s[34:35], vcc
	s_cbranch_execz .LBB4_5002
; %bb.4997:                             ;   in Loop: Header=BB4_4667 Depth=3
	v_and_b32_e32 v0, 0x7c, v59
	v_and_b32_e32 v2, 3, v59
	v_cmp_ne_u32_e32 vcc, s71, v0
                                        ; implicit-def: $vgpr0
	s_and_saveexec_b64 s[36:37], vcc
	s_xor_b64 s[36:37], exec, s[36:37]
	s_cbranch_execz .LBB4_4999
; %bb.4998:                             ;   in Loop: Header=BB4_4667 Depth=3
	v_ffbh_u32_e32 v17, v2
	v_min_u32_e32 v23, 32, v17
	v_mov_b32_e32 v60, v61
	v_subrev_u32_e32 v17, 29, v23
	v_and_b32_e32 v0, 0xff, v59
	v_lshlrev_b64 v[17:18], v17, v[59:60]
	v_bfe_u32 v0, v0, 2, 5
	v_sub_u32_e32 v18, 30, v23
	v_and_b32_e32 v17, 3, v17
	v_cmp_eq_u32_e32 vcc, 0, v0
	v_cndmask_b32_e32 v0, v0, v18, vcc
	v_cndmask_b32_e32 v2, v2, v17, vcc
	v_and_b32_sdwa v17, sext(v59), s80 dst_sel:DWORD dst_unused:UNUSED_PAD src0_sel:WORD_0 src1_sel:DWORD
	v_lshl_add_u32 v0, v0, 23, v17
	v_lshl_or_b32 v0, v2, 21, v0
	v_add_u32_e32 v0, 0x38000000, v0
                                        ; implicit-def: $vgpr2
                                        ; implicit-def: $vgpr59
.LBB4_4999:                             ;   in Loop: Header=BB4_4667 Depth=3
	s_andn2_saveexec_b64 s[36:37], s[36:37]
; %bb.5000:                             ;   in Loop: Header=BB4_4667 Depth=3
	v_cmp_lt_i16_e32 vcc, -1, v59
	v_mov_b32_e32 v0, 0xff800000
	v_cndmask_b32_e32 v0, v0, v47, vcc
	v_cmp_eq_u32_e32 vcc, 0, v2
	v_mov_b32_e32 v2, 0x7f800001
	v_cndmask_b32_e32 v0, v2, v0, vcc
; %bb.5001:                             ;   in Loop: Header=BB4_4667 Depth=3
	s_or_b64 exec, exec, s[36:37]
.LBB4_5002:                             ;   in Loop: Header=BB4_4667 Depth=3
	s_or_b64 exec, exec, s[34:35]
.LBB4_5003:                             ;   in Loop: Header=BB4_4667 Depth=3
	s_or_b64 exec, exec, s[28:29]
	v_mul_f32_e32 v0, v1, v0
	v_and_b32_e32 v1, 0x7f800000, v0
	v_mov_b32_e32 v2, v61
	v_cmp_ne_u64_e32 vcc, s[62:63], v[1:2]
	v_and_b32_e32 v60, 0x7fffff, v0
                                        ; implicit-def: $vgpr17
	s_and_saveexec_b64 s[28:29], vcc
	s_xor_b64 s[34:35], exec, s[28:29]
	s_cbranch_execz .LBB4_5021
; %bb.5004:                             ;   in Loop: Header=BB4_4667 Depth=3
	v_and_b32_e32 v1, 0x7fffffff, v0
	v_mov_b32_e32 v2, v61
	v_cmp_gt_u64_e32 vcc, s[78:79], v[1:2]
	v_and_b32_sdwa v18, v0, s81 dst_sel:DWORD dst_unused:UNUSED_PAD src0_sel:BYTE_3 src1_sel:DWORD
                                        ; implicit-def: $vgpr17
	s_and_saveexec_b64 s[28:29], vcc
	s_xor_b64 s[36:37], exec, s[28:29]
	s_cbranch_execz .LBB4_5018
; %bb.5005:                             ;   in Loop: Header=BB4_4667 Depth=3
	v_cmp_ne_u32_e32 vcc, 0, v0
	v_mov_b32_e32 v17, 0
	s_and_saveexec_b64 s[38:39], vcc
	s_cbranch_execz .LBB4_5017
; %bb.5006:                             ;   in Loop: Header=BB4_4667 Depth=3
	v_bfe_u32 v17, v0, 23, 8
	v_cmp_gt_u32_e64 s[28:29], s47, v17
	v_sub_u32_e32 v0, 0x71, v17
	v_cmp_eq_u32_e32 vcc, 0, v17
	v_cndmask_b32_e64 v0, 0, v0, s[28:29]
	v_mov_b32_e32 v2, 0x70
	v_cndmask_b32_e32 v23, v0, v2, vcc
	v_add_u32_e32 v2, 21, v23
	v_or_b32_e32 v1, 0x800000, v60
	v_lshlrev_b64 v[24:25], v2, -1
	v_cndmask_b32_e32 v0, v1, v60, vcc
	v_mov_b32_e32 v1, v61
	v_add_u32_e32 v2, 20, v23
	v_bfi_b32 v24, v24, 0, v0
	v_lshlrev_b64 v[50:51], v2, 1
	v_lshrrev_b64 v[0:1], v23, v[0:1]
	v_bfi_b32 v25, v25, 0, 0
	v_cmp_eq_u64_e64 s[28:29], v[24:25], v[50:51]
	v_mov_b32_e32 v2, v1
	v_mov_b32_e32 v1, v0
	s_and_saveexec_b64 s[48:49], s[28:29]
; %bb.5007:                             ;   in Loop: Header=BB4_4667 Depth=3
	v_bfe_u32 v1, v0, 21, 1
	v_add_co_u32_e64 v1, s[28:29], v0, v1
	v_add_co_u32_e64 v1, s[28:29], -1, v1
; %bb.5008:                             ;   in Loop: Header=BB4_4667 Depth=3
	s_or_b64 exec, exec, s[48:49]
	v_add_u32_e32 v2, 0xffffff81, v17
	v_mov_b32_e32 v17, 0xffffff82
	v_cndmask_b32_e32 v2, v2, v17, vcc
	v_lshrrev_b32_e32 v17, 23, v0
	v_add3_u32 v23, v23, v2, v17
	v_add_u32_e32 v17, 14, v23
	v_and_b32_e32 v1, 0x1fffff, v1
	v_add_u32_e32 v60, v1, v0
	v_cmp_ne_u32_e32 vcc, 0, v17
                                        ; implicit-def: $vgpr0_vgpr1
                                        ; implicit-def: $vgpr2
	s_and_saveexec_b64 s[28:29], vcc
	s_xor_b64 s[28:29], exec, s[28:29]
; %bb.5009:                             ;   in Loop: Header=BB4_4667 Depth=3
	v_cmp_lt_u64_e32 vcc, s[88:89], v[60:61]
	v_add_u32_e32 v0, 15, v23
	v_cndmask_b32_e32 v2, v17, v0, vcc
	v_cndmask_b32_e64 v0, 0, 1, vcc
	v_lshrrev_b64 v[0:1], v0, v[60:61]
; %bb.5010:                             ;   in Loop: Header=BB4_4667 Depth=3
	s_andn2_saveexec_b64 s[28:29], s[28:29]
; %bb.5011:                             ;   in Loop: Header=BB4_4667 Depth=3
	v_mov_b32_e32 v0, v60
	v_mov_b32_e32 v1, v61
	v_bfe_u32 v2, v60, 23, 1
; %bb.5012:                             ;   in Loop: Header=BB4_4667 Depth=3
	s_or_b64 exec, exec, s[28:29]
	v_lshrrev_b64 v[0:1], 21, v[0:1]
	v_cmp_gt_i32_e32 vcc, 32, v2
	v_cndmask_b32_e32 v1, 0, v1, vcc
	v_cndmask_b32_e32 v0, 3, v0, vcc
	v_cmp_ne_u64_e32 vcc, 0, v[0:1]
	v_cmp_ne_u32_e64 s[28:29], 0, v2
	s_or_b64 s[28:29], s[28:29], vcc
                                        ; implicit-def: $vgpr17
	s_and_saveexec_b64 vcc, s[28:29]
	s_xor_b64 s[28:29], exec, vcc
; %bb.5013:                             ;   in Loop: Header=BB4_4667 Depth=3
	v_min_i32_e32 v1, 31, v2
	v_lshl_or_b32 v1, v1, 2, v18
	v_and_or_b32 v17, v0, 3, v1
                                        ; implicit-def: $vgpr18
; %bb.5014:                             ;   in Loop: Header=BB4_4667 Depth=3
	s_andn2_saveexec_b64 s[28:29], s[28:29]
; %bb.5015:                             ;   in Loop: Header=BB4_4667 Depth=3
	v_mov_b32_e32 v17, v18
; %bb.5016:                             ;   in Loop: Header=BB4_4667 Depth=3
	s_or_b64 exec, exec, s[28:29]
.LBB4_5017:                             ;   in Loop: Header=BB4_4667 Depth=3
	s_or_b64 exec, exec, s[38:39]
                                        ; implicit-def: $vgpr18
.LBB4_5018:                             ;   in Loop: Header=BB4_4667 Depth=3
	s_andn2_saveexec_b64 s[28:29], s[36:37]
; %bb.5019:                             ;   in Loop: Header=BB4_4667 Depth=3
	v_or_b32_e32 v17, 0x7b, v18
; %bb.5020:                             ;   in Loop: Header=BB4_4667 Depth=3
	s_or_b64 exec, exec, s[28:29]
                                        ; implicit-def: $vgpr0
.LBB4_5021:                             ;   in Loop: Header=BB4_4667 Depth=3
	s_andn2_saveexec_b64 s[28:29], s[34:35]
	s_cbranch_execz .LBB4_5027
; %bb.5022:                             ;   in Loop: Header=BB4_4667 Depth=3
	v_cmp_ne_u64_e32 vcc, 0, v[60:61]
                                        ; implicit-def: $vgpr17
	s_and_saveexec_b64 s[34:35], vcc
	s_xor_b64 vcc, exec, s[34:35]
; %bb.5023:                             ;   in Loop: Header=BB4_4667 Depth=3
	v_or_b32_sdwa v17, v0, s44 dst_sel:DWORD dst_unused:UNUSED_PAD src0_sel:BYTE_3 src1_sel:DWORD
                                        ; implicit-def: $vgpr0
; %bb.5024:                             ;   in Loop: Header=BB4_4667 Depth=3
	s_andn2_saveexec_b64 s[34:35], vcc
; %bb.5025:                             ;   in Loop: Header=BB4_4667 Depth=3
	v_cmp_lt_i32_e32 vcc, -1, v0
	v_mov_b32_e32 v0, 0x7c
	v_cndmask_b32_e32 v17, -4, v0, vcc
; %bb.5026:                             ;   in Loop: Header=BB4_4667 Depth=3
	s_or_b64 exec, exec, s[34:35]
.LBB4_5027:                             ;   in Loop: Header=BB4_4667 Depth=3
	s_or_b64 exec, exec, s[28:29]
	v_cmp_ne_u16_e32 vcc, 0, v36
	v_mov_b32_e32 v0, 0
	v_mov_b32_e32 v1, 0
	s_and_saveexec_b64 s[28:29], vcc
	s_cbranch_execz .LBB4_5035
; %bb.5028:                             ;   in Loop: Header=BB4_4667 Depth=3
	v_cmp_ne_u16_e32 vcc, s70, v36
	v_bfrev_b32_e32 v1, 1
	s_and_saveexec_b64 s[34:35], vcc
	s_cbranch_execz .LBB4_5034
; %bb.5029:                             ;   in Loop: Header=BB4_4667 Depth=3
	v_and_b32_e32 v1, 0x7c, v36
	v_and_b32_e32 v2, 3, v36
	v_cmp_ne_u32_e32 vcc, s71, v1
                                        ; implicit-def: $vgpr1
	s_and_saveexec_b64 s[36:37], vcc
	s_xor_b64 s[36:37], exec, s[36:37]
	s_cbranch_execz .LBB4_5031
; %bb.5030:                             ;   in Loop: Header=BB4_4667 Depth=3
	v_ffbh_u32_e32 v18, v2
	v_min_u32_e32 v18, 32, v18
	v_and_b32_e32 v1, 0xff, v36
	v_mov_b32_e32 v37, v61
	v_subrev_u32_e32 v23, 29, v18
	v_bfe_u32 v1, v1, 2, 5
	v_lshlrev_b64 v[23:24], v23, v[36:37]
	v_sub_u32_e32 v18, 30, v18
	v_cmp_eq_u32_e32 vcc, 0, v1
	v_and_b32_e32 v23, 3, v23
	v_cndmask_b32_e32 v1, v1, v18, vcc
	v_and_b32_sdwa v18, sext(v36), s80 dst_sel:DWORD dst_unused:UNUSED_PAD src0_sel:WORD_0 src1_sel:DWORD
	v_cndmask_b32_e32 v2, v2, v23, vcc
	v_lshl_add_u32 v1, v1, 23, v18
	v_lshl_or_b32 v1, v2, 21, v1
	v_add_u32_e32 v1, 0x38000000, v1
                                        ; implicit-def: $vgpr2
                                        ; implicit-def: $vgpr36
.LBB4_5031:                             ;   in Loop: Header=BB4_4667 Depth=3
	s_andn2_saveexec_b64 s[36:37], s[36:37]
; %bb.5032:                             ;   in Loop: Header=BB4_4667 Depth=3
	v_cmp_lt_i16_e32 vcc, -1, v36
	v_mov_b32_e32 v1, 0xff800000
	v_cndmask_b32_e32 v1, v1, v47, vcc
	v_cmp_eq_u32_e32 vcc, 0, v2
	v_mov_b32_e32 v2, 0x7f800001
	v_cndmask_b32_e32 v1, v2, v1, vcc
; %bb.5033:                             ;   in Loop: Header=BB4_4667 Depth=3
	s_or_b64 exec, exec, s[36:37]
.LBB4_5034:                             ;   in Loop: Header=BB4_4667 Depth=3
	s_or_b64 exec, exec, s[34:35]
.LBB4_5035:                             ;   in Loop: Header=BB4_4667 Depth=3
	s_or_b64 exec, exec, s[28:29]
	v_cmp_ne_u16_e32 vcc, 0, v58
	s_and_saveexec_b64 s[28:29], vcc
	s_cbranch_execz .LBB4_5043
; %bb.5036:                             ;   in Loop: Header=BB4_4667 Depth=3
	v_cmp_ne_u16_e32 vcc, s70, v58
	v_bfrev_b32_e32 v0, 1
	s_and_saveexec_b64 s[34:35], vcc
	s_cbranch_execz .LBB4_5042
; %bb.5037:                             ;   in Loop: Header=BB4_4667 Depth=3
	v_and_b32_e32 v0, 0x7c, v58
	v_and_b32_e32 v2, 3, v58
	v_cmp_ne_u32_e32 vcc, s71, v0
                                        ; implicit-def: $vgpr0
	s_and_saveexec_b64 s[36:37], vcc
	s_xor_b64 s[36:37], exec, s[36:37]
	s_cbranch_execz .LBB4_5039
; %bb.5038:                             ;   in Loop: Header=BB4_4667 Depth=3
	v_ffbh_u32_e32 v18, v2
	v_min_u32_e32 v18, 32, v18
	v_and_b32_e32 v0, 0xff, v58
	v_mov_b32_e32 v59, v61
	v_subrev_u32_e32 v23, 29, v18
	v_bfe_u32 v0, v0, 2, 5
	v_lshlrev_b64 v[23:24], v23, v[58:59]
	v_sub_u32_e32 v18, 30, v18
	v_cmp_eq_u32_e32 vcc, 0, v0
	v_and_b32_e32 v23, 3, v23
	v_cndmask_b32_e32 v0, v0, v18, vcc
	v_and_b32_sdwa v18, sext(v58), s80 dst_sel:DWORD dst_unused:UNUSED_PAD src0_sel:WORD_0 src1_sel:DWORD
	v_cndmask_b32_e32 v2, v2, v23, vcc
	v_lshl_add_u32 v0, v0, 23, v18
	v_lshl_or_b32 v0, v2, 21, v0
	v_add_u32_e32 v0, 0x38000000, v0
                                        ; implicit-def: $vgpr2
                                        ; implicit-def: $vgpr58
.LBB4_5039:                             ;   in Loop: Header=BB4_4667 Depth=3
	s_andn2_saveexec_b64 s[36:37], s[36:37]
; %bb.5040:                             ;   in Loop: Header=BB4_4667 Depth=3
	v_cmp_lt_i16_e32 vcc, -1, v58
	v_mov_b32_e32 v0, 0xff800000
	v_cndmask_b32_e32 v0, v0, v47, vcc
	v_cmp_eq_u32_e32 vcc, 0, v2
	v_mov_b32_e32 v2, 0x7f800001
	v_cndmask_b32_e32 v0, v2, v0, vcc
; %bb.5041:                             ;   in Loop: Header=BB4_4667 Depth=3
	s_or_b64 exec, exec, s[36:37]
.LBB4_5042:                             ;   in Loop: Header=BB4_4667 Depth=3
	s_or_b64 exec, exec, s[34:35]
.LBB4_5043:                             ;   in Loop: Header=BB4_4667 Depth=3
	s_or_b64 exec, exec, s[28:29]
	v_mul_f32_e32 v0, v1, v0
	v_and_b32_e32 v1, 0x7f800000, v0
	v_mov_b32_e32 v2, v61
	v_cmp_ne_u64_e32 vcc, s[62:63], v[1:2]
	v_and_b32_e32 v60, 0x7fffff, v0
                                        ; implicit-def: $vgpr18
	s_and_saveexec_b64 s[28:29], vcc
	s_xor_b64 s[34:35], exec, s[28:29]
	s_cbranch_execz .LBB4_5061
; %bb.5044:                             ;   in Loop: Header=BB4_4667 Depth=3
	v_and_b32_e32 v1, 0x7fffffff, v0
	v_mov_b32_e32 v2, v61
	v_cmp_gt_u64_e32 vcc, s[78:79], v[1:2]
	v_and_b32_sdwa v23, v0, s81 dst_sel:DWORD dst_unused:UNUSED_PAD src0_sel:BYTE_3 src1_sel:DWORD
                                        ; implicit-def: $vgpr18
	s_and_saveexec_b64 s[28:29], vcc
	s_xor_b64 s[36:37], exec, s[28:29]
	s_cbranch_execz .LBB4_5058
; %bb.5045:                             ;   in Loop: Header=BB4_4667 Depth=3
	v_cmp_ne_u32_e32 vcc, 0, v0
	v_mov_b32_e32 v18, 0
	s_and_saveexec_b64 s[38:39], vcc
	s_cbranch_execz .LBB4_5057
; %bb.5046:                             ;   in Loop: Header=BB4_4667 Depth=3
	v_bfe_u32 v18, v0, 23, 8
	v_cmp_gt_u32_e64 s[28:29], s47, v18
	v_sub_u32_e32 v0, 0x71, v18
	v_cmp_eq_u32_e32 vcc, 0, v18
	v_cndmask_b32_e64 v0, 0, v0, s[28:29]
	v_mov_b32_e32 v2, 0x70
	v_cndmask_b32_e32 v24, v0, v2, vcc
	v_add_u32_e32 v2, 21, v24
	v_or_b32_e32 v1, 0x800000, v60
	v_lshlrev_b64 v[36:37], v2, -1
	v_cndmask_b32_e32 v0, v1, v60, vcc
	v_mov_b32_e32 v1, v61
	v_add_u32_e32 v2, 20, v24
	v_bfi_b32 v36, v36, 0, v0
	v_lshlrev_b64 v[50:51], v2, 1
	v_lshrrev_b64 v[0:1], v24, v[0:1]
	v_bfi_b32 v37, v37, 0, 0
	v_cmp_eq_u64_e64 s[28:29], v[36:37], v[50:51]
	v_mov_b32_e32 v2, v1
	v_mov_b32_e32 v1, v0
	s_and_saveexec_b64 s[48:49], s[28:29]
; %bb.5047:                             ;   in Loop: Header=BB4_4667 Depth=3
	v_bfe_u32 v1, v0, 21, 1
	v_add_co_u32_e64 v1, s[28:29], v0, v1
	v_add_co_u32_e64 v1, s[28:29], -1, v1
; %bb.5048:                             ;   in Loop: Header=BB4_4667 Depth=3
	s_or_b64 exec, exec, s[48:49]
	v_add_u32_e32 v2, 0xffffff81, v18
	v_mov_b32_e32 v18, 0xffffff82
	v_cndmask_b32_e32 v2, v2, v18, vcc
	v_lshrrev_b32_e32 v18, 23, v0
	v_add3_u32 v24, v24, v2, v18
	v_add_u32_e32 v18, 14, v24
	v_and_b32_e32 v1, 0x1fffff, v1
	v_add_u32_e32 v60, v1, v0
	v_cmp_ne_u32_e32 vcc, 0, v18
                                        ; implicit-def: $vgpr0_vgpr1
                                        ; implicit-def: $vgpr2
	s_and_saveexec_b64 s[28:29], vcc
	s_xor_b64 s[28:29], exec, s[28:29]
; %bb.5049:                             ;   in Loop: Header=BB4_4667 Depth=3
	v_cmp_lt_u64_e32 vcc, s[88:89], v[60:61]
	v_add_u32_e32 v0, 15, v24
	v_cndmask_b32_e32 v2, v18, v0, vcc
	v_cndmask_b32_e64 v0, 0, 1, vcc
	v_lshrrev_b64 v[0:1], v0, v[60:61]
; %bb.5050:                             ;   in Loop: Header=BB4_4667 Depth=3
	s_andn2_saveexec_b64 s[28:29], s[28:29]
; %bb.5051:                             ;   in Loop: Header=BB4_4667 Depth=3
	v_mov_b32_e32 v0, v60
	v_mov_b32_e32 v1, v61
	v_bfe_u32 v2, v60, 23, 1
; %bb.5052:                             ;   in Loop: Header=BB4_4667 Depth=3
	s_or_b64 exec, exec, s[28:29]
	v_lshrrev_b64 v[0:1], 21, v[0:1]
	v_cmp_gt_i32_e32 vcc, 32, v2
	v_cndmask_b32_e32 v1, 0, v1, vcc
	v_cndmask_b32_e32 v0, 3, v0, vcc
	v_cmp_ne_u64_e32 vcc, 0, v[0:1]
	v_cmp_ne_u32_e64 s[28:29], 0, v2
	s_or_b64 s[28:29], s[28:29], vcc
                                        ; implicit-def: $vgpr18
	s_and_saveexec_b64 vcc, s[28:29]
	s_xor_b64 s[28:29], exec, vcc
; %bb.5053:                             ;   in Loop: Header=BB4_4667 Depth=3
	v_min_i32_e32 v1, 31, v2
	v_lshl_or_b32 v1, v1, 2, v23
	v_and_or_b32 v18, v0, 3, v1
                                        ; implicit-def: $vgpr23
; %bb.5054:                             ;   in Loop: Header=BB4_4667 Depth=3
	s_andn2_saveexec_b64 s[28:29], s[28:29]
; %bb.5055:                             ;   in Loop: Header=BB4_4667 Depth=3
	v_mov_b32_e32 v18, v23
; %bb.5056:                             ;   in Loop: Header=BB4_4667 Depth=3
	s_or_b64 exec, exec, s[28:29]
.LBB4_5057:                             ;   in Loop: Header=BB4_4667 Depth=3
	s_or_b64 exec, exec, s[38:39]
                                        ; implicit-def: $vgpr23
.LBB4_5058:                             ;   in Loop: Header=BB4_4667 Depth=3
	s_andn2_saveexec_b64 s[28:29], s[36:37]
; %bb.5059:                             ;   in Loop: Header=BB4_4667 Depth=3
	v_or_b32_e32 v18, 0x7b, v23
; %bb.5060:                             ;   in Loop: Header=BB4_4667 Depth=3
	s_or_b64 exec, exec, s[28:29]
                                        ; implicit-def: $vgpr0
.LBB4_5061:                             ;   in Loop: Header=BB4_4667 Depth=3
	s_andn2_saveexec_b64 s[28:29], s[34:35]
	s_cbranch_execz .LBB4_5067
; %bb.5062:                             ;   in Loop: Header=BB4_4667 Depth=3
	v_cmp_ne_u64_e32 vcc, 0, v[60:61]
                                        ; implicit-def: $vgpr18
	s_and_saveexec_b64 s[34:35], vcc
	s_xor_b64 vcc, exec, s[34:35]
; %bb.5063:                             ;   in Loop: Header=BB4_4667 Depth=3
	v_or_b32_sdwa v18, v0, s44 dst_sel:DWORD dst_unused:UNUSED_PAD src0_sel:BYTE_3 src1_sel:DWORD
                                        ; implicit-def: $vgpr0
; %bb.5064:                             ;   in Loop: Header=BB4_4667 Depth=3
	s_andn2_saveexec_b64 s[34:35], vcc
; %bb.5065:                             ;   in Loop: Header=BB4_4667 Depth=3
	v_cmp_lt_i32_e32 vcc, -1, v0
	v_mov_b32_e32 v0, 0x7c
	v_cndmask_b32_e32 v18, -4, v0, vcc
; %bb.5066:                             ;   in Loop: Header=BB4_4667 Depth=3
	s_or_b64 exec, exec, s[34:35]
.LBB4_5067:                             ;   in Loop: Header=BB4_4667 Depth=3
	s_or_b64 exec, exec, s[28:29]
	v_cmp_ne_u16_e32 vcc, 0, v30
	v_mov_b32_e32 v0, 0
	v_mov_b32_e32 v1, 0
	s_and_saveexec_b64 s[28:29], vcc
	s_cbranch_execz .LBB4_5075
; %bb.5068:                             ;   in Loop: Header=BB4_4667 Depth=3
	v_cmp_ne_u16_e32 vcc, s70, v30
	v_bfrev_b32_e32 v1, 1
	s_and_saveexec_b64 s[34:35], vcc
	s_cbranch_execz .LBB4_5074
; %bb.5069:                             ;   in Loop: Header=BB4_4667 Depth=3
	v_and_b32_e32 v1, 0x7c, v30
	v_and_b32_e32 v2, 3, v30
	v_cmp_ne_u32_e32 vcc, s71, v1
                                        ; implicit-def: $vgpr1
	s_and_saveexec_b64 s[36:37], vcc
	s_xor_b64 s[36:37], exec, s[36:37]
	s_cbranch_execz .LBB4_5071
; %bb.5070:                             ;   in Loop: Header=BB4_4667 Depth=3
	v_ffbh_u32_e32 v23, v2
	v_min_u32_e32 v25, 32, v23
	v_mov_b32_e32 v31, v61
	v_subrev_u32_e32 v23, 29, v25
	v_and_b32_e32 v1, 0xff, v30
	v_lshlrev_b64 v[23:24], v23, v[30:31]
	v_bfe_u32 v1, v1, 2, 5
	v_sub_u32_e32 v24, 30, v25
	v_and_b32_e32 v23, 3, v23
	v_cmp_eq_u32_e32 vcc, 0, v1
	v_cndmask_b32_e32 v1, v1, v24, vcc
	v_cndmask_b32_e32 v2, v2, v23, vcc
	v_and_b32_sdwa v23, sext(v30), s80 dst_sel:DWORD dst_unused:UNUSED_PAD src0_sel:WORD_0 src1_sel:DWORD
	v_lshl_add_u32 v1, v1, 23, v23
	v_lshl_or_b32 v1, v2, 21, v1
	v_add_u32_e32 v1, 0x38000000, v1
                                        ; implicit-def: $vgpr2
                                        ; implicit-def: $vgpr30
.LBB4_5071:                             ;   in Loop: Header=BB4_4667 Depth=3
	s_andn2_saveexec_b64 s[36:37], s[36:37]
; %bb.5072:                             ;   in Loop: Header=BB4_4667 Depth=3
	v_cmp_lt_i16_e32 vcc, -1, v30
	v_mov_b32_e32 v1, 0xff800000
	v_cndmask_b32_e32 v1, v1, v47, vcc
	v_cmp_eq_u32_e32 vcc, 0, v2
	v_mov_b32_e32 v2, 0x7f800001
	v_cndmask_b32_e32 v1, v2, v1, vcc
; %bb.5073:                             ;   in Loop: Header=BB4_4667 Depth=3
	s_or_b64 exec, exec, s[36:37]
.LBB4_5074:                             ;   in Loop: Header=BB4_4667 Depth=3
	s_or_b64 exec, exec, s[34:35]
.LBB4_5075:                             ;   in Loop: Header=BB4_4667 Depth=3
	s_or_b64 exec, exec, s[28:29]
	v_cmp_ne_u16_e32 vcc, 0, v29
	s_and_saveexec_b64 s[28:29], vcc
	s_cbranch_execz .LBB4_5083
; %bb.5076:                             ;   in Loop: Header=BB4_4667 Depth=3
	v_cmp_ne_u16_e32 vcc, s70, v29
	v_bfrev_b32_e32 v0, 1
	s_and_saveexec_b64 s[34:35], vcc
	s_cbranch_execz .LBB4_5082
; %bb.5077:                             ;   in Loop: Header=BB4_4667 Depth=3
	v_and_b32_e32 v0, 0x7c, v29
	v_and_b32_e32 v2, 3, v29
	v_cmp_ne_u32_e32 vcc, s71, v0
                                        ; implicit-def: $vgpr0
	s_and_saveexec_b64 s[36:37], vcc
	s_xor_b64 s[36:37], exec, s[36:37]
	s_cbranch_execz .LBB4_5079
; %bb.5078:                             ;   in Loop: Header=BB4_4667 Depth=3
	v_ffbh_u32_e32 v23, v2
	v_min_u32_e32 v25, 32, v23
	v_mov_b32_e32 v30, v61
	v_subrev_u32_e32 v23, 29, v25
	v_and_b32_e32 v0, 0xff, v29
	v_lshlrev_b64 v[23:24], v23, v[29:30]
	v_bfe_u32 v0, v0, 2, 5
	v_sub_u32_e32 v24, 30, v25
	v_and_b32_e32 v23, 3, v23
	v_cmp_eq_u32_e32 vcc, 0, v0
	v_cndmask_b32_e32 v0, v0, v24, vcc
	v_cndmask_b32_e32 v2, v2, v23, vcc
	v_and_b32_sdwa v23, sext(v29), s80 dst_sel:DWORD dst_unused:UNUSED_PAD src0_sel:WORD_0 src1_sel:DWORD
	v_lshl_add_u32 v0, v0, 23, v23
	v_lshl_or_b32 v0, v2, 21, v0
	v_add_u32_e32 v0, 0x38000000, v0
                                        ; implicit-def: $vgpr2
                                        ; implicit-def: $vgpr29
.LBB4_5079:                             ;   in Loop: Header=BB4_4667 Depth=3
	s_andn2_saveexec_b64 s[36:37], s[36:37]
; %bb.5080:                             ;   in Loop: Header=BB4_4667 Depth=3
	v_cmp_lt_i16_e32 vcc, -1, v29
	v_mov_b32_e32 v0, 0xff800000
	v_cndmask_b32_e32 v0, v0, v47, vcc
	v_cmp_eq_u32_e32 vcc, 0, v2
	v_mov_b32_e32 v2, 0x7f800001
	v_cndmask_b32_e32 v0, v2, v0, vcc
; %bb.5081:                             ;   in Loop: Header=BB4_4667 Depth=3
	s_or_b64 exec, exec, s[36:37]
.LBB4_5082:                             ;   in Loop: Header=BB4_4667 Depth=3
	s_or_b64 exec, exec, s[34:35]
.LBB4_5083:                             ;   in Loop: Header=BB4_4667 Depth=3
	s_or_b64 exec, exec, s[28:29]
	v_mul_f32_e32 v0, v1, v0
	v_and_b32_e32 v1, 0x7f800000, v0
	v_mov_b32_e32 v2, v61
	v_cmp_ne_u64_e32 vcc, s[62:63], v[1:2]
	v_and_b32_e32 v60, 0x7fffff, v0
                                        ; implicit-def: $vgpr24
	s_and_saveexec_b64 s[28:29], vcc
	s_xor_b64 s[34:35], exec, s[28:29]
	s_cbranch_execz .LBB4_5101
; %bb.5084:                             ;   in Loop: Header=BB4_4667 Depth=3
	v_and_b32_e32 v1, 0x7fffffff, v0
	v_mov_b32_e32 v2, v61
	v_cmp_gt_u64_e32 vcc, s[78:79], v[1:2]
	v_and_b32_sdwa v23, v0, s81 dst_sel:DWORD dst_unused:UNUSED_PAD src0_sel:BYTE_3 src1_sel:DWORD
                                        ; implicit-def: $vgpr24
	s_and_saveexec_b64 s[28:29], vcc
	s_xor_b64 s[36:37], exec, s[28:29]
	s_cbranch_execz .LBB4_5098
; %bb.5085:                             ;   in Loop: Header=BB4_4667 Depth=3
	v_cmp_ne_u32_e32 vcc, 0, v0
	v_mov_b32_e32 v24, 0
	s_and_saveexec_b64 s[38:39], vcc
	s_cbranch_execz .LBB4_5097
; %bb.5086:                             ;   in Loop: Header=BB4_4667 Depth=3
	v_bfe_u32 v24, v0, 23, 8
	v_cmp_gt_u32_e64 s[28:29], s47, v24
	v_sub_u32_e32 v0, 0x71, v24
	v_cmp_eq_u32_e32 vcc, 0, v24
	v_cndmask_b32_e64 v0, 0, v0, s[28:29]
	v_mov_b32_e32 v2, 0x70
	v_cndmask_b32_e32 v25, v0, v2, vcc
	v_add_u32_e32 v2, 21, v25
	v_or_b32_e32 v1, 0x800000, v60
	v_lshlrev_b64 v[29:30], v2, -1
	v_cndmask_b32_e32 v0, v1, v60, vcc
	v_mov_b32_e32 v1, v61
	v_add_u32_e32 v2, 20, v25
	v_bfi_b32 v29, v29, 0, v0
	v_lshlrev_b64 v[36:37], v2, 1
	v_lshrrev_b64 v[0:1], v25, v[0:1]
	v_bfi_b32 v30, v30, 0, 0
	v_cmp_eq_u64_e64 s[28:29], v[29:30], v[36:37]
	v_mov_b32_e32 v2, v1
	v_mov_b32_e32 v1, v0
	s_and_saveexec_b64 s[48:49], s[28:29]
; %bb.5087:                             ;   in Loop: Header=BB4_4667 Depth=3
	v_bfe_u32 v1, v0, 21, 1
	v_add_co_u32_e64 v1, s[28:29], v0, v1
	v_add_co_u32_e64 v1, s[28:29], -1, v1
; %bb.5088:                             ;   in Loop: Header=BB4_4667 Depth=3
	s_or_b64 exec, exec, s[48:49]
	v_add_u32_e32 v2, 0xffffff81, v24
	v_mov_b32_e32 v24, 0xffffff82
	v_cndmask_b32_e32 v2, v2, v24, vcc
	v_lshrrev_b32_e32 v24, 23, v0
	v_add3_u32 v25, v25, v2, v24
	v_add_u32_e32 v24, 14, v25
	v_and_b32_e32 v1, 0x1fffff, v1
	v_add_u32_e32 v60, v1, v0
	v_cmp_ne_u32_e32 vcc, 0, v24
                                        ; implicit-def: $vgpr0_vgpr1
                                        ; implicit-def: $vgpr2
	s_and_saveexec_b64 s[28:29], vcc
	s_xor_b64 s[28:29], exec, s[28:29]
; %bb.5089:                             ;   in Loop: Header=BB4_4667 Depth=3
	v_cmp_lt_u64_e32 vcc, s[88:89], v[60:61]
	v_add_u32_e32 v0, 15, v25
	v_cndmask_b32_e32 v2, v24, v0, vcc
	v_cndmask_b32_e64 v0, 0, 1, vcc
	v_lshrrev_b64 v[0:1], v0, v[60:61]
; %bb.5090:                             ;   in Loop: Header=BB4_4667 Depth=3
	s_andn2_saveexec_b64 s[28:29], s[28:29]
; %bb.5091:                             ;   in Loop: Header=BB4_4667 Depth=3
	v_mov_b32_e32 v0, v60
	v_mov_b32_e32 v1, v61
	v_bfe_u32 v2, v60, 23, 1
; %bb.5092:                             ;   in Loop: Header=BB4_4667 Depth=3
	s_or_b64 exec, exec, s[28:29]
	v_lshrrev_b64 v[0:1], 21, v[0:1]
	v_cmp_gt_i32_e32 vcc, 32, v2
	v_cndmask_b32_e32 v1, 0, v1, vcc
	v_cndmask_b32_e32 v0, 3, v0, vcc
	v_cmp_ne_u64_e32 vcc, 0, v[0:1]
	v_cmp_ne_u32_e64 s[28:29], 0, v2
	s_or_b64 s[28:29], s[28:29], vcc
                                        ; implicit-def: $vgpr24
	s_and_saveexec_b64 vcc, s[28:29]
	s_xor_b64 s[28:29], exec, vcc
; %bb.5093:                             ;   in Loop: Header=BB4_4667 Depth=3
	v_min_i32_e32 v1, 31, v2
	v_lshl_or_b32 v1, v1, 2, v23
	v_and_or_b32 v24, v0, 3, v1
                                        ; implicit-def: $vgpr23
; %bb.5094:                             ;   in Loop: Header=BB4_4667 Depth=3
	s_andn2_saveexec_b64 s[28:29], s[28:29]
; %bb.5095:                             ;   in Loop: Header=BB4_4667 Depth=3
	v_mov_b32_e32 v24, v23
; %bb.5096:                             ;   in Loop: Header=BB4_4667 Depth=3
	s_or_b64 exec, exec, s[28:29]
.LBB4_5097:                             ;   in Loop: Header=BB4_4667 Depth=3
	s_or_b64 exec, exec, s[38:39]
                                        ; implicit-def: $vgpr23
.LBB4_5098:                             ;   in Loop: Header=BB4_4667 Depth=3
	s_andn2_saveexec_b64 s[28:29], s[36:37]
; %bb.5099:                             ;   in Loop: Header=BB4_4667 Depth=3
	v_or_b32_e32 v24, 0x7b, v23
; %bb.5100:                             ;   in Loop: Header=BB4_4667 Depth=3
	s_or_b64 exec, exec, s[28:29]
                                        ; implicit-def: $vgpr0
.LBB4_5101:                             ;   in Loop: Header=BB4_4667 Depth=3
	s_andn2_saveexec_b64 s[28:29], s[34:35]
	s_cbranch_execz .LBB4_5107
; %bb.5102:                             ;   in Loop: Header=BB4_4667 Depth=3
	v_cmp_ne_u64_e32 vcc, 0, v[60:61]
                                        ; implicit-def: $vgpr24
	s_and_saveexec_b64 s[34:35], vcc
	s_xor_b64 vcc, exec, s[34:35]
; %bb.5103:                             ;   in Loop: Header=BB4_4667 Depth=3
	v_or_b32_sdwa v24, v0, s44 dst_sel:DWORD dst_unused:UNUSED_PAD src0_sel:BYTE_3 src1_sel:DWORD
                                        ; implicit-def: $vgpr0
; %bb.5104:                             ;   in Loop: Header=BB4_4667 Depth=3
	s_andn2_saveexec_b64 s[34:35], vcc
; %bb.5105:                             ;   in Loop: Header=BB4_4667 Depth=3
	v_cmp_lt_i32_e32 vcc, -1, v0
	v_mov_b32_e32 v0, 0x7c
	v_cndmask_b32_e32 v24, -4, v0, vcc
; %bb.5106:                             ;   in Loop: Header=BB4_4667 Depth=3
	s_or_b64 exec, exec, s[34:35]
.LBB4_5107:                             ;   in Loop: Header=BB4_4667 Depth=3
	s_or_b64 exec, exec, s[28:29]
	v_cmp_ne_u16_e32 vcc, 0, v28
	v_mov_b32_e32 v0, 0
	v_mov_b32_e32 v1, 0
	s_and_saveexec_b64 s[28:29], vcc
	s_cbranch_execz .LBB4_5115
; %bb.5108:                             ;   in Loop: Header=BB4_4667 Depth=3
	v_cmp_ne_u16_e32 vcc, s70, v28
	v_bfrev_b32_e32 v1, 1
	s_and_saveexec_b64 s[34:35], vcc
	s_cbranch_execz .LBB4_5114
; %bb.5109:                             ;   in Loop: Header=BB4_4667 Depth=3
	v_and_b32_e32 v1, 0x7c, v28
	v_and_b32_e32 v2, 3, v28
	v_cmp_ne_u32_e32 vcc, s71, v1
                                        ; implicit-def: $vgpr1
	s_and_saveexec_b64 s[36:37], vcc
	s_xor_b64 s[36:37], exec, s[36:37]
	s_cbranch_execz .LBB4_5111
; %bb.5110:                             ;   in Loop: Header=BB4_4667 Depth=3
	v_ffbh_u32_e32 v23, v2
	v_min_u32_e32 v23, 32, v23
	v_and_b32_e32 v1, 0xff, v28
	v_mov_b32_e32 v29, v61
	v_subrev_u32_e32 v25, 29, v23
	v_bfe_u32 v1, v1, 2, 5
	v_lshlrev_b64 v[29:30], v25, v[28:29]
	v_sub_u32_e32 v23, 30, v23
	v_cmp_eq_u32_e32 vcc, 0, v1
	v_and_b32_e32 v25, 3, v29
	v_cndmask_b32_e32 v1, v1, v23, vcc
	v_and_b32_sdwa v23, sext(v28), s80 dst_sel:DWORD dst_unused:UNUSED_PAD src0_sel:WORD_0 src1_sel:DWORD
	v_cndmask_b32_e32 v2, v2, v25, vcc
	v_lshl_add_u32 v1, v1, 23, v23
	v_lshl_or_b32 v1, v2, 21, v1
	v_add_u32_e32 v1, 0x38000000, v1
                                        ; implicit-def: $vgpr2
                                        ; implicit-def: $vgpr28
.LBB4_5111:                             ;   in Loop: Header=BB4_4667 Depth=3
	s_andn2_saveexec_b64 s[36:37], s[36:37]
; %bb.5112:                             ;   in Loop: Header=BB4_4667 Depth=3
	v_cmp_lt_i16_e32 vcc, -1, v28
	v_mov_b32_e32 v1, 0xff800000
	v_cndmask_b32_e32 v1, v1, v47, vcc
	v_cmp_eq_u32_e32 vcc, 0, v2
	v_mov_b32_e32 v2, 0x7f800001
	v_cndmask_b32_e32 v1, v2, v1, vcc
; %bb.5113:                             ;   in Loop: Header=BB4_4667 Depth=3
	s_or_b64 exec, exec, s[36:37]
.LBB4_5114:                             ;   in Loop: Header=BB4_4667 Depth=3
	s_or_b64 exec, exec, s[34:35]
.LBB4_5115:                             ;   in Loop: Header=BB4_4667 Depth=3
	s_or_b64 exec, exec, s[28:29]
	v_cmp_ne_u16_e32 vcc, 0, v27
	s_and_saveexec_b64 s[28:29], vcc
	s_cbranch_execz .LBB4_5123
; %bb.5116:                             ;   in Loop: Header=BB4_4667 Depth=3
	v_cmp_ne_u16_e32 vcc, s70, v27
	v_bfrev_b32_e32 v0, 1
	s_and_saveexec_b64 s[34:35], vcc
	s_cbranch_execz .LBB4_5122
; %bb.5117:                             ;   in Loop: Header=BB4_4667 Depth=3
	v_and_b32_e32 v0, 0x7c, v27
	v_and_b32_e32 v2, 3, v27
	v_cmp_ne_u32_e32 vcc, s71, v0
                                        ; implicit-def: $vgpr0
	s_and_saveexec_b64 s[36:37], vcc
	s_xor_b64 s[36:37], exec, s[36:37]
	s_cbranch_execz .LBB4_5119
; %bb.5118:                             ;   in Loop: Header=BB4_4667 Depth=3
	v_ffbh_u32_e32 v23, v2
	v_min_u32_e32 v23, 32, v23
	v_and_b32_e32 v0, 0xff, v27
	v_mov_b32_e32 v28, v61
	v_subrev_u32_e32 v25, 29, v23
	v_bfe_u32 v0, v0, 2, 5
	v_lshlrev_b64 v[28:29], v25, v[27:28]
	v_sub_u32_e32 v23, 30, v23
	v_cmp_eq_u32_e32 vcc, 0, v0
	v_and_b32_e32 v25, 3, v28
	v_cndmask_b32_e32 v0, v0, v23, vcc
	v_and_b32_sdwa v23, sext(v27), s80 dst_sel:DWORD dst_unused:UNUSED_PAD src0_sel:WORD_0 src1_sel:DWORD
	v_cndmask_b32_e32 v2, v2, v25, vcc
	v_lshl_add_u32 v0, v0, 23, v23
	v_lshl_or_b32 v0, v2, 21, v0
	v_add_u32_e32 v0, 0x38000000, v0
                                        ; implicit-def: $vgpr2
                                        ; implicit-def: $vgpr27
.LBB4_5119:                             ;   in Loop: Header=BB4_4667 Depth=3
	s_andn2_saveexec_b64 s[36:37], s[36:37]
; %bb.5120:                             ;   in Loop: Header=BB4_4667 Depth=3
	v_cmp_lt_i16_e32 vcc, -1, v27
	v_mov_b32_e32 v0, 0xff800000
	v_cndmask_b32_e32 v0, v0, v47, vcc
	v_cmp_eq_u32_e32 vcc, 0, v2
	v_mov_b32_e32 v2, 0x7f800001
	v_cndmask_b32_e32 v0, v2, v0, vcc
; %bb.5121:                             ;   in Loop: Header=BB4_4667 Depth=3
	s_or_b64 exec, exec, s[36:37]
.LBB4_5122:                             ;   in Loop: Header=BB4_4667 Depth=3
	s_or_b64 exec, exec, s[34:35]
.LBB4_5123:                             ;   in Loop: Header=BB4_4667 Depth=3
	s_or_b64 exec, exec, s[28:29]
	v_mul_f32_e32 v0, v1, v0
	v_and_b32_e32 v1, 0x7f800000, v0
	v_mov_b32_e32 v2, v61
	v_cmp_ne_u64_e32 vcc, s[62:63], v[1:2]
	v_and_b32_e32 v60, 0x7fffff, v0
                                        ; implicit-def: $vgpr25
	s_and_saveexec_b64 s[28:29], vcc
	s_xor_b64 s[34:35], exec, s[28:29]
	s_cbranch_execz .LBB4_5141
; %bb.5124:                             ;   in Loop: Header=BB4_4667 Depth=3
	v_and_b32_e32 v1, 0x7fffffff, v0
	v_mov_b32_e32 v2, v61
	v_cmp_gt_u64_e32 vcc, s[78:79], v[1:2]
	v_and_b32_sdwa v23, v0, s81 dst_sel:DWORD dst_unused:UNUSED_PAD src0_sel:BYTE_3 src1_sel:DWORD
                                        ; implicit-def: $vgpr25
	s_and_saveexec_b64 s[28:29], vcc
	s_xor_b64 s[36:37], exec, s[28:29]
	s_cbranch_execz .LBB4_5138
; %bb.5125:                             ;   in Loop: Header=BB4_4667 Depth=3
	v_cmp_ne_u32_e32 vcc, 0, v0
	v_mov_b32_e32 v25, 0
	s_and_saveexec_b64 s[38:39], vcc
	s_cbranch_execz .LBB4_5137
; %bb.5126:                             ;   in Loop: Header=BB4_4667 Depth=3
	v_bfe_u32 v25, v0, 23, 8
	v_cmp_gt_u32_e64 s[28:29], s47, v25
	v_sub_u32_e32 v0, 0x71, v25
	v_cmp_eq_u32_e32 vcc, 0, v25
	v_cndmask_b32_e64 v0, 0, v0, s[28:29]
	v_mov_b32_e32 v2, 0x70
	v_cndmask_b32_e32 v27, v0, v2, vcc
	v_add_u32_e32 v2, 21, v27
	v_or_b32_e32 v1, 0x800000, v60
	v_lshlrev_b64 v[28:29], v2, -1
	v_cndmask_b32_e32 v0, v1, v60, vcc
	v_mov_b32_e32 v1, v61
	v_add_u32_e32 v2, 20, v27
	v_bfi_b32 v28, v28, 0, v0
	v_lshlrev_b64 v[30:31], v2, 1
	v_lshrrev_b64 v[0:1], v27, v[0:1]
	v_bfi_b32 v29, v29, 0, 0
	v_cmp_eq_u64_e64 s[28:29], v[28:29], v[30:31]
	v_mov_b32_e32 v2, v1
	v_mov_b32_e32 v1, v0
	s_and_saveexec_b64 s[48:49], s[28:29]
; %bb.5127:                             ;   in Loop: Header=BB4_4667 Depth=3
	v_bfe_u32 v1, v0, 21, 1
	v_add_co_u32_e64 v1, s[28:29], v0, v1
	v_add_co_u32_e64 v1, s[28:29], -1, v1
; %bb.5128:                             ;   in Loop: Header=BB4_4667 Depth=3
	s_or_b64 exec, exec, s[48:49]
	v_add_u32_e32 v2, 0xffffff81, v25
	v_mov_b32_e32 v25, 0xffffff82
	v_cndmask_b32_e32 v2, v2, v25, vcc
	v_lshrrev_b32_e32 v25, 23, v0
	v_add3_u32 v27, v27, v2, v25
	v_add_u32_e32 v25, 14, v27
	v_and_b32_e32 v1, 0x1fffff, v1
	v_add_u32_e32 v60, v1, v0
	v_cmp_ne_u32_e32 vcc, 0, v25
                                        ; implicit-def: $vgpr0_vgpr1
                                        ; implicit-def: $vgpr2
	s_and_saveexec_b64 s[28:29], vcc
	s_xor_b64 s[28:29], exec, s[28:29]
; %bb.5129:                             ;   in Loop: Header=BB4_4667 Depth=3
	v_cmp_lt_u64_e32 vcc, s[88:89], v[60:61]
	v_add_u32_e32 v0, 15, v27
	v_cndmask_b32_e32 v2, v25, v0, vcc
	v_cndmask_b32_e64 v0, 0, 1, vcc
	v_lshrrev_b64 v[0:1], v0, v[60:61]
; %bb.5130:                             ;   in Loop: Header=BB4_4667 Depth=3
	s_andn2_saveexec_b64 s[28:29], s[28:29]
; %bb.5131:                             ;   in Loop: Header=BB4_4667 Depth=3
	v_mov_b32_e32 v0, v60
	v_mov_b32_e32 v1, v61
	v_bfe_u32 v2, v60, 23, 1
; %bb.5132:                             ;   in Loop: Header=BB4_4667 Depth=3
	s_or_b64 exec, exec, s[28:29]
	v_lshrrev_b64 v[0:1], 21, v[0:1]
	v_cmp_gt_i32_e32 vcc, 32, v2
	v_cndmask_b32_e32 v1, 0, v1, vcc
	v_cndmask_b32_e32 v0, 3, v0, vcc
	v_cmp_ne_u64_e32 vcc, 0, v[0:1]
	v_cmp_ne_u32_e64 s[28:29], 0, v2
	s_or_b64 s[28:29], s[28:29], vcc
                                        ; implicit-def: $vgpr25
	s_and_saveexec_b64 vcc, s[28:29]
	s_xor_b64 s[28:29], exec, vcc
; %bb.5133:                             ;   in Loop: Header=BB4_4667 Depth=3
	v_min_i32_e32 v1, 31, v2
	v_lshl_or_b32 v1, v1, 2, v23
	v_and_or_b32 v25, v0, 3, v1
                                        ; implicit-def: $vgpr23
; %bb.5134:                             ;   in Loop: Header=BB4_4667 Depth=3
	s_andn2_saveexec_b64 s[28:29], s[28:29]
; %bb.5135:                             ;   in Loop: Header=BB4_4667 Depth=3
	v_mov_b32_e32 v25, v23
; %bb.5136:                             ;   in Loop: Header=BB4_4667 Depth=3
	s_or_b64 exec, exec, s[28:29]
.LBB4_5137:                             ;   in Loop: Header=BB4_4667 Depth=3
	s_or_b64 exec, exec, s[38:39]
                                        ; implicit-def: $vgpr23
.LBB4_5138:                             ;   in Loop: Header=BB4_4667 Depth=3
	s_andn2_saveexec_b64 s[28:29], s[36:37]
; %bb.5139:                             ;   in Loop: Header=BB4_4667 Depth=3
	v_or_b32_e32 v25, 0x7b, v23
; %bb.5140:                             ;   in Loop: Header=BB4_4667 Depth=3
	s_or_b64 exec, exec, s[28:29]
                                        ; implicit-def: $vgpr0
.LBB4_5141:                             ;   in Loop: Header=BB4_4667 Depth=3
	s_andn2_saveexec_b64 s[28:29], s[34:35]
	s_cbranch_execz .LBB4_5147
; %bb.5142:                             ;   in Loop: Header=BB4_4667 Depth=3
	v_cmp_ne_u64_e32 vcc, 0, v[60:61]
                                        ; implicit-def: $vgpr25
	s_and_saveexec_b64 s[34:35], vcc
	s_xor_b64 vcc, exec, s[34:35]
; %bb.5143:                             ;   in Loop: Header=BB4_4667 Depth=3
	v_or_b32_sdwa v25, v0, s44 dst_sel:DWORD dst_unused:UNUSED_PAD src0_sel:BYTE_3 src1_sel:DWORD
                                        ; implicit-def: $vgpr0
; %bb.5144:                             ;   in Loop: Header=BB4_4667 Depth=3
	s_andn2_saveexec_b64 s[34:35], vcc
; %bb.5145:                             ;   in Loop: Header=BB4_4667 Depth=3
	v_cmp_lt_i32_e32 vcc, -1, v0
	v_mov_b32_e32 v0, 0x7c
	v_cndmask_b32_e32 v25, -4, v0, vcc
; %bb.5146:                             ;   in Loop: Header=BB4_4667 Depth=3
	s_or_b64 exec, exec, s[34:35]
.LBB4_5147:                             ;   in Loop: Header=BB4_4667 Depth=3
	s_or_b64 exec, exec, s[28:29]
	v_cmp_ne_u16_e32 vcc, 0, v26
	v_mov_b32_e32 v0, 0
	v_mov_b32_e32 v1, 0
	s_and_saveexec_b64 s[28:29], vcc
	s_cbranch_execz .LBB4_5155
; %bb.5148:                             ;   in Loop: Header=BB4_4667 Depth=3
	v_cmp_ne_u16_e32 vcc, s70, v26
	v_bfrev_b32_e32 v1, 1
	s_and_saveexec_b64 s[34:35], vcc
	s_cbranch_execz .LBB4_5154
; %bb.5149:                             ;   in Loop: Header=BB4_4667 Depth=3
	v_and_b32_e32 v1, 0x7c, v26
	v_and_b32_e32 v2, 3, v26
	v_cmp_ne_u32_e32 vcc, s71, v1
                                        ; implicit-def: $vgpr1
	s_and_saveexec_b64 s[36:37], vcc
	s_xor_b64 s[36:37], exec, s[36:37]
	s_cbranch_execz .LBB4_5151
; %bb.5150:                             ;   in Loop: Header=BB4_4667 Depth=3
	v_ffbh_u32_e32 v23, v2
	v_min_u32_e32 v23, 32, v23
	v_and_b32_e32 v1, 0xff, v26
	v_mov_b32_e32 v27, v61
	v_subrev_u32_e32 v28, 29, v23
	v_bfe_u32 v1, v1, 2, 5
	v_lshlrev_b64 v[27:28], v28, v[26:27]
	v_sub_u32_e32 v23, 30, v23
	v_cmp_eq_u32_e32 vcc, 0, v1
	v_and_b32_e32 v27, 3, v27
	v_cndmask_b32_e32 v1, v1, v23, vcc
	v_and_b32_sdwa v23, sext(v26), s80 dst_sel:DWORD dst_unused:UNUSED_PAD src0_sel:WORD_0 src1_sel:DWORD
	v_cndmask_b32_e32 v2, v2, v27, vcc
	v_lshl_add_u32 v1, v1, 23, v23
	v_lshl_or_b32 v1, v2, 21, v1
	v_add_u32_e32 v1, 0x38000000, v1
                                        ; implicit-def: $vgpr2
                                        ; implicit-def: $vgpr26
.LBB4_5151:                             ;   in Loop: Header=BB4_4667 Depth=3
	s_andn2_saveexec_b64 s[36:37], s[36:37]
; %bb.5152:                             ;   in Loop: Header=BB4_4667 Depth=3
	v_cmp_lt_i16_e32 vcc, -1, v26
	v_mov_b32_e32 v1, 0xff800000
	v_cndmask_b32_e32 v1, v1, v47, vcc
	v_cmp_eq_u32_e32 vcc, 0, v2
	v_mov_b32_e32 v2, 0x7f800001
	v_cndmask_b32_e32 v1, v2, v1, vcc
; %bb.5153:                             ;   in Loop: Header=BB4_4667 Depth=3
	s_or_b64 exec, exec, s[36:37]
.LBB4_5154:                             ;   in Loop: Header=BB4_4667 Depth=3
	s_or_b64 exec, exec, s[34:35]
.LBB4_5155:                             ;   in Loop: Header=BB4_4667 Depth=3
	s_or_b64 exec, exec, s[28:29]
	v_cmp_ne_u16_e32 vcc, 0, v22
	s_and_saveexec_b64 s[28:29], vcc
	s_cbranch_execz .LBB4_5163
; %bb.5156:                             ;   in Loop: Header=BB4_4667 Depth=3
	v_cmp_ne_u16_e32 vcc, s70, v22
	v_bfrev_b32_e32 v0, 1
	s_and_saveexec_b64 s[34:35], vcc
	s_cbranch_execz .LBB4_5162
; %bb.5157:                             ;   in Loop: Header=BB4_4667 Depth=3
	v_and_b32_e32 v0, 0x7c, v22
	v_and_b32_e32 v2, 3, v22
	v_cmp_ne_u32_e32 vcc, s71, v0
                                        ; implicit-def: $vgpr0
	s_and_saveexec_b64 s[36:37], vcc
	s_xor_b64 s[36:37], exec, s[36:37]
	s_cbranch_execz .LBB4_5159
; %bb.5158:                             ;   in Loop: Header=BB4_4667 Depth=3
	v_ffbh_u32_e32 v26, v2
	v_min_u32_e32 v28, 32, v26
	v_and_b32_e32 v0, 0xff, v22
	v_mov_b32_e32 v23, v61
	v_subrev_u32_e32 v26, 29, v28
	v_bfe_u32 v0, v0, 2, 5
	v_lshlrev_b64 v[26:27], v26, v[22:23]
	v_sub_u32_e32 v23, 30, v28
	v_cmp_eq_u32_e32 vcc, 0, v0
	v_and_b32_e32 v26, 3, v26
	v_cndmask_b32_e32 v0, v0, v23, vcc
	v_and_b32_sdwa v22, sext(v22), s80 dst_sel:DWORD dst_unused:UNUSED_PAD src0_sel:WORD_0 src1_sel:DWORD
	v_cndmask_b32_e32 v2, v2, v26, vcc
	v_lshl_add_u32 v0, v0, 23, v22
	v_lshl_or_b32 v0, v2, 21, v0
	v_add_u32_e32 v0, 0x38000000, v0
                                        ; implicit-def: $vgpr2
                                        ; implicit-def: $vgpr22
.LBB4_5159:                             ;   in Loop: Header=BB4_4667 Depth=3
	s_andn2_saveexec_b64 s[36:37], s[36:37]
; %bb.5160:                             ;   in Loop: Header=BB4_4667 Depth=3
	v_cmp_lt_i16_e32 vcc, -1, v22
	v_mov_b32_e32 v0, 0xff800000
	v_cndmask_b32_e32 v0, v0, v47, vcc
	v_cmp_eq_u32_e32 vcc, 0, v2
	v_mov_b32_e32 v2, 0x7f800001
	v_cndmask_b32_e32 v0, v2, v0, vcc
; %bb.5161:                             ;   in Loop: Header=BB4_4667 Depth=3
	s_or_b64 exec, exec, s[36:37]
.LBB4_5162:                             ;   in Loop: Header=BB4_4667 Depth=3
	s_or_b64 exec, exec, s[34:35]
.LBB4_5163:                             ;   in Loop: Header=BB4_4667 Depth=3
	s_or_b64 exec, exec, s[28:29]
	v_mul_f32_e32 v0, v1, v0
	v_and_b32_e32 v1, 0x7f800000, v0
	v_mov_b32_e32 v2, v61
	v_cmp_ne_u64_e32 vcc, s[62:63], v[1:2]
	v_and_b32_e32 v60, 0x7fffff, v0
                                        ; implicit-def: $vgpr23
	s_and_saveexec_b64 s[28:29], vcc
	s_xor_b64 s[34:35], exec, s[28:29]
	s_cbranch_execz .LBB4_5181
; %bb.5164:                             ;   in Loop: Header=BB4_4667 Depth=3
	v_and_b32_e32 v1, 0x7fffffff, v0
	v_mov_b32_e32 v2, v61
	v_cmp_gt_u64_e32 vcc, s[78:79], v[1:2]
	v_and_b32_sdwa v22, v0, s81 dst_sel:DWORD dst_unused:UNUSED_PAD src0_sel:BYTE_3 src1_sel:DWORD
                                        ; implicit-def: $vgpr23
	s_and_saveexec_b64 s[28:29], vcc
	s_xor_b64 s[36:37], exec, s[28:29]
	s_cbranch_execz .LBB4_5178
; %bb.5165:                             ;   in Loop: Header=BB4_4667 Depth=3
	v_cmp_ne_u32_e32 vcc, 0, v0
	v_mov_b32_e32 v23, 0
	s_and_saveexec_b64 s[38:39], vcc
	s_cbranch_execz .LBB4_5177
; %bb.5166:                             ;   in Loop: Header=BB4_4667 Depth=3
	v_bfe_u32 v23, v0, 23, 8
	v_cmp_gt_u32_e64 s[28:29], s47, v23
	v_sub_u32_e32 v0, 0x71, v23
	v_cmp_eq_u32_e32 vcc, 0, v23
	v_cndmask_b32_e64 v0, 0, v0, s[28:29]
	v_mov_b32_e32 v2, 0x70
	v_cndmask_b32_e32 v26, v0, v2, vcc
	v_add_u32_e32 v2, 21, v26
	v_or_b32_e32 v1, 0x800000, v60
	v_lshlrev_b64 v[27:28], v2, -1
	v_cndmask_b32_e32 v0, v1, v60, vcc
	v_mov_b32_e32 v1, v61
	v_add_u32_e32 v2, 20, v26
	v_bfi_b32 v27, v27, 0, v0
	v_lshlrev_b64 v[29:30], v2, 1
	v_lshrrev_b64 v[0:1], v26, v[0:1]
	v_bfi_b32 v28, v28, 0, 0
	v_cmp_eq_u64_e64 s[28:29], v[27:28], v[29:30]
	v_mov_b32_e32 v2, v1
	v_mov_b32_e32 v1, v0
	s_and_saveexec_b64 s[48:49], s[28:29]
; %bb.5167:                             ;   in Loop: Header=BB4_4667 Depth=3
	v_bfe_u32 v1, v0, 21, 1
	v_add_co_u32_e64 v1, s[28:29], v0, v1
	v_add_co_u32_e64 v1, s[28:29], -1, v1
; %bb.5168:                             ;   in Loop: Header=BB4_4667 Depth=3
	s_or_b64 exec, exec, s[48:49]
	v_add_u32_e32 v2, 0xffffff81, v23
	v_mov_b32_e32 v23, 0xffffff82
	v_cndmask_b32_e32 v2, v2, v23, vcc
	v_lshrrev_b32_e32 v23, 23, v0
	v_add3_u32 v26, v26, v2, v23
	v_add_u32_e32 v23, 14, v26
	v_and_b32_e32 v1, 0x1fffff, v1
	v_add_u32_e32 v60, v1, v0
	v_cmp_ne_u32_e32 vcc, 0, v23
                                        ; implicit-def: $vgpr0_vgpr1
                                        ; implicit-def: $vgpr2
	s_and_saveexec_b64 s[28:29], vcc
	s_xor_b64 s[28:29], exec, s[28:29]
; %bb.5169:                             ;   in Loop: Header=BB4_4667 Depth=3
	v_cmp_lt_u64_e32 vcc, s[88:89], v[60:61]
	v_add_u32_e32 v0, 15, v26
	v_cndmask_b32_e32 v2, v23, v0, vcc
	v_cndmask_b32_e64 v0, 0, 1, vcc
	v_lshrrev_b64 v[0:1], v0, v[60:61]
; %bb.5170:                             ;   in Loop: Header=BB4_4667 Depth=3
	s_andn2_saveexec_b64 s[28:29], s[28:29]
; %bb.5171:                             ;   in Loop: Header=BB4_4667 Depth=3
	v_mov_b32_e32 v0, v60
	v_mov_b32_e32 v1, v61
	v_bfe_u32 v2, v60, 23, 1
; %bb.5172:                             ;   in Loop: Header=BB4_4667 Depth=3
	s_or_b64 exec, exec, s[28:29]
	v_lshrrev_b64 v[0:1], 21, v[0:1]
	v_cmp_gt_i32_e32 vcc, 32, v2
	v_cndmask_b32_e32 v1, 0, v1, vcc
	v_cndmask_b32_e32 v0, 3, v0, vcc
	v_cmp_ne_u64_e32 vcc, 0, v[0:1]
	v_cmp_ne_u32_e64 s[28:29], 0, v2
	s_or_b64 s[28:29], s[28:29], vcc
                                        ; implicit-def: $vgpr23
	s_and_saveexec_b64 vcc, s[28:29]
	s_xor_b64 s[28:29], exec, vcc
; %bb.5173:                             ;   in Loop: Header=BB4_4667 Depth=3
	v_min_i32_e32 v1, 31, v2
	v_lshl_or_b32 v1, v1, 2, v22
	v_and_or_b32 v23, v0, 3, v1
                                        ; implicit-def: $vgpr22
; %bb.5174:                             ;   in Loop: Header=BB4_4667 Depth=3
	s_andn2_saveexec_b64 s[28:29], s[28:29]
; %bb.5175:                             ;   in Loop: Header=BB4_4667 Depth=3
	v_mov_b32_e32 v23, v22
; %bb.5176:                             ;   in Loop: Header=BB4_4667 Depth=3
	s_or_b64 exec, exec, s[28:29]
.LBB4_5177:                             ;   in Loop: Header=BB4_4667 Depth=3
	s_or_b64 exec, exec, s[38:39]
                                        ; implicit-def: $vgpr22
.LBB4_5178:                             ;   in Loop: Header=BB4_4667 Depth=3
	s_andn2_saveexec_b64 s[28:29], s[36:37]
; %bb.5179:                             ;   in Loop: Header=BB4_4667 Depth=3
	v_or_b32_e32 v23, 0x7b, v22
; %bb.5180:                             ;   in Loop: Header=BB4_4667 Depth=3
	s_or_b64 exec, exec, s[28:29]
                                        ; implicit-def: $vgpr0
.LBB4_5181:                             ;   in Loop: Header=BB4_4667 Depth=3
	s_andn2_saveexec_b64 s[28:29], s[34:35]
	s_cbranch_execz .LBB4_5187
; %bb.5182:                             ;   in Loop: Header=BB4_4667 Depth=3
	v_cmp_ne_u64_e32 vcc, 0, v[60:61]
                                        ; implicit-def: $vgpr23
	s_and_saveexec_b64 s[34:35], vcc
	s_xor_b64 vcc, exec, s[34:35]
; %bb.5183:                             ;   in Loop: Header=BB4_4667 Depth=3
	v_or_b32_sdwa v23, v0, s44 dst_sel:DWORD dst_unused:UNUSED_PAD src0_sel:BYTE_3 src1_sel:DWORD
                                        ; implicit-def: $vgpr0
; %bb.5184:                             ;   in Loop: Header=BB4_4667 Depth=3
	s_andn2_saveexec_b64 s[34:35], vcc
; %bb.5185:                             ;   in Loop: Header=BB4_4667 Depth=3
	v_cmp_lt_i32_e32 vcc, -1, v0
	v_mov_b32_e32 v0, 0x7c
	v_cndmask_b32_e32 v23, -4, v0, vcc
; %bb.5186:                             ;   in Loop: Header=BB4_4667 Depth=3
	s_or_b64 exec, exec, s[34:35]
.LBB4_5187:                             ;   in Loop: Header=BB4_4667 Depth=3
	s_or_b64 exec, exec, s[28:29]
	v_cmp_ne_u16_e32 vcc, 0, v21
	v_mov_b32_e32 v0, 0
	v_mov_b32_e32 v1, 0
	s_and_saveexec_b64 s[28:29], vcc
	s_cbranch_execz .LBB4_5195
; %bb.5188:                             ;   in Loop: Header=BB4_4667 Depth=3
	v_cmp_ne_u16_e32 vcc, s70, v21
	v_bfrev_b32_e32 v1, 1
	s_and_saveexec_b64 s[34:35], vcc
	s_cbranch_execz .LBB4_5194
; %bb.5189:                             ;   in Loop: Header=BB4_4667 Depth=3
	v_and_b32_e32 v1, 0x7c, v21
	v_and_b32_e32 v2, 3, v21
	v_cmp_ne_u32_e32 vcc, s71, v1
                                        ; implicit-def: $vgpr1
	s_and_saveexec_b64 s[36:37], vcc
	s_xor_b64 s[36:37], exec, s[36:37]
	s_cbranch_execz .LBB4_5191
; %bb.5190:                             ;   in Loop: Header=BB4_4667 Depth=3
	v_ffbh_u32_e32 v26, v2
	v_min_u32_e32 v28, 32, v26
	v_and_b32_e32 v1, 0xff, v21
	v_mov_b32_e32 v22, v61
	v_subrev_u32_e32 v26, 29, v28
	v_bfe_u32 v1, v1, 2, 5
	v_lshlrev_b64 v[26:27], v26, v[21:22]
	v_sub_u32_e32 v22, 30, v28
	v_cmp_eq_u32_e32 vcc, 0, v1
	v_and_b32_e32 v26, 3, v26
	v_cndmask_b32_e32 v1, v1, v22, vcc
	v_and_b32_sdwa v21, sext(v21), s80 dst_sel:DWORD dst_unused:UNUSED_PAD src0_sel:WORD_0 src1_sel:DWORD
	v_cndmask_b32_e32 v2, v2, v26, vcc
	v_lshl_add_u32 v1, v1, 23, v21
	v_lshl_or_b32 v1, v2, 21, v1
	v_add_u32_e32 v1, 0x38000000, v1
                                        ; implicit-def: $vgpr2
                                        ; implicit-def: $vgpr21
.LBB4_5191:                             ;   in Loop: Header=BB4_4667 Depth=3
	s_andn2_saveexec_b64 s[36:37], s[36:37]
; %bb.5192:                             ;   in Loop: Header=BB4_4667 Depth=3
	v_cmp_lt_i16_e32 vcc, -1, v21
	v_mov_b32_e32 v1, 0xff800000
	v_cndmask_b32_e32 v1, v1, v47, vcc
	v_cmp_eq_u32_e32 vcc, 0, v2
	v_mov_b32_e32 v2, 0x7f800001
	v_cndmask_b32_e32 v1, v2, v1, vcc
; %bb.5193:                             ;   in Loop: Header=BB4_4667 Depth=3
	s_or_b64 exec, exec, s[36:37]
.LBB4_5194:                             ;   in Loop: Header=BB4_4667 Depth=3
	s_or_b64 exec, exec, s[34:35]
.LBB4_5195:                             ;   in Loop: Header=BB4_4667 Depth=3
	s_or_b64 exec, exec, s[28:29]
	v_cmp_ne_u16_e32 vcc, 0, v20
	s_and_saveexec_b64 s[28:29], vcc
	s_cbranch_execz .LBB4_5203
; %bb.5196:                             ;   in Loop: Header=BB4_4667 Depth=3
	v_cmp_ne_u16_e32 vcc, s70, v20
	v_bfrev_b32_e32 v0, 1
	s_and_saveexec_b64 s[34:35], vcc
	s_cbranch_execz .LBB4_5202
; %bb.5197:                             ;   in Loop: Header=BB4_4667 Depth=3
	v_and_b32_e32 v0, 0x7c, v20
	v_and_b32_e32 v2, 3, v20
	v_cmp_ne_u32_e32 vcc, s71, v0
                                        ; implicit-def: $vgpr0
	s_and_saveexec_b64 s[36:37], vcc
	s_xor_b64 s[36:37], exec, s[36:37]
	s_cbranch_execz .LBB4_5199
; %bb.5198:                             ;   in Loop: Header=BB4_4667 Depth=3
	v_ffbh_u32_e32 v22, v2
	v_min_u32_e32 v26, 32, v22
	v_and_b32_e32 v0, 0xff, v20
	v_mov_b32_e32 v21, v61
	v_subrev_u32_e32 v22, 29, v26
	v_bfe_u32 v0, v0, 2, 5
	v_lshlrev_b64 v[21:22], v22, v[20:21]
	v_sub_u32_e32 v22, 30, v26
	v_cmp_eq_u32_e32 vcc, 0, v0
	v_and_b32_e32 v21, 3, v21
	v_cndmask_b32_e32 v0, v0, v22, vcc
	v_and_b32_sdwa v20, sext(v20), s80 dst_sel:DWORD dst_unused:UNUSED_PAD src0_sel:WORD_0 src1_sel:DWORD
	v_cndmask_b32_e32 v2, v2, v21, vcc
	v_lshl_add_u32 v0, v0, 23, v20
	v_lshl_or_b32 v0, v2, 21, v0
	v_add_u32_e32 v0, 0x38000000, v0
                                        ; implicit-def: $vgpr2
                                        ; implicit-def: $vgpr20
.LBB4_5199:                             ;   in Loop: Header=BB4_4667 Depth=3
	s_andn2_saveexec_b64 s[36:37], s[36:37]
; %bb.5200:                             ;   in Loop: Header=BB4_4667 Depth=3
	v_cmp_lt_i16_e32 vcc, -1, v20
	v_mov_b32_e32 v0, 0xff800000
	v_cndmask_b32_e32 v0, v0, v47, vcc
	v_cmp_eq_u32_e32 vcc, 0, v2
	v_mov_b32_e32 v2, 0x7f800001
	v_cndmask_b32_e32 v0, v2, v0, vcc
; %bb.5201:                             ;   in Loop: Header=BB4_4667 Depth=3
	s_or_b64 exec, exec, s[36:37]
.LBB4_5202:                             ;   in Loop: Header=BB4_4667 Depth=3
	s_or_b64 exec, exec, s[34:35]
.LBB4_5203:                             ;   in Loop: Header=BB4_4667 Depth=3
	s_or_b64 exec, exec, s[28:29]
	v_mul_f32_e32 v0, v1, v0
	v_and_b32_e32 v1, 0x7f800000, v0
	v_mov_b32_e32 v2, v61
	v_cmp_ne_u64_e32 vcc, s[62:63], v[1:2]
	v_and_b32_e32 v60, 0x7fffff, v0
                                        ; implicit-def: $vgpr21
	s_and_saveexec_b64 s[28:29], vcc
	s_xor_b64 s[34:35], exec, s[28:29]
	s_cbranch_execz .LBB4_5221
; %bb.5204:                             ;   in Loop: Header=BB4_4667 Depth=3
	v_and_b32_e32 v1, 0x7fffffff, v0
	v_mov_b32_e32 v2, v61
	v_cmp_gt_u64_e32 vcc, s[78:79], v[1:2]
	v_and_b32_sdwa v20, v0, s81 dst_sel:DWORD dst_unused:UNUSED_PAD src0_sel:BYTE_3 src1_sel:DWORD
                                        ; implicit-def: $vgpr21
	s_and_saveexec_b64 s[28:29], vcc
	s_xor_b64 s[36:37], exec, s[28:29]
	s_cbranch_execz .LBB4_5218
; %bb.5205:                             ;   in Loop: Header=BB4_4667 Depth=3
	v_cmp_ne_u32_e32 vcc, 0, v0
	v_mov_b32_e32 v21, 0
	s_and_saveexec_b64 s[38:39], vcc
	s_cbranch_execz .LBB4_5217
; %bb.5206:                             ;   in Loop: Header=BB4_4667 Depth=3
	v_bfe_u32 v21, v0, 23, 8
	v_cmp_gt_u32_e64 s[28:29], s47, v21
	v_sub_u32_e32 v0, 0x71, v21
	v_cmp_eq_u32_e32 vcc, 0, v21
	v_cndmask_b32_e64 v0, 0, v0, s[28:29]
	v_mov_b32_e32 v2, 0x70
	v_cndmask_b32_e32 v22, v0, v2, vcc
	v_add_u32_e32 v2, 21, v22
	v_or_b32_e32 v1, 0x800000, v60
	v_lshlrev_b64 v[26:27], v2, -1
	v_cndmask_b32_e32 v0, v1, v60, vcc
	v_mov_b32_e32 v1, v61
	v_add_u32_e32 v2, 20, v22
	v_bfi_b32 v26, v26, 0, v0
	v_lshlrev_b64 v[28:29], v2, 1
	v_lshrrev_b64 v[0:1], v22, v[0:1]
	v_bfi_b32 v27, v27, 0, 0
	v_cmp_eq_u64_e64 s[28:29], v[26:27], v[28:29]
	v_mov_b32_e32 v2, v1
	v_mov_b32_e32 v1, v0
	s_and_saveexec_b64 s[48:49], s[28:29]
; %bb.5207:                             ;   in Loop: Header=BB4_4667 Depth=3
	v_bfe_u32 v1, v0, 21, 1
	v_add_co_u32_e64 v1, s[28:29], v0, v1
	v_add_co_u32_e64 v1, s[28:29], -1, v1
; %bb.5208:                             ;   in Loop: Header=BB4_4667 Depth=3
	s_or_b64 exec, exec, s[48:49]
	v_add_u32_e32 v2, 0xffffff81, v21
	v_mov_b32_e32 v21, 0xffffff82
	v_cndmask_b32_e32 v2, v2, v21, vcc
	v_lshrrev_b32_e32 v21, 23, v0
	v_add3_u32 v22, v22, v2, v21
	v_add_u32_e32 v21, 14, v22
	v_and_b32_e32 v1, 0x1fffff, v1
	v_add_u32_e32 v60, v1, v0
	v_cmp_ne_u32_e32 vcc, 0, v21
                                        ; implicit-def: $vgpr0_vgpr1
                                        ; implicit-def: $vgpr2
	s_and_saveexec_b64 s[28:29], vcc
	s_xor_b64 s[28:29], exec, s[28:29]
; %bb.5209:                             ;   in Loop: Header=BB4_4667 Depth=3
	v_cmp_lt_u64_e32 vcc, s[88:89], v[60:61]
	v_add_u32_e32 v0, 15, v22
	v_cndmask_b32_e32 v2, v21, v0, vcc
	v_cndmask_b32_e64 v0, 0, 1, vcc
	v_lshrrev_b64 v[0:1], v0, v[60:61]
; %bb.5210:                             ;   in Loop: Header=BB4_4667 Depth=3
	s_andn2_saveexec_b64 s[28:29], s[28:29]
; %bb.5211:                             ;   in Loop: Header=BB4_4667 Depth=3
	v_mov_b32_e32 v0, v60
	v_mov_b32_e32 v1, v61
	v_bfe_u32 v2, v60, 23, 1
; %bb.5212:                             ;   in Loop: Header=BB4_4667 Depth=3
	s_or_b64 exec, exec, s[28:29]
	v_lshrrev_b64 v[0:1], 21, v[0:1]
	v_cmp_gt_i32_e32 vcc, 32, v2
	v_cndmask_b32_e32 v1, 0, v1, vcc
	v_cndmask_b32_e32 v0, 3, v0, vcc
	v_cmp_ne_u64_e32 vcc, 0, v[0:1]
	v_cmp_ne_u32_e64 s[28:29], 0, v2
	s_or_b64 s[28:29], s[28:29], vcc
                                        ; implicit-def: $vgpr21
	s_and_saveexec_b64 vcc, s[28:29]
	s_xor_b64 s[28:29], exec, vcc
; %bb.5213:                             ;   in Loop: Header=BB4_4667 Depth=3
	v_min_i32_e32 v1, 31, v2
	v_lshl_or_b32 v1, v1, 2, v20
	v_and_or_b32 v21, v0, 3, v1
                                        ; implicit-def: $vgpr20
; %bb.5214:                             ;   in Loop: Header=BB4_4667 Depth=3
	s_andn2_saveexec_b64 s[28:29], s[28:29]
; %bb.5215:                             ;   in Loop: Header=BB4_4667 Depth=3
	v_mov_b32_e32 v21, v20
; %bb.5216:                             ;   in Loop: Header=BB4_4667 Depth=3
	s_or_b64 exec, exec, s[28:29]
.LBB4_5217:                             ;   in Loop: Header=BB4_4667 Depth=3
	s_or_b64 exec, exec, s[38:39]
                                        ; implicit-def: $vgpr20
.LBB4_5218:                             ;   in Loop: Header=BB4_4667 Depth=3
	s_andn2_saveexec_b64 s[28:29], s[36:37]
; %bb.5219:                             ;   in Loop: Header=BB4_4667 Depth=3
	v_or_b32_e32 v21, 0x7b, v20
; %bb.5220:                             ;   in Loop: Header=BB4_4667 Depth=3
	s_or_b64 exec, exec, s[28:29]
                                        ; implicit-def: $vgpr0
.LBB4_5221:                             ;   in Loop: Header=BB4_4667 Depth=3
	s_andn2_saveexec_b64 s[28:29], s[34:35]
	s_cbranch_execz .LBB4_5227
; %bb.5222:                             ;   in Loop: Header=BB4_4667 Depth=3
	v_cmp_ne_u64_e32 vcc, 0, v[60:61]
                                        ; implicit-def: $vgpr21
	s_and_saveexec_b64 s[34:35], vcc
	s_xor_b64 vcc, exec, s[34:35]
; %bb.5223:                             ;   in Loop: Header=BB4_4667 Depth=3
	v_or_b32_sdwa v21, v0, s44 dst_sel:DWORD dst_unused:UNUSED_PAD src0_sel:BYTE_3 src1_sel:DWORD
                                        ; implicit-def: $vgpr0
; %bb.5224:                             ;   in Loop: Header=BB4_4667 Depth=3
	s_andn2_saveexec_b64 s[34:35], vcc
; %bb.5225:                             ;   in Loop: Header=BB4_4667 Depth=3
	v_cmp_lt_i32_e32 vcc, -1, v0
	v_mov_b32_e32 v0, 0x7c
	v_cndmask_b32_e32 v21, -4, v0, vcc
; %bb.5226:                             ;   in Loop: Header=BB4_4667 Depth=3
	s_or_b64 exec, exec, s[34:35]
.LBB4_5227:                             ;   in Loop: Header=BB4_4667 Depth=3
	s_or_b64 exec, exec, s[28:29]
	v_cmp_ne_u16_e32 vcc, 0, v19
	v_mov_b32_e32 v0, 0
	v_mov_b32_e32 v1, 0
	s_and_saveexec_b64 s[28:29], vcc
	s_cbranch_execz .LBB4_5235
; %bb.5228:                             ;   in Loop: Header=BB4_4667 Depth=3
	v_cmp_ne_u16_e32 vcc, s70, v19
	v_bfrev_b32_e32 v1, 1
	s_and_saveexec_b64 s[34:35], vcc
	s_cbranch_execz .LBB4_5234
; %bb.5229:                             ;   in Loop: Header=BB4_4667 Depth=3
	v_and_b32_e32 v1, 0x7c, v19
	v_and_b32_e32 v2, 3, v19
	v_cmp_ne_u32_e32 vcc, s71, v1
                                        ; implicit-def: $vgpr1
	s_and_saveexec_b64 s[36:37], vcc
	s_xor_b64 s[36:37], exec, s[36:37]
	s_cbranch_execz .LBB4_5231
; %bb.5230:                             ;   in Loop: Header=BB4_4667 Depth=3
	v_ffbh_u32_e32 v22, v2
	v_min_u32_e32 v22, 32, v22
	v_and_b32_e32 v1, 0xff, v19
	v_mov_b32_e32 v20, v61
	v_subrev_u32_e32 v26, 29, v22
	v_bfe_u32 v1, v1, 2, 5
	v_lshlrev_b64 v[26:27], v26, v[19:20]
	v_sub_u32_e32 v20, 30, v22
	v_cmp_eq_u32_e32 vcc, 0, v1
	v_and_b32_e32 v22, 3, v26
	v_cndmask_b32_e32 v1, v1, v20, vcc
	v_and_b32_sdwa v19, sext(v19), s80 dst_sel:DWORD dst_unused:UNUSED_PAD src0_sel:WORD_0 src1_sel:DWORD
	v_cndmask_b32_e32 v2, v2, v22, vcc
	v_lshl_add_u32 v1, v1, 23, v19
	v_lshl_or_b32 v1, v2, 21, v1
	v_add_u32_e32 v1, 0x38000000, v1
                                        ; implicit-def: $vgpr2
                                        ; implicit-def: $vgpr19
.LBB4_5231:                             ;   in Loop: Header=BB4_4667 Depth=3
	s_andn2_saveexec_b64 s[36:37], s[36:37]
; %bb.5232:                             ;   in Loop: Header=BB4_4667 Depth=3
	v_cmp_lt_i16_e32 vcc, -1, v19
	v_mov_b32_e32 v1, 0xff800000
	v_cndmask_b32_e32 v1, v1, v47, vcc
	v_cmp_eq_u32_e32 vcc, 0, v2
	v_mov_b32_e32 v2, 0x7f800001
	v_cndmask_b32_e32 v1, v2, v1, vcc
; %bb.5233:                             ;   in Loop: Header=BB4_4667 Depth=3
	s_or_b64 exec, exec, s[36:37]
.LBB4_5234:                             ;   in Loop: Header=BB4_4667 Depth=3
	s_or_b64 exec, exec, s[34:35]
.LBB4_5235:                             ;   in Loop: Header=BB4_4667 Depth=3
	s_or_b64 exec, exec, s[28:29]
	v_mov_b32_e32 v19, v39
	v_cmp_ne_u16_e32 vcc, 0, v19
	s_and_saveexec_b64 s[28:29], vcc
	s_cbranch_execz .LBB4_5243
; %bb.5236:                             ;   in Loop: Header=BB4_4667 Depth=3
	v_cmp_ne_u16_e32 vcc, s70, v19
	v_bfrev_b32_e32 v0, 1
	s_and_saveexec_b64 s[34:35], vcc
	s_cbranch_execz .LBB4_5242
; %bb.5237:                             ;   in Loop: Header=BB4_4667 Depth=3
	v_and_b32_e32 v0, 0x7c, v19
	v_and_b32_e32 v2, 3, v19
	v_cmp_ne_u32_e32 vcc, s71, v0
                                        ; implicit-def: $vgpr0
	s_and_saveexec_b64 s[36:37], vcc
	s_xor_b64 s[36:37], exec, s[36:37]
	s_cbranch_execz .LBB4_5239
; %bb.5238:                             ;   in Loop: Header=BB4_4667 Depth=3
	v_ffbh_u32_e32 v19, v2
	v_min_u32_e32 v22, 32, v19
	v_mov_b32_e32 v26, v39
	v_mov_b32_e32 v27, v61
	v_subrev_u32_e32 v19, 29, v22
	v_and_b32_e32 v0, 0xff, v26
	v_lshlrev_b64 v[19:20], v19, v[26:27]
	v_bfe_u32 v0, v0, 2, 5
	v_sub_u32_e32 v20, 30, v22
	v_and_b32_e32 v19, 3, v19
	v_cmp_eq_u32_e32 vcc, 0, v0
	v_cndmask_b32_e32 v0, v0, v20, vcc
	v_cndmask_b32_e32 v2, v2, v19, vcc
	v_and_b32_sdwa v19, sext(v26), s80 dst_sel:DWORD dst_unused:UNUSED_PAD src0_sel:WORD_0 src1_sel:DWORD
	v_lshl_add_u32 v0, v0, 23, v19
	v_lshl_or_b32 v0, v2, 21, v0
	v_add_u32_e32 v0, 0x38000000, v0
                                        ; implicit-def: $vgpr2
                                        ; implicit-def: $vgpr39
.LBB4_5239:                             ;   in Loop: Header=BB4_4667 Depth=3
	s_andn2_saveexec_b64 s[36:37], s[36:37]
; %bb.5240:                             ;   in Loop: Header=BB4_4667 Depth=3
	v_cmp_lt_i16_e32 vcc, -1, v39
	v_mov_b32_e32 v0, 0xff800000
	v_cndmask_b32_e32 v0, v0, v47, vcc
	v_cmp_eq_u32_e32 vcc, 0, v2
	v_mov_b32_e32 v2, 0x7f800001
	v_cndmask_b32_e32 v0, v2, v0, vcc
; %bb.5241:                             ;   in Loop: Header=BB4_4667 Depth=3
	s_or_b64 exec, exec, s[36:37]
.LBB4_5242:                             ;   in Loop: Header=BB4_4667 Depth=3
	s_or_b64 exec, exec, s[34:35]
.LBB4_5243:                             ;   in Loop: Header=BB4_4667 Depth=3
	s_or_b64 exec, exec, s[28:29]
	v_mul_f32_e32 v0, v1, v0
	v_and_b32_e32 v1, 0x7f800000, v0
	v_mov_b32_e32 v2, v61
	v_cmp_ne_u64_e32 vcc, s[62:63], v[1:2]
	v_and_b32_e32 v60, 0x7fffff, v0
                                        ; implicit-def: $vgpr19
	s_and_saveexec_b64 s[28:29], vcc
	s_xor_b64 s[34:35], exec, s[28:29]
	s_cbranch_execz .LBB4_5261
; %bb.5244:                             ;   in Loop: Header=BB4_4667 Depth=3
	v_and_b32_e32 v1, 0x7fffffff, v0
	v_mov_b32_e32 v2, v61
	v_cmp_gt_u64_e32 vcc, s[78:79], v[1:2]
	v_and_b32_sdwa v20, v0, s81 dst_sel:DWORD dst_unused:UNUSED_PAD src0_sel:BYTE_3 src1_sel:DWORD
                                        ; implicit-def: $vgpr19
	s_and_saveexec_b64 s[28:29], vcc
	s_xor_b64 s[36:37], exec, s[28:29]
	s_cbranch_execz .LBB4_5258
; %bb.5245:                             ;   in Loop: Header=BB4_4667 Depth=3
	v_cmp_ne_u32_e32 vcc, 0, v0
	v_mov_b32_e32 v19, 0
	s_and_saveexec_b64 s[38:39], vcc
	s_cbranch_execz .LBB4_5257
; %bb.5246:                             ;   in Loop: Header=BB4_4667 Depth=3
	v_bfe_u32 v19, v0, 23, 8
	v_cmp_gt_u32_e64 s[28:29], s47, v19
	v_sub_u32_e32 v0, 0x71, v19
	v_cmp_eq_u32_e32 vcc, 0, v19
	v_cndmask_b32_e64 v0, 0, v0, s[28:29]
	v_mov_b32_e32 v2, 0x70
	v_cndmask_b32_e32 v22, v0, v2, vcc
	v_add_u32_e32 v2, 21, v22
	v_or_b32_e32 v1, 0x800000, v60
	v_lshlrev_b64 v[26:27], v2, -1
	v_cndmask_b32_e32 v0, v1, v60, vcc
	v_mov_b32_e32 v1, v61
	v_add_u32_e32 v2, 20, v22
	v_bfi_b32 v26, v26, 0, v0
	v_lshlrev_b64 v[28:29], v2, 1
	v_lshrrev_b64 v[0:1], v22, v[0:1]
	v_bfi_b32 v27, v27, 0, 0
	v_cmp_eq_u64_e64 s[28:29], v[26:27], v[28:29]
	v_mov_b32_e32 v2, v1
	v_mov_b32_e32 v1, v0
	s_and_saveexec_b64 s[48:49], s[28:29]
; %bb.5247:                             ;   in Loop: Header=BB4_4667 Depth=3
	v_bfe_u32 v1, v0, 21, 1
	v_add_co_u32_e64 v1, s[28:29], v0, v1
	v_add_co_u32_e64 v1, s[28:29], -1, v1
; %bb.5248:                             ;   in Loop: Header=BB4_4667 Depth=3
	s_or_b64 exec, exec, s[48:49]
	v_add_u32_e32 v2, 0xffffff81, v19
	v_mov_b32_e32 v19, 0xffffff82
	v_cndmask_b32_e32 v2, v2, v19, vcc
	v_lshrrev_b32_e32 v19, 23, v0
	v_add3_u32 v22, v22, v2, v19
	v_add_u32_e32 v19, 14, v22
	v_and_b32_e32 v1, 0x1fffff, v1
	v_add_u32_e32 v60, v1, v0
	v_cmp_ne_u32_e32 vcc, 0, v19
                                        ; implicit-def: $vgpr0_vgpr1
                                        ; implicit-def: $vgpr2
	s_and_saveexec_b64 s[28:29], vcc
	s_xor_b64 s[28:29], exec, s[28:29]
; %bb.5249:                             ;   in Loop: Header=BB4_4667 Depth=3
	v_cmp_lt_u64_e32 vcc, s[88:89], v[60:61]
	v_add_u32_e32 v0, 15, v22
	v_cndmask_b32_e32 v2, v19, v0, vcc
	v_cndmask_b32_e64 v0, 0, 1, vcc
	v_lshrrev_b64 v[0:1], v0, v[60:61]
; %bb.5250:                             ;   in Loop: Header=BB4_4667 Depth=3
	s_andn2_saveexec_b64 s[28:29], s[28:29]
; %bb.5251:                             ;   in Loop: Header=BB4_4667 Depth=3
	v_mov_b32_e32 v0, v60
	v_mov_b32_e32 v1, v61
	v_bfe_u32 v2, v60, 23, 1
; %bb.5252:                             ;   in Loop: Header=BB4_4667 Depth=3
	s_or_b64 exec, exec, s[28:29]
	v_lshrrev_b64 v[0:1], 21, v[0:1]
	v_cmp_gt_i32_e32 vcc, 32, v2
	v_cndmask_b32_e32 v1, 0, v1, vcc
	v_cndmask_b32_e32 v0, 3, v0, vcc
	v_cmp_ne_u64_e32 vcc, 0, v[0:1]
	v_cmp_ne_u32_e64 s[28:29], 0, v2
	s_or_b64 s[28:29], s[28:29], vcc
                                        ; implicit-def: $vgpr19
	s_and_saveexec_b64 vcc, s[28:29]
	s_xor_b64 s[28:29], exec, vcc
; %bb.5253:                             ;   in Loop: Header=BB4_4667 Depth=3
	v_min_i32_e32 v1, 31, v2
	v_lshl_or_b32 v1, v1, 2, v20
	v_and_or_b32 v19, v0, 3, v1
                                        ; implicit-def: $vgpr20
; %bb.5254:                             ;   in Loop: Header=BB4_4667 Depth=3
	s_andn2_saveexec_b64 s[28:29], s[28:29]
; %bb.5255:                             ;   in Loop: Header=BB4_4667 Depth=3
	v_mov_b32_e32 v19, v20
; %bb.5256:                             ;   in Loop: Header=BB4_4667 Depth=3
	s_or_b64 exec, exec, s[28:29]
.LBB4_5257:                             ;   in Loop: Header=BB4_4667 Depth=3
	s_or_b64 exec, exec, s[38:39]
                                        ; implicit-def: $vgpr20
.LBB4_5258:                             ;   in Loop: Header=BB4_4667 Depth=3
	s_andn2_saveexec_b64 s[28:29], s[36:37]
; %bb.5259:                             ;   in Loop: Header=BB4_4667 Depth=3
	v_or_b32_e32 v19, 0x7b, v20
; %bb.5260:                             ;   in Loop: Header=BB4_4667 Depth=3
	s_or_b64 exec, exec, s[28:29]
                                        ; implicit-def: $vgpr0
.LBB4_5261:                             ;   in Loop: Header=BB4_4667 Depth=3
	s_andn2_saveexec_b64 s[28:29], s[34:35]
	s_cbranch_execz .LBB4_5267
; %bb.5262:                             ;   in Loop: Header=BB4_4667 Depth=3
	v_cmp_ne_u64_e32 vcc, 0, v[60:61]
                                        ; implicit-def: $vgpr19
	s_and_saveexec_b64 s[34:35], vcc
	s_xor_b64 vcc, exec, s[34:35]
; %bb.5263:                             ;   in Loop: Header=BB4_4667 Depth=3
	v_or_b32_sdwa v19, v0, s44 dst_sel:DWORD dst_unused:UNUSED_PAD src0_sel:BYTE_3 src1_sel:DWORD
                                        ; implicit-def: $vgpr0
; %bb.5264:                             ;   in Loop: Header=BB4_4667 Depth=3
	s_andn2_saveexec_b64 s[34:35], vcc
; %bb.5265:                             ;   in Loop: Header=BB4_4667 Depth=3
	v_cmp_lt_i32_e32 vcc, -1, v0
	v_mov_b32_e32 v0, 0x7c
	v_cndmask_b32_e32 v19, -4, v0, vcc
; %bb.5266:                             ;   in Loop: Header=BB4_4667 Depth=3
	s_or_b64 exec, exec, s[34:35]
.LBB4_5267:                             ;   in Loop: Header=BB4_4667 Depth=3
	s_or_b64 exec, exec, s[28:29]
	v_mov_b32_e32 v20, v40
	v_cmp_ne_u16_e32 vcc, 0, v20
	v_mov_b32_e32 v0, 0
	v_mov_b32_e32 v1, 0
	s_and_saveexec_b64 s[28:29], vcc
	s_cbranch_execz .LBB4_5275
; %bb.5268:                             ;   in Loop: Header=BB4_4667 Depth=3
	v_cmp_ne_u16_e32 vcc, s70, v20
	v_bfrev_b32_e32 v1, 1
	s_and_saveexec_b64 s[34:35], vcc
	s_cbranch_execz .LBB4_5274
; %bb.5269:                             ;   in Loop: Header=BB4_4667 Depth=3
	v_and_b32_e32 v1, 0x7c, v20
	v_and_b32_e32 v2, 3, v20
	v_cmp_ne_u32_e32 vcc, s71, v1
                                        ; implicit-def: $vgpr1
	s_and_saveexec_b64 s[36:37], vcc
	s_xor_b64 s[36:37], exec, s[36:37]
	s_cbranch_execz .LBB4_5271
; %bb.5270:                             ;   in Loop: Header=BB4_4667 Depth=3
	v_ffbh_u32_e32 v20, v2
	v_mov_b32_e32 v28, v40
	v_min_u32_e32 v20, 32, v20
	v_and_b32_e32 v1, 0xff, v28
	v_mov_b32_e32 v29, v61
	v_subrev_u32_e32 v22, 29, v20
	v_bfe_u32 v1, v1, 2, 5
	v_lshlrev_b64 v[26:27], v22, v[28:29]
	v_sub_u32_e32 v20, 30, v20
	v_cmp_eq_u32_e32 vcc, 0, v1
	v_and_b32_e32 v22, 3, v26
	v_cndmask_b32_e32 v1, v1, v20, vcc
	v_and_b32_sdwa v20, sext(v28), s80 dst_sel:DWORD dst_unused:UNUSED_PAD src0_sel:WORD_0 src1_sel:DWORD
	v_cndmask_b32_e32 v2, v2, v22, vcc
	v_lshl_add_u32 v1, v1, 23, v20
	v_lshl_or_b32 v1, v2, 21, v1
	v_add_u32_e32 v1, 0x38000000, v1
                                        ; implicit-def: $vgpr2
                                        ; implicit-def: $vgpr40
.LBB4_5271:                             ;   in Loop: Header=BB4_4667 Depth=3
	s_andn2_saveexec_b64 s[36:37], s[36:37]
; %bb.5272:                             ;   in Loop: Header=BB4_4667 Depth=3
	v_cmp_lt_i16_e32 vcc, -1, v40
	v_mov_b32_e32 v1, 0xff800000
	v_cndmask_b32_e32 v1, v1, v47, vcc
	v_cmp_eq_u32_e32 vcc, 0, v2
	v_mov_b32_e32 v2, 0x7f800001
	v_cndmask_b32_e32 v1, v2, v1, vcc
; %bb.5273:                             ;   in Loop: Header=BB4_4667 Depth=3
	s_or_b64 exec, exec, s[36:37]
.LBB4_5274:                             ;   in Loop: Header=BB4_4667 Depth=3
	s_or_b64 exec, exec, s[34:35]
.LBB4_5275:                             ;   in Loop: Header=BB4_4667 Depth=3
	s_or_b64 exec, exec, s[28:29]
	v_cmp_ne_u16_e32 vcc, 0, v44
	s_and_saveexec_b64 s[28:29], vcc
	s_cbranch_execz .LBB4_5283
; %bb.5276:                             ;   in Loop: Header=BB4_4667 Depth=3
	v_cmp_ne_u16_e32 vcc, s70, v44
	v_bfrev_b32_e32 v0, 1
	s_and_saveexec_b64 s[34:35], vcc
	s_cbranch_execz .LBB4_5282
; %bb.5277:                             ;   in Loop: Header=BB4_4667 Depth=3
	v_and_b32_e32 v0, 0x7c, v44
	v_and_b32_e32 v2, 3, v44
	v_cmp_ne_u32_e32 vcc, s71, v0
                                        ; implicit-def: $vgpr0
	s_and_saveexec_b64 s[36:37], vcc
	s_xor_b64 s[36:37], exec, s[36:37]
	s_cbranch_execz .LBB4_5279
; %bb.5278:                             ;   in Loop: Header=BB4_4667 Depth=3
	v_ffbh_u32_e32 v20, v2
	v_min_u32_e32 v20, 32, v20
	v_and_b32_e32 v0, 0xff, v44
	v_mov_b32_e32 v45, v61
	v_subrev_u32_e32 v22, 29, v20
	v_bfe_u32 v0, v0, 2, 5
	v_lshlrev_b64 v[26:27], v22, v[44:45]
	v_sub_u32_e32 v20, 30, v20
	v_cmp_eq_u32_e32 vcc, 0, v0
	v_and_b32_e32 v22, 3, v26
	v_cndmask_b32_e32 v0, v0, v20, vcc
	v_and_b32_sdwa v20, sext(v44), s80 dst_sel:DWORD dst_unused:UNUSED_PAD src0_sel:WORD_0 src1_sel:DWORD
	v_cndmask_b32_e32 v2, v2, v22, vcc
	v_lshl_add_u32 v0, v0, 23, v20
	v_lshl_or_b32 v0, v2, 21, v0
	v_add_u32_e32 v0, 0x38000000, v0
                                        ; implicit-def: $vgpr2
                                        ; implicit-def: $vgpr44
.LBB4_5279:                             ;   in Loop: Header=BB4_4667 Depth=3
	s_andn2_saveexec_b64 s[36:37], s[36:37]
; %bb.5280:                             ;   in Loop: Header=BB4_4667 Depth=3
	v_cmp_lt_i16_e32 vcc, -1, v44
	v_mov_b32_e32 v0, 0xff800000
	v_cndmask_b32_e32 v0, v0, v47, vcc
	v_cmp_eq_u32_e32 vcc, 0, v2
	v_mov_b32_e32 v2, 0x7f800001
	v_cndmask_b32_e32 v0, v2, v0, vcc
; %bb.5281:                             ;   in Loop: Header=BB4_4667 Depth=3
	s_or_b64 exec, exec, s[36:37]
.LBB4_5282:                             ;   in Loop: Header=BB4_4667 Depth=3
	s_or_b64 exec, exec, s[34:35]
.LBB4_5283:                             ;   in Loop: Header=BB4_4667 Depth=3
	s_or_b64 exec, exec, s[28:29]
	v_mul_f32_e32 v0, v1, v0
	v_and_b32_e32 v1, 0x7f800000, v0
	v_mov_b32_e32 v2, v61
	v_cmp_ne_u64_e32 vcc, s[62:63], v[1:2]
	v_and_b32_e32 v60, 0x7fffff, v0
                                        ; implicit-def: $vgpr1
	s_and_saveexec_b64 s[28:29], vcc
	s_xor_b64 s[34:35], exec, s[28:29]
	s_cbranch_execz .LBB4_5301
; %bb.5284:                             ;   in Loop: Header=BB4_4667 Depth=3
	v_and_b32_e32 v1, 0x7fffffff, v0
	v_mov_b32_e32 v2, v61
	v_cmp_gt_u64_e32 vcc, s[78:79], v[1:2]
	v_and_b32_sdwa v20, v0, s81 dst_sel:DWORD dst_unused:UNUSED_PAD src0_sel:BYTE_3 src1_sel:DWORD
                                        ; implicit-def: $vgpr1
	s_and_saveexec_b64 s[28:29], vcc
	s_xor_b64 s[36:37], exec, s[28:29]
	s_cbranch_execz .LBB4_5298
; %bb.5285:                             ;   in Loop: Header=BB4_4667 Depth=3
	v_cmp_ne_u32_e32 vcc, 0, v0
	v_mov_b32_e32 v1, 0
	s_and_saveexec_b64 s[38:39], vcc
	s_cbranch_execz .LBB4_5297
; %bb.5286:                             ;   in Loop: Header=BB4_4667 Depth=3
	v_bfe_u32 v22, v0, 23, 8
	v_cmp_gt_u32_e64 s[28:29], s47, v22
	v_sub_u32_e32 v0, 0x71, v22
	v_cmp_eq_u32_e32 vcc, 0, v22
	v_cndmask_b32_e64 v0, 0, v0, s[28:29]
	v_mov_b32_e32 v2, 0x70
	v_cndmask_b32_e32 v26, v0, v2, vcc
	v_add_u32_e32 v2, 21, v26
	v_or_b32_e32 v1, 0x800000, v60
	v_lshlrev_b64 v[27:28], v2, -1
	v_cndmask_b32_e32 v0, v1, v60, vcc
	v_mov_b32_e32 v1, v61
	v_add_u32_e32 v2, 20, v26
	v_bfi_b32 v27, v27, 0, v0
	v_lshlrev_b64 v[29:30], v2, 1
	v_lshrrev_b64 v[0:1], v26, v[0:1]
	v_bfi_b32 v28, v28, 0, 0
	v_cmp_eq_u64_e64 s[28:29], v[27:28], v[29:30]
	v_mov_b32_e32 v2, v1
	v_mov_b32_e32 v1, v0
	s_and_saveexec_b64 s[48:49], s[28:29]
; %bb.5287:                             ;   in Loop: Header=BB4_4667 Depth=3
	v_bfe_u32 v1, v0, 21, 1
	v_add_co_u32_e64 v1, s[28:29], v0, v1
	v_add_co_u32_e64 v1, s[28:29], -1, v1
; %bb.5288:                             ;   in Loop: Header=BB4_4667 Depth=3
	s_or_b64 exec, exec, s[48:49]
	v_add_u32_e32 v2, 0xffffff81, v22
	v_mov_b32_e32 v22, 0xffffff82
	v_cndmask_b32_e32 v2, v2, v22, vcc
	v_lshrrev_b32_e32 v22, 23, v0
	v_add3_u32 v26, v26, v2, v22
	v_add_u32_e32 v22, 14, v26
	v_and_b32_e32 v1, 0x1fffff, v1
	v_add_u32_e32 v60, v1, v0
	v_cmp_ne_u32_e32 vcc, 0, v22
                                        ; implicit-def: $vgpr0_vgpr1
                                        ; implicit-def: $vgpr2
	s_and_saveexec_b64 s[28:29], vcc
	s_xor_b64 s[28:29], exec, s[28:29]
; %bb.5289:                             ;   in Loop: Header=BB4_4667 Depth=3
	v_cmp_lt_u64_e32 vcc, s[88:89], v[60:61]
	v_add_u32_e32 v0, 15, v26
	v_cndmask_b32_e32 v2, v22, v0, vcc
	v_cndmask_b32_e64 v0, 0, 1, vcc
	v_lshrrev_b64 v[0:1], v0, v[60:61]
; %bb.5290:                             ;   in Loop: Header=BB4_4667 Depth=3
	s_andn2_saveexec_b64 s[28:29], s[28:29]
; %bb.5291:                             ;   in Loop: Header=BB4_4667 Depth=3
	v_mov_b32_e32 v0, v60
	v_mov_b32_e32 v1, v61
	v_bfe_u32 v2, v60, 23, 1
; %bb.5292:                             ;   in Loop: Header=BB4_4667 Depth=3
	s_or_b64 exec, exec, s[28:29]
	v_lshrrev_b64 v[0:1], 21, v[0:1]
	v_cmp_gt_i32_e32 vcc, 32, v2
	v_cndmask_b32_e32 v1, 0, v1, vcc
	v_cndmask_b32_e32 v0, 3, v0, vcc
	v_cmp_ne_u64_e32 vcc, 0, v[0:1]
	v_cmp_ne_u32_e64 s[28:29], 0, v2
	s_or_b64 s[28:29], s[28:29], vcc
                                        ; implicit-def: $vgpr1
	s_and_saveexec_b64 vcc, s[28:29]
	s_xor_b64 s[28:29], exec, vcc
; %bb.5293:                             ;   in Loop: Header=BB4_4667 Depth=3
	v_min_i32_e32 v1, 31, v2
	v_lshl_or_b32 v1, v1, 2, v20
	v_and_or_b32 v1, v0, 3, v1
                                        ; implicit-def: $vgpr20
; %bb.5294:                             ;   in Loop: Header=BB4_4667 Depth=3
	s_andn2_saveexec_b64 s[28:29], s[28:29]
; %bb.5295:                             ;   in Loop: Header=BB4_4667 Depth=3
	v_mov_b32_e32 v1, v20
; %bb.5296:                             ;   in Loop: Header=BB4_4667 Depth=3
	s_or_b64 exec, exec, s[28:29]
.LBB4_5297:                             ;   in Loop: Header=BB4_4667 Depth=3
	s_or_b64 exec, exec, s[38:39]
                                        ; implicit-def: $vgpr20
.LBB4_5298:                             ;   in Loop: Header=BB4_4667 Depth=3
	s_andn2_saveexec_b64 s[28:29], s[36:37]
; %bb.5299:                             ;   in Loop: Header=BB4_4667 Depth=3
	v_or_b32_e32 v1, 0x7b, v20
; %bb.5300:                             ;   in Loop: Header=BB4_4667 Depth=3
	s_or_b64 exec, exec, s[28:29]
                                        ; implicit-def: $vgpr0
.LBB4_5301:                             ;   in Loop: Header=BB4_4667 Depth=3
	s_andn2_saveexec_b64 s[28:29], s[34:35]
	s_cbranch_execz .LBB4_4666
; %bb.5302:                             ;   in Loop: Header=BB4_4667 Depth=3
	v_cmp_ne_u64_e32 vcc, 0, v[60:61]
                                        ; implicit-def: $vgpr1
	s_and_saveexec_b64 s[34:35], vcc
	s_xor_b64 vcc, exec, s[34:35]
; %bb.5303:                             ;   in Loop: Header=BB4_4667 Depth=3
	v_or_b32_sdwa v1, v0, s44 dst_sel:DWORD dst_unused:UNUSED_PAD src0_sel:BYTE_3 src1_sel:DWORD
                                        ; implicit-def: $vgpr0
; %bb.5304:                             ;   in Loop: Header=BB4_4667 Depth=3
	s_andn2_saveexec_b64 s[34:35], vcc
	s_cbranch_execz .LBB4_4665
; %bb.5305:                             ;   in Loop: Header=BB4_4667 Depth=3
	v_cmp_lt_i32_e32 vcc, -1, v0
	v_mov_b32_e32 v0, 0x7c
	v_cndmask_b32_e32 v1, -4, v0, vcc
	s_branch .LBB4_4665
.LBB4_5306:                             ;   in Loop: Header=BB4_2871 Depth=2
	s_or_b64 exec, exec, s[30:31]
	buffer_load_dword v1, off, s[0:3], s33 offset:276 ; 4-byte Folded Reload
	buffer_load_dword v2, off, s[0:3], s33 offset:284 ; 4-byte Folded Reload
	;; [unrolled: 1-line block ×4, first 2 shown]
.LBB4_5307:                             ;   in Loop: Header=BB4_2871 Depth=2
	s_or_b64 exec, exec, s[40:41]
	s_waitcnt vmcnt(0)
	v_lshlrev_b32_e32 v0, 10, v2
	v_cmp_ne_u32_e32 vcc, v41, v0
	s_and_b64 exec, exec, vcc
	s_cbranch_execz .LBB4_5353
; %bb.5308:                             ;   in Loop: Header=BB4_2871 Depth=2
	v_add_u32_e32 v1, v3, v1
	v_and_b32_e32 v1, 0xffffffc0, v1
	v_sub_u32_e32 v1, v3, v1
	v_lshlrev_b32_e32 v2, 6, v38
	v_sub_u32_e32 v1, v1, v2
	v_add_u32_e32 v0, v0, v1
	v_sub_u32_e32 v11, v41, v0
	v_cmp_lt_i32_e32 vcc, 0, v11
	s_and_b64 exec, exec, vcc
	s_cbranch_execz .LBB4_5353
; %bb.5309:                             ;   in Loop: Header=BB4_2871 Depth=2
	s_trap 2
	ds_read_b128 v[1:4], v0
	v_add_u32_e32 v5, v0, v8
	v_ashrrev_i32_e32 v6, 31, v5
	s_mov_b64 s[30:31], 0
	s_waitcnt lgkmcnt(0)
	v_add_co_u32_e32 v0, vcc, v1, v5
	v_addc_co_u32_e32 v1, vcc, v2, v6, vcc
	v_add_co_u32_e32 v2, vcc, v3, v5
	v_addc_co_u32_e32 v3, vcc, v4, v6, vcc
	v_mov_b32_e32 v5, v1
	v_mov_b32_e32 v7, v3
	;; [unrolled: 1-line block ×4, first 2 shown]
.LBB4_5310:                             ;   Parent Loop BB4_47 Depth=1
                                        ;     Parent Loop BB4_2871 Depth=2
                                        ; =>    This Loop Header: Depth=3
                                        ;         Child Loop BB4_5351 Depth 4
	flat_load_sbyte v9, v[4:5] glc slc
	flat_load_sbyte v8, v[6:7] glc slc
	v_mov_b32_e32 v12, 0
	v_mov_b32_e32 v10, 0
	s_waitcnt vmcnt(0) lgkmcnt(0)
	v_cmp_ne_u16_e32 vcc, 0, v9
	s_and_saveexec_b64 s[28:29], vcc
	s_cbranch_execz .LBB4_5318
; %bb.5311:                             ;   in Loop: Header=BB4_5310 Depth=3
	v_cmp_ne_u16_e32 vcc, s70, v9
	v_bfrev_b32_e32 v10, 1
	s_and_saveexec_b64 s[40:41], vcc
	s_cbranch_execz .LBB4_5317
; %bb.5312:                             ;   in Loop: Header=BB4_5310 Depth=3
	v_and_b32_e32 v10, 0x7c, v9
	v_and_b32_e32 v13, 3, v9
	v_cmp_ne_u32_e32 vcc, s71, v10
                                        ; implicit-def: $vgpr10
	s_and_saveexec_b64 s[34:35], vcc
	s_xor_b64 s[34:35], exec, s[34:35]
	s_cbranch_execz .LBB4_5314
; %bb.5313:                             ;   in Loop: Header=BB4_5310 Depth=3
	v_and_b32_e32 v14, 0xff, v9
	v_bfe_u32 v16, v14, 2, 5
	v_ffbh_u32_e32 v14, v13
	v_min_u32_e32 v17, 32, v14
	v_mov_b32_e32 v10, v61
	v_subrev_u32_e32 v14, 29, v17
	v_lshlrev_b64 v[14:15], v14, v[9:10]
	v_sub_u32_e32 v10, 30, v17
	v_cmp_eq_u32_e32 vcc, 0, v16
	v_and_b32_e32 v14, 3, v14
	v_cndmask_b32_e32 v10, v16, v10, vcc
	v_and_b32_sdwa v9, sext(v9), s80 dst_sel:DWORD dst_unused:UNUSED_PAD src0_sel:WORD_0 src1_sel:DWORD
	v_cndmask_b32_e32 v13, v13, v14, vcc
	v_lshl_add_u32 v9, v10, 23, v9
	v_lshl_or_b32 v9, v13, 21, v9
	v_add_u32_e32 v10, 0x38000000, v9
                                        ; implicit-def: $vgpr13
                                        ; implicit-def: $vgpr9
.LBB4_5314:                             ;   in Loop: Header=BB4_5310 Depth=3
	s_andn2_saveexec_b64 s[34:35], s[34:35]
; %bb.5315:                             ;   in Loop: Header=BB4_5310 Depth=3
	v_cmp_lt_i16_e32 vcc, -1, v9
	v_mov_b32_e32 v9, 0xff800000
	v_cndmask_b32_e32 v9, v9, v47, vcc
	v_cmp_eq_u32_e32 vcc, 0, v13
	v_mov_b32_e32 v10, 0x7f800001
	v_cndmask_b32_e32 v10, v10, v9, vcc
; %bb.5316:                             ;   in Loop: Header=BB4_5310 Depth=3
	s_or_b64 exec, exec, s[34:35]
.LBB4_5317:                             ;   in Loop: Header=BB4_5310 Depth=3
	s_or_b64 exec, exec, s[40:41]
.LBB4_5318:                             ;   in Loop: Header=BB4_5310 Depth=3
	s_or_b64 exec, exec, s[28:29]
	v_cmp_ne_u16_e32 vcc, 0, v8
	s_and_saveexec_b64 s[28:29], vcc
	s_cbranch_execz .LBB4_5326
; %bb.5319:                             ;   in Loop: Header=BB4_5310 Depth=3
	v_cmp_ne_u16_e32 vcc, s70, v8
	v_bfrev_b32_e32 v12, 1
	s_and_saveexec_b64 s[40:41], vcc
	s_cbranch_execz .LBB4_5325
; %bb.5320:                             ;   in Loop: Header=BB4_5310 Depth=3
	v_and_b32_e32 v9, 0x7c, v8
	v_and_b32_e32 v13, 3, v8
	v_cmp_ne_u32_e32 vcc, s71, v9
                                        ; implicit-def: $vgpr12
	s_and_saveexec_b64 s[34:35], vcc
	s_xor_b64 s[34:35], exec, s[34:35]
	s_cbranch_execz .LBB4_5322
; %bb.5321:                             ;   in Loop: Header=BB4_5310 Depth=3
	v_ffbh_u32_e32 v15, v13
	v_and_b32_e32 v9, 0xff, v8
	v_min_u32_e32 v15, 32, v15
	v_bfe_u32 v12, v9, 2, 5
	v_mov_b32_e32 v9, v61
	v_subrev_u32_e32 v16, 29, v15
	v_and_b32_sdwa v14, sext(v8), s80 dst_sel:DWORD dst_unused:UNUSED_PAD src0_sel:WORD_0 src1_sel:DWORD
	v_lshlrev_b64 v[8:9], v16, v[8:9]
	v_sub_u32_e32 v9, 30, v15
	v_cmp_eq_u32_e32 vcc, 0, v12
	v_and_b32_e32 v8, 3, v8
	v_cndmask_b32_e32 v9, v12, v9, vcc
	v_cndmask_b32_e32 v8, v13, v8, vcc
	v_lshl_add_u32 v9, v9, 23, v14
	v_lshl_or_b32 v8, v8, 21, v9
	v_add_u32_e32 v12, 0x38000000, v8
                                        ; implicit-def: $vgpr8
                                        ; implicit-def: $vgpr13
.LBB4_5322:                             ;   in Loop: Header=BB4_5310 Depth=3
	s_andn2_saveexec_b64 s[34:35], s[34:35]
; %bb.5323:                             ;   in Loop: Header=BB4_5310 Depth=3
	v_cmp_lt_i16_e32 vcc, -1, v8
	v_mov_b32_e32 v8, 0xff800000
	v_cndmask_b32_e32 v8, v8, v47, vcc
	v_cmp_eq_u32_e32 vcc, 0, v13
	v_mov_b32_e32 v9, 0x7f800001
	v_cndmask_b32_e32 v12, v9, v8, vcc
; %bb.5324:                             ;   in Loop: Header=BB4_5310 Depth=3
	s_or_b64 exec, exec, s[34:35]
.LBB4_5325:                             ;   in Loop: Header=BB4_5310 Depth=3
	s_or_b64 exec, exec, s[40:41]
.LBB4_5326:                             ;   in Loop: Header=BB4_5310 Depth=3
	s_or_b64 exec, exec, s[28:29]
	v_mul_f32_e32 v8, v10, v12
	v_and_b32_e32 v9, 0x7f800000, v8
	v_mov_b32_e32 v10, v61
	v_cmp_ne_u64_e32 vcc, s[62:63], v[9:10]
	v_and_b32_e32 v60, 0x7fffff, v8
                                        ; implicit-def: $vgpr9
	s_and_saveexec_b64 s[28:29], vcc
	s_xor_b64 s[40:41], exec, s[28:29]
	s_cbranch_execz .LBB4_5344
; %bb.5327:                             ;   in Loop: Header=BB4_5310 Depth=3
	v_and_b32_e32 v9, 0x7fffffff, v8
	v_mov_b32_e32 v10, v61
	v_cmp_gt_u64_e32 vcc, s[78:79], v[9:10]
	v_and_b32_sdwa v12, v8, s81 dst_sel:DWORD dst_unused:UNUSED_PAD src0_sel:BYTE_3 src1_sel:DWORD
                                        ; implicit-def: $vgpr9
	s_and_saveexec_b64 s[28:29], vcc
	s_xor_b64 s[34:35], exec, s[28:29]
	s_cbranch_execz .LBB4_5341
; %bb.5328:                             ;   in Loop: Header=BB4_5310 Depth=3
	v_cmp_ne_u32_e32 vcc, 0, v8
	v_mov_b32_e32 v9, 0
	s_and_saveexec_b64 s[36:37], vcc
	s_cbranch_execz .LBB4_5340
; %bb.5329:                             ;   in Loop: Header=BB4_5310 Depth=3
	v_bfe_u32 v13, v8, 23, 8
	v_cmp_gt_u32_e64 s[28:29], s47, v13
	v_sub_u32_e32 v8, 0x71, v13
	v_cmp_eq_u32_e32 vcc, 0, v13
	v_cndmask_b32_e64 v8, 0, v8, s[28:29]
	v_mov_b32_e32 v10, 0x70
	v_cndmask_b32_e32 v14, v8, v10, vcc
	v_add_u32_e32 v10, 21, v14
	v_or_b32_e32 v9, 0x800000, v60
	v_lshlrev_b64 v[15:16], v10, -1
	v_cndmask_b32_e32 v8, v9, v60, vcc
	v_mov_b32_e32 v9, v61
	v_add_u32_e32 v10, 20, v14
	v_bfi_b32 v15, v15, 0, v8
	v_lshlrev_b64 v[17:18], v10, 1
	v_lshrrev_b64 v[8:9], v14, v[8:9]
	v_bfi_b32 v16, v16, 0, 0
	v_cmp_eq_u64_e64 s[28:29], v[15:16], v[17:18]
	v_mov_b32_e32 v10, v9
	v_mov_b32_e32 v9, v8
	s_and_saveexec_b64 s[38:39], s[28:29]
; %bb.5330:                             ;   in Loop: Header=BB4_5310 Depth=3
	v_bfe_u32 v9, v8, 21, 1
	v_add_co_u32_e64 v9, s[28:29], v8, v9
	v_add_co_u32_e64 v9, s[28:29], -1, v9
; %bb.5331:                             ;   in Loop: Header=BB4_5310 Depth=3
	s_or_b64 exec, exec, s[38:39]
	v_add_u32_e32 v10, 0xffffff81, v13
	v_mov_b32_e32 v13, 0xffffff82
	v_cndmask_b32_e32 v10, v10, v13, vcc
	v_lshrrev_b32_e32 v13, 23, v8
	v_add3_u32 v14, v14, v10, v13
	v_add_u32_e32 v13, 14, v14
	v_and_b32_e32 v9, 0x1fffff, v9
	v_add_u32_e32 v60, v9, v8
	v_cmp_ne_u32_e32 vcc, 0, v13
                                        ; implicit-def: $vgpr8_vgpr9
                                        ; implicit-def: $vgpr10
	s_and_saveexec_b64 s[28:29], vcc
	s_xor_b64 s[28:29], exec, s[28:29]
; %bb.5332:                             ;   in Loop: Header=BB4_5310 Depth=3
	v_cmp_lt_u64_e32 vcc, s[88:89], v[60:61]
	v_add_u32_e32 v8, 15, v14
	v_cndmask_b32_e32 v10, v13, v8, vcc
	v_cndmask_b32_e64 v8, 0, 1, vcc
	v_lshrrev_b64 v[8:9], v8, v[60:61]
; %bb.5333:                             ;   in Loop: Header=BB4_5310 Depth=3
	s_andn2_saveexec_b64 s[28:29], s[28:29]
; %bb.5334:                             ;   in Loop: Header=BB4_5310 Depth=3
	v_mov_b32_e32 v8, v60
	v_mov_b32_e32 v9, v61
	v_bfe_u32 v10, v60, 23, 1
; %bb.5335:                             ;   in Loop: Header=BB4_5310 Depth=3
	s_or_b64 exec, exec, s[28:29]
	v_lshrrev_b64 v[8:9], 21, v[8:9]
	v_cmp_gt_i32_e32 vcc, 32, v10
	v_cndmask_b32_e32 v9, 0, v9, vcc
	v_cndmask_b32_e32 v8, 3, v8, vcc
	v_cmp_ne_u64_e32 vcc, 0, v[8:9]
	v_cmp_ne_u32_e64 s[28:29], 0, v10
	s_or_b64 s[28:29], s[28:29], vcc
                                        ; implicit-def: $vgpr9
	s_and_saveexec_b64 vcc, s[28:29]
	s_xor_b64 s[28:29], exec, vcc
; %bb.5336:                             ;   in Loop: Header=BB4_5310 Depth=3
	v_min_i32_e32 v9, 31, v10
	v_lshl_or_b32 v9, v9, 2, v12
	v_and_or_b32 v9, v8, 3, v9
                                        ; implicit-def: $vgpr12
; %bb.5337:                             ;   in Loop: Header=BB4_5310 Depth=3
	s_andn2_saveexec_b64 s[28:29], s[28:29]
; %bb.5338:                             ;   in Loop: Header=BB4_5310 Depth=3
	v_mov_b32_e32 v9, v12
; %bb.5339:                             ;   in Loop: Header=BB4_5310 Depth=3
	s_or_b64 exec, exec, s[28:29]
.LBB4_5340:                             ;   in Loop: Header=BB4_5310 Depth=3
	s_or_b64 exec, exec, s[36:37]
                                        ; implicit-def: $vgpr12
.LBB4_5341:                             ;   in Loop: Header=BB4_5310 Depth=3
	s_andn2_saveexec_b64 s[28:29], s[34:35]
; %bb.5342:                             ;   in Loop: Header=BB4_5310 Depth=3
	v_or_b32_e32 v9, 0x7b, v12
; %bb.5343:                             ;   in Loop: Header=BB4_5310 Depth=3
	s_or_b64 exec, exec, s[28:29]
                                        ; implicit-def: $vgpr8
.LBB4_5344:                             ;   in Loop: Header=BB4_5310 Depth=3
	s_andn2_saveexec_b64 s[28:29], s[40:41]
	s_cbranch_execz .LBB4_5350
; %bb.5345:                             ;   in Loop: Header=BB4_5310 Depth=3
	v_cmp_ne_u64_e32 vcc, 0, v[60:61]
                                        ; implicit-def: $vgpr9
	s_and_saveexec_b64 s[40:41], vcc
	s_xor_b64 s[40:41], exec, s[40:41]
; %bb.5346:                             ;   in Loop: Header=BB4_5310 Depth=3
	v_or_b32_sdwa v9, v8, s44 dst_sel:DWORD dst_unused:UNUSED_PAD src0_sel:BYTE_3 src1_sel:DWORD
                                        ; implicit-def: $vgpr8
; %bb.5347:                             ;   in Loop: Header=BB4_5310 Depth=3
	s_andn2_saveexec_b64 s[40:41], s[40:41]
; %bb.5348:                             ;   in Loop: Header=BB4_5310 Depth=3
	v_cmp_lt_i32_e32 vcc, -1, v8
	v_mov_b32_e32 v8, 0x7c
	v_cndmask_b32_e32 v9, -4, v8, vcc
; %bb.5349:                             ;   in Loop: Header=BB4_5310 Depth=3
	s_or_b64 exec, exec, s[40:41]
.LBB4_5350:                             ;   in Loop: Header=BB4_5310 Depth=3
	s_or_b64 exec, exec, s[28:29]
	s_mov_b64 s[36:37], 0
	s_mov_b64 s[34:35], -1
.LBB4_5351:                             ;   Parent Loop BB4_47 Depth=1
                                        ;     Parent Loop BB4_2871 Depth=2
                                        ;       Parent Loop BB4_5310 Depth=3
                                        ; =>      This Inner Loop Header: Depth=4
	s_cmp_eq_u32 s36, 1
	s_cselect_b64 vcc, -1, 0
	v_cndmask_b32_e32 v12, v0, v2, vcc
	v_cndmask_b32_e32 v13, v1, v3, vcc
	v_add_co_u32_e64 v8, s[28:29], 64, v12
	s_cmp_eq_u32 s36, 0
	v_addc_co_u32_e64 v10, s[28:29], 0, v13, s[28:29]
	s_cselect_b64 s[28:29], -1, 0
	s_and_b64 s[40:41], exec, s[34:35]
	s_mov_b64 s[36:37], 1
	s_mov_b64 s[34:35], 0
	v_cndmask_b32_e32 v3, v3, v10, vcc
	v_cndmask_b32_e32 v2, v2, v8, vcc
	v_cndmask_b32_e64 v1, v1, v10, s[28:29]
	v_cndmask_b32_e64 v0, v0, v8, s[28:29]
	s_mov_b64 vcc, s[40:41]
	flat_store_byte v[12:13], v9 glc slc
	s_cbranch_vccnz .LBB4_5351
; %bb.5352:                             ;   in Loop: Header=BB4_5310 Depth=3
	buffer_load_dword v8, off, s[0:3], s33 offset:136 ; 4-byte Folded Reload
	buffer_load_dword v9, off, s[0:3], s33 offset:140 ; 4-byte Folded Reload
	;; [unrolled: 1-line block ×3, first 2 shown]
	s_waitcnt vmcnt(0)
	v_add_co_u32_e32 v4, vcc, v4, v8
	v_addc_co_u32_e32 v5, vcc, v5, v9, vcc
	v_add_co_u32_e32 v6, vcc, v6, v8
	v_addc_co_u32_e32 v7, vcc, v7, v9, vcc
	buffer_load_dword v9, off, s[0:3], s33 offset:128 ; 4-byte Folded Reload
	buffer_load_dword v8, off, s[0:3], s33 offset:72 ; 4-byte Folded Reload
	s_waitcnt vmcnt(0)
	v_add_co_u32_e32 v0, vcc, v0, v9
	v_addc_co_u32_e32 v1, vcc, v1, v10, vcc
	v_sub_u32_e32 v11, v11, v8
	v_cmp_gt_i32_e32 vcc, 1, v11
	s_or_b64 s[30:31], vcc, s[30:31]
	v_add_co_u32_e32 v2, vcc, v2, v9
	v_addc_co_u32_e32 v3, vcc, v3, v10, vcc
	s_andn2_b64 exec, exec, s[30:31]
	s_cbranch_execnz .LBB4_5310
.LBB4_5353:                             ;   in Loop: Header=BB4_2871 Depth=2
	s_or_b64 exec, exec, s[42:43]
	buffer_load_dword v40, off, s[0:3], s33 offset:216 ; 4-byte Folded Reload
	buffer_load_dword v41, off, s[0:3], s33 offset:220 ; 4-byte Folded Reload
	;; [unrolled: 1-line block ×6, first 2 shown]
	s_branch .LBB4_7758
.LBB4_5354:                             ;   in Loop: Header=BB4_2871 Depth=2
	s_mov_b64 s[40:41], -1
	s_and_saveexec_b64 s[28:29], s[22:23]
	s_cbranch_execz .LBB4_5356
; %bb.5355:                             ;   in Loop: Header=BB4_2871 Depth=2
	s_waitcnt vmcnt(0)
	ds_read_b32 v0, v0 offset:720
	s_waitcnt lgkmcnt(0)
	v_and_b32_e32 v0, 15, v0
	v_cmp_eq_u32_e32 vcc, 0, v0
	s_orn2_b64 s[40:41], vcc, exec
.LBB4_5356:                             ;   in Loop: Header=BB4_2871 Depth=2
	s_or_b64 exec, exec, s[28:29]
	s_and_saveexec_b64 s[28:29], s[18:19]
	s_cbranch_execz .LBB4_5358
; %bb.5357:                             ;   in Loop: Header=BB4_2871 Depth=2
	s_waitcnt vmcnt(0)
	ds_read_b32 v0, v0 offset:784
	s_waitcnt lgkmcnt(0)
	v_and_b32_e32 v0, 15, v0
	v_cmp_eq_u32_e32 vcc, 0, v0
	s_and_b64 s[42:43], s[40:41], vcc
	s_andn2_b64 s[40:41], s[40:41], exec
	s_and_b64 s[42:43], s[42:43], exec
	s_or_b64 s[40:41], s[40:41], s[42:43]
.LBB4_5358:                             ;   in Loop: Header=BB4_2871 Depth=2
	s_or_b64 exec, exec, s[28:29]
	s_xor_b64 s[40:41], s[40:41], -1
	s_waitcnt vmcnt(0)
	v_cndmask_b32_e64 v0, 0, 1, s[40:41]
	v_cmp_ne_u32_e32 vcc, 0, v0
	buffer_load_dword v45, off, s[0:3], s33 offset:152 ; 4-byte Folded Reload
	buffer_load_dword v2, off, s[0:3], s33 offset:148 ; 4-byte Folded Reload
	;; [unrolled: 1-line block ×3, first 2 shown]
	s_mov_b64 s[28:29], -1
	v_mov_b32_e32 v8, 0
	s_cbranch_vccz .LBB4_5360
; %bb.5359:                             ;   in Loop: Header=BB4_2871 Depth=2
	s_and_saveexec_b64 s[40:41], s[28:29]
	s_cbranch_execnz .LBB4_7069
	s_branch .LBB4_7757
.LBB4_5360:                             ;   in Loop: Header=BB4_2871 Depth=2
	buffer_load_dword v1, off, s[0:3], s33 offset:152 ; 4-byte Folded Reload
	s_waitcnt vmcnt(0)
	v_ashrrev_i32_e32 v0, 31, v1
	v_lshrrev_b32_e32 v0, 21, v0
	v_add_u32_e32 v0, v1, v0
	v_ashrrev_i32_e32 v4, 11, v0
	buffer_load_dword v0, off, s[0:3], s33 offset:112 ; 4-byte Folded Reload
	s_waitcnt vmcnt(0)
	v_sub_u32_e32 v3, v4, v0
	v_cmp_lt_i32_e32 vcc, 0, v3
	s_and_saveexec_b64 s[40:41], vcc
	s_cbranch_execz .LBB4_6516
; %bb.5361:                             ;   in Loop: Header=BB4_2871 Depth=2
	s_trap 2
	ds_read_b64 v[0:1], v0
	buffer_load_dword v2, off, s[0:3], s33 offset:248 ; 4-byte Folded Reload
	buffer_load_dword v5, off, s[0:3], s33 offset:184 ; 4-byte Folded Reload
	;; [unrolled: 1-line block ×3, first 2 shown]
	s_mov_b64 s[42:43], 0
	s_waitcnt vmcnt(0)
	v_add_co_u32_e32 v26, vcc, v5, v2
	buffer_load_dword v5, off, s[0:3], s33 offset:252 ; 4-byte Folded Reload
	s_waitcnt vmcnt(0)
	v_addc_co_u32_e32 v27, vcc, v6, v5, vcc
	s_waitcnt lgkmcnt(0)
	v_add_co_u32_e32 v28, vcc, v0, v2
	v_addc_co_u32_e32 v29, vcc, v1, v5, vcc
	buffer_load_dword v0, off, s[0:3], s33 offset:116 ; 4-byte Folded Reload
	buffer_load_dword v1, off, s[0:3], s33 offset:120 ; 4-byte Folded Reload
	s_waitcnt vmcnt(1)
	v_add_co_u32_e32 v30, vcc, v0, v2
	s_waitcnt vmcnt(0)
	v_addc_co_u32_e32 v31, vcc, v1, v5, vcc
	s_branch .LBB4_5364
.LBB4_5362:                             ;   in Loop: Header=BB4_5364 Depth=3
	s_or_b64 exec, exec, s[30:31]
.LBB4_5363:                             ;   in Loop: Header=BB4_5364 Depth=3
	s_or_b64 exec, exec, s[28:29]
	v_lshl_or_b32 v1, v34, 8, v25
	v_lshlrev_b32_e32 v2, 16, v35
	v_lshlrev_b32_e32 v10, 24, v16
	v_or3_b32 v15, v1, v2, v10
	v_lshl_or_b32 v1, v6, 8, v5
	v_lshlrev_b32_e32 v2, 16, v7
	v_lshlrev_b32_e32 v5, 24, v24
	v_or3_b32 v14, v1, v2, v5
	;; [unrolled: 4-line block ×3, first 2 shown]
	v_lshlrev_b32_e32 v1, 24, v18
	v_lshlrev_b32_e32 v2, 16, v39
	v_lshl_or_b32 v5, v38, 8, v37
	v_or3_b32 v17, v5, v2, v1
	v_lshl_or_b32 v1, v52, 8, v51
	v_lshlrev_b32_e32 v2, 16, v53
	v_lshlrev_b32_e32 v5, 24, v8
	v_or3_b32 v6, v1, v2, v5
	v_lshl_or_b32 v1, v22, 8, v19
	v_lshlrev_b32_e32 v2, 16, v23
	v_lshlrev_b32_e32 v5, 24, v50
	v_or3_b32 v5, v1, v2, v5
	v_lshl_or_b32 v1, v12, 8, v9
	v_lshlrev_b32_e32 v2, 16, v13
	v_lshlrev_b32_e32 v7, 24, v54
	v_or3_b32 v7, v1, v2, v7
	v_lshlrev_b32_e32 v0, 24, v0
	v_lshlrev_b32_e32 v1, 16, v43
	v_lshl_or_b32 v2, v42, 8, v55
	v_or3_b32 v8, v2, v1, v0
	global_store_dwordx4 v[30:31], v[14:17], off glc slc
	global_store_dwordx4 v[30:31], v[5:8], off offset:1024 glc slc
	buffer_load_dword v0, off, s[0:3], s33 offset:76 ; 4-byte Folded Reload
	buffer_load_dword v21, off, s[0:3], s33 offset:64 ; 4-byte Folded Reload
	s_waitcnt vmcnt(1)
	v_add_co_u32_e32 v26, vcc, v26, v0
	v_addc_co_u32_e32 v27, vcc, 0, v27, vcc
	v_add_co_u32_e32 v28, vcc, v28, v0
	v_addc_co_u32_e32 v29, vcc, 0, v29, vcc
	s_waitcnt vmcnt(0)
	v_sub_u32_e32 v3, v3, v21
	v_cmp_gt_i32_e32 vcc, 1, v3
	s_or_b64 s[42:43], vcc, s[42:43]
	v_add_co_u32_e32 v30, vcc, v30, v0
	v_addc_co_u32_e32 v31, vcc, 0, v31, vcc
	s_andn2_b64 exec, exec, s[42:43]
	s_cbranch_execz .LBB4_6515
.LBB4_5364:                             ;   Parent Loop BB4_47 Depth=1
                                        ;     Parent Loop BB4_2871 Depth=2
                                        ; =>    This Inner Loop Header: Depth=3
	global_load_dwordx4 v[20:23], v[26:27], off glc slc
	global_load_dwordx4 v[12:15], v[26:27], off offset:1024 glc slc
	global_load_dwordx4 v[16:19], v[28:29], off glc slc
	global_load_dwordx4 v[8:11], v[28:29], off offset:1024 glc slc
	v_mov_b32_e32 v0, 0
	v_mov_b32_e32 v1, 0
	s_waitcnt vmcnt(3)
	v_cmp_ne_u16_sdwa vcc, v20, v61 src0_sel:BYTE_0 src1_sel:DWORD
	s_and_saveexec_b64 s[28:29], vcc
	s_cbranch_execz .LBB4_5372
; %bb.5365:                             ;   in Loop: Header=BB4_5364 Depth=3
	v_cmp_ne_u16_sdwa vcc, sext(v20), s70 src0_sel:BYTE_0 src1_sel:DWORD
	v_bfrev_b32_e32 v1, 1
	s_and_saveexec_b64 s[30:31], vcc
	s_cbranch_execz .LBB4_5371
; %bb.5366:                             ;   in Loop: Header=BB4_5364 Depth=3
	v_and_b32_e32 v1, 0x7c, v20
	v_and_b32_e32 v2, 3, v20
	v_cmp_ne_u32_e32 vcc, s71, v1
                                        ; implicit-def: $vgpr1
	s_and_saveexec_b64 s[34:35], vcc
	s_xor_b64 s[34:35], exec, s[34:35]
	s_cbranch_execz .LBB4_5368
; %bb.5367:                             ;   in Loop: Header=BB4_5364 Depth=3
	v_ffbh_u32_e32 v5, v2
	v_min_u32_e32 v7, 32, v5
	v_subrev_u32_e32 v5, 29, v7
	v_lshlrev_b64 v[5:6], v5, v[20:21]
	v_bfe_u32 v1, v20, 2, 5
	v_and_b32_e32 v5, 3, v5
	v_cmp_eq_u32_e32 vcc, 0, v1
	v_sub_u32_e32 v6, 30, v7
	v_cndmask_b32_e32 v2, v2, v5, vcc
	v_lshlrev_b32_e32 v5, 24, v20
	v_cndmask_b32_e32 v1, v1, v6, vcc
	v_and_b32_e32 v5, 0x80000000, v5
	v_lshl_add_u32 v1, v1, 23, v5
	v_lshl_or_b32 v1, v2, 21, v1
	v_add_u32_e32 v1, 0x38000000, v1
                                        ; implicit-def: $vgpr2
.LBB4_5368:                             ;   in Loop: Header=BB4_5364 Depth=3
	s_andn2_saveexec_b64 s[34:35], s[34:35]
; %bb.5369:                             ;   in Loop: Header=BB4_5364 Depth=3
	v_mov_b32_e32 v1, -1
	v_cmp_gt_i16_sdwa vcc, sext(v20), v1 src0_sel:BYTE_0 src1_sel:DWORD
	v_mov_b32_e32 v1, 0xff800000
	v_cndmask_b32_e32 v1, v1, v47, vcc
	v_cmp_eq_u32_e32 vcc, 0, v2
	v_mov_b32_e32 v2, 0x7f800001
	v_cndmask_b32_e32 v1, v2, v1, vcc
; %bb.5370:                             ;   in Loop: Header=BB4_5364 Depth=3
	s_or_b64 exec, exec, s[34:35]
.LBB4_5371:                             ;   in Loop: Header=BB4_5364 Depth=3
	s_or_b64 exec, exec, s[30:31]
.LBB4_5372:                             ;   in Loop: Header=BB4_5364 Depth=3
	s_or_b64 exec, exec, s[28:29]
	s_waitcnt vmcnt(1)
	v_cmp_ne_u16_sdwa vcc, v16, v61 src0_sel:BYTE_0 src1_sel:DWORD
	s_and_saveexec_b64 s[28:29], vcc
	s_cbranch_execz .LBB4_5380
; %bb.5373:                             ;   in Loop: Header=BB4_5364 Depth=3
	v_cmp_ne_u16_sdwa vcc, sext(v16), s70 src0_sel:BYTE_0 src1_sel:DWORD
	v_bfrev_b32_e32 v0, 1
	s_and_saveexec_b64 s[30:31], vcc
	s_cbranch_execz .LBB4_5379
; %bb.5374:                             ;   in Loop: Header=BB4_5364 Depth=3
	v_and_b32_e32 v0, 0x7c, v16
	v_and_b32_e32 v2, 3, v16
	v_cmp_ne_u32_e32 vcc, s71, v0
                                        ; implicit-def: $vgpr0
	s_and_saveexec_b64 s[34:35], vcc
	s_xor_b64 s[34:35], exec, s[34:35]
	s_cbranch_execz .LBB4_5376
; %bb.5375:                             ;   in Loop: Header=BB4_5364 Depth=3
	v_ffbh_u32_e32 v5, v2
	v_min_u32_e32 v7, 32, v5
	v_subrev_u32_e32 v5, 29, v7
	v_lshlrev_b64 v[5:6], v5, v[16:17]
	v_bfe_u32 v0, v16, 2, 5
	v_and_b32_e32 v5, 3, v5
	v_cmp_eq_u32_e32 vcc, 0, v0
	v_sub_u32_e32 v6, 30, v7
	v_cndmask_b32_e32 v2, v2, v5, vcc
	v_lshlrev_b32_e32 v5, 24, v16
	v_cndmask_b32_e32 v0, v0, v6, vcc
	v_and_b32_e32 v5, 0x80000000, v5
	v_lshl_add_u32 v0, v0, 23, v5
	v_lshl_or_b32 v0, v2, 21, v0
	v_add_u32_e32 v0, 0x38000000, v0
                                        ; implicit-def: $vgpr2
.LBB4_5376:                             ;   in Loop: Header=BB4_5364 Depth=3
	s_andn2_saveexec_b64 s[34:35], s[34:35]
; %bb.5377:                             ;   in Loop: Header=BB4_5364 Depth=3
	v_mov_b32_e32 v0, -1
	v_cmp_gt_i16_sdwa vcc, sext(v16), v0 src0_sel:BYTE_0 src1_sel:DWORD
	v_mov_b32_e32 v0, 0xff800000
	v_cndmask_b32_e32 v0, v0, v47, vcc
	v_cmp_eq_u32_e32 vcc, 0, v2
	v_mov_b32_e32 v2, 0x7f800001
	v_cndmask_b32_e32 v0, v2, v0, vcc
; %bb.5378:                             ;   in Loop: Header=BB4_5364 Depth=3
	s_or_b64 exec, exec, s[34:35]
.LBB4_5379:                             ;   in Loop: Header=BB4_5364 Depth=3
	s_or_b64 exec, exec, s[30:31]
.LBB4_5380:                             ;   in Loop: Header=BB4_5364 Depth=3
	s_or_b64 exec, exec, s[28:29]
	v_mul_f32_e32 v0, v1, v0
	v_and_b32_e32 v1, 0x7f800000, v0
	v_mov_b32_e32 v2, v61
	v_cmp_ne_u64_e32 vcc, s[62:63], v[1:2]
	v_and_b32_e32 v60, 0x7fffff, v0
                                        ; implicit-def: $vgpr5
	s_and_saveexec_b64 s[28:29], vcc
	s_xor_b64 s[30:31], exec, s[28:29]
	s_cbranch_execz .LBB4_5394
; %bb.5381:                             ;   in Loop: Header=BB4_5364 Depth=3
	v_and_b32_e32 v1, 0x7fffffff, v0
	v_mov_b32_e32 v2, v61
	v_cmp_gt_u64_e32 vcc, s[78:79], v[1:2]
	v_and_b32_sdwa v6, v0, s81 dst_sel:DWORD dst_unused:UNUSED_PAD src0_sel:BYTE_3 src1_sel:DWORD
                                        ; implicit-def: $vgpr5
	s_and_saveexec_b64 s[28:29], vcc
	s_xor_b64 s[34:35], exec, s[28:29]
	s_cbranch_execz .LBB4_5391
; %bb.5382:                             ;   in Loop: Header=BB4_5364 Depth=3
	v_mov_b32_e32 v5, 0
	v_cmp_ne_u32_e32 vcc, 0, v0
	s_and_saveexec_b64 s[36:37], vcc
	s_cbranch_execz .LBB4_5390
; %bb.5383:                             ;   in Loop: Header=BB4_5364 Depth=3
	v_bfe_u32 v5, v0, 23, 8
	v_cmp_gt_u32_e64 s[28:29], s47, v5
	v_sub_u32_e32 v0, 0x71, v5
	v_cmp_eq_u32_e32 vcc, 0, v5
	v_cndmask_b32_e64 v0, 0, v0, s[28:29]
	v_mov_b32_e32 v2, 0x70
	v_cndmask_b32_e32 v7, v0, v2, vcc
	v_add_u32_e32 v2, 21, v7
	v_or_b32_e32 v1, 0x800000, v60
	v_lshlrev_b64 v[24:25], v2, -1
	v_cndmask_b32_e32 v0, v1, v60, vcc
	v_mov_b32_e32 v1, v61
	v_add_u32_e32 v2, 20, v7
	v_bfi_b32 v24, v24, 0, v0
	v_lshlrev_b64 v[34:35], v2, 1
	v_lshrrev_b64 v[0:1], v7, v[0:1]
	v_bfi_b32 v25, v25, 0, 0
	v_cmp_eq_u64_e64 s[28:29], v[24:25], v[34:35]
	v_mov_b32_e32 v2, v1
	v_mov_b32_e32 v1, v0
	s_and_saveexec_b64 s[38:39], s[28:29]
; %bb.5384:                             ;   in Loop: Header=BB4_5364 Depth=3
	v_bfe_u32 v1, v0, 21, 1
	v_add_co_u32_e64 v1, s[28:29], v0, v1
	v_add_co_u32_e64 v1, s[28:29], -1, v1
; %bb.5385:                             ;   in Loop: Header=BB4_5364 Depth=3
	s_or_b64 exec, exec, s[38:39]
	v_add_u32_e32 v2, 0xffffff81, v5
	v_mov_b32_e32 v5, 0xffffff82
	v_cndmask_b32_e32 v2, v2, v5, vcc
	v_lshrrev_b32_e32 v5, 23, v0
	v_add3_u32 v7, v7, v2, v5
	v_add_u32_e32 v5, 14, v7
	v_and_b32_e32 v1, 0x1fffff, v1
	v_add_u32_e32 v60, v1, v0
	v_cmp_ne_u32_e32 vcc, 0, v5
                                        ; implicit-def: $vgpr0_vgpr1
                                        ; implicit-def: $vgpr2
	s_and_saveexec_b64 s[28:29], vcc
	s_xor_b64 s[28:29], exec, s[28:29]
; %bb.5386:                             ;   in Loop: Header=BB4_5364 Depth=3
	v_cmp_lt_u64_e32 vcc, s[88:89], v[60:61]
	v_add_u32_e32 v0, 15, v7
	v_cndmask_b32_e32 v2, v5, v0, vcc
	v_cndmask_b32_e64 v0, 0, 1, vcc
	v_lshrrev_b64 v[0:1], v0, v[60:61]
; %bb.5387:                             ;   in Loop: Header=BB4_5364 Depth=3
	s_andn2_saveexec_b64 s[28:29], s[28:29]
; %bb.5388:                             ;   in Loop: Header=BB4_5364 Depth=3
	v_mov_b32_e32 v0, v60
	v_mov_b32_e32 v1, v61
	v_bfe_u32 v2, v60, 23, 1
; %bb.5389:                             ;   in Loop: Header=BB4_5364 Depth=3
	s_or_b64 exec, exec, s[28:29]
	v_lshrrev_b64 v[0:1], 21, v[0:1]
	v_cmp_gt_i32_e32 vcc, 32, v2
	v_cndmask_b32_e32 v1, 0, v1, vcc
	v_cndmask_b32_e32 v0, 3, v0, vcc
	v_cmp_eq_u64_e64 s[28:29], 0, v[0:1]
	v_min_i32_e32 v1, 31, v2
	v_lshlrev_b32_e32 v1, 2, v1
	v_cmp_eq_u32_e32 vcc, 0, v2
	v_and_b32_e32 v1, 0xfc, v1
	v_and_or_b32 v0, v0, 3, v1
	s_and_b64 s[28:29], vcc, s[28:29]
	v_cndmask_b32_e64 v0, v0, 0, s[28:29]
	v_or_b32_e32 v5, v0, v6
.LBB4_5390:                             ;   in Loop: Header=BB4_5364 Depth=3
	s_or_b64 exec, exec, s[36:37]
                                        ; implicit-def: $vgpr6
.LBB4_5391:                             ;   in Loop: Header=BB4_5364 Depth=3
	s_andn2_saveexec_b64 s[28:29], s[34:35]
; %bb.5392:                             ;   in Loop: Header=BB4_5364 Depth=3
	v_or_b32_e32 v5, 0x7b, v6
; %bb.5393:                             ;   in Loop: Header=BB4_5364 Depth=3
	s_or_b64 exec, exec, s[28:29]
                                        ; implicit-def: $vgpr0
.LBB4_5394:                             ;   in Loop: Header=BB4_5364 Depth=3
	s_andn2_saveexec_b64 s[28:29], s[30:31]
	s_cbranch_execz .LBB4_5400
; %bb.5395:                             ;   in Loop: Header=BB4_5364 Depth=3
	v_cmp_ne_u64_e32 vcc, 0, v[60:61]
                                        ; implicit-def: $vgpr5
	s_and_saveexec_b64 s[30:31], vcc
	s_xor_b64 vcc, exec, s[30:31]
; %bb.5396:                             ;   in Loop: Header=BB4_5364 Depth=3
	v_or_b32_sdwa v5, v0, s44 dst_sel:DWORD dst_unused:UNUSED_PAD src0_sel:BYTE_3 src1_sel:DWORD
                                        ; implicit-def: $vgpr0
; %bb.5397:                             ;   in Loop: Header=BB4_5364 Depth=3
	s_andn2_saveexec_b64 s[30:31], vcc
; %bb.5398:                             ;   in Loop: Header=BB4_5364 Depth=3
	v_cmp_lt_i32_e32 vcc, -1, v0
	v_bfrev_b32_e32 v0, 0.5
	v_mov_b32_e32 v1, 0x7c
	v_cndmask_b32_e32 v5, v0, v1, vcc
; %bb.5399:                             ;   in Loop: Header=BB4_5364 Depth=3
	s_or_b64 exec, exec, s[30:31]
.LBB4_5400:                             ;   in Loop: Header=BB4_5364 Depth=3
	s_or_b64 exec, exec, s[28:29]
	v_lshrrev_b16_e32 v0, 8, v20
	v_cmp_ne_u16_e32 vcc, 0, v0
	v_mov_b32_e32 v2, 0
	v_mov_b32_e32 v6, 0
	s_and_saveexec_b64 s[28:29], vcc
	s_cbranch_execz .LBB4_5408
; %bb.5401:                             ;   in Loop: Header=BB4_5364 Depth=3
	v_cmp_ne_u16_e32 vcc, s81, v0
	v_bfrev_b32_e32 v6, 1
	s_and_saveexec_b64 s[30:31], vcc
	s_cbranch_execz .LBB4_5407
; %bb.5402:                             ;   in Loop: Header=BB4_5364 Depth=3
	v_and_b32_e32 v1, 0x7c, v0
	v_and_b32_e32 v7, 3, v0
	v_cmp_ne_u32_e32 vcc, s71, v1
                                        ; implicit-def: $vgpr6
	s_and_saveexec_b64 s[34:35], vcc
	s_xor_b64 s[34:35], exec, s[34:35]
	s_cbranch_execz .LBB4_5404
; %bb.5403:                             ;   in Loop: Header=BB4_5364 Depth=3
	v_ffbh_u32_e32 v24, v7
	v_min_u32_e32 v24, 32, v24
	v_mov_b32_e32 v1, v61
	v_subrev_u32_e32 v25, 29, v24
	v_bfe_u32 v6, v0, 2, 5
	v_lshlrev_b64 v[0:1], v25, v[0:1]
	v_sub_u32_e32 v1, 30, v24
	v_cmp_eq_u32_e32 vcc, 0, v6
	v_cndmask_b32_e32 v1, v6, v1, vcc
	v_lshlrev_b32_e32 v6, 16, v20
	v_and_b32_e32 v0, 3, v0
	v_and_b32_e32 v6, 0x80000000, v6
	v_cndmask_b32_e32 v0, v7, v0, vcc
	v_lshl_add_u32 v1, v1, 23, v6
	v_lshl_or_b32 v0, v0, 21, v1
	v_add_u32_e32 v6, 0x38000000, v0
                                        ; implicit-def: $vgpr7
.LBB4_5404:                             ;   in Loop: Header=BB4_5364 Depth=3
	s_andn2_saveexec_b64 s[34:35], s[34:35]
; %bb.5405:                             ;   in Loop: Header=BB4_5364 Depth=3
	v_cmp_lt_i16_e32 vcc, -1, v20
	v_mov_b32_e32 v0, 0xff800000
	v_cndmask_b32_e32 v0, v0, v47, vcc
	v_cmp_eq_u32_e32 vcc, 0, v7
	v_mov_b32_e32 v1, 0x7f800001
	v_cndmask_b32_e32 v6, v1, v0, vcc
; %bb.5406:                             ;   in Loop: Header=BB4_5364 Depth=3
	s_or_b64 exec, exec, s[34:35]
.LBB4_5407:                             ;   in Loop: Header=BB4_5364 Depth=3
	s_or_b64 exec, exec, s[30:31]
.LBB4_5408:                             ;   in Loop: Header=BB4_5364 Depth=3
	s_or_b64 exec, exec, s[28:29]
	v_lshrrev_b16_e32 v0, 8, v16
	v_cmp_ne_u16_e32 vcc, 0, v0
	s_and_saveexec_b64 s[28:29], vcc
	s_cbranch_execz .LBB4_5416
; %bb.5409:                             ;   in Loop: Header=BB4_5364 Depth=3
	v_cmp_ne_u16_e32 vcc, s81, v0
	v_bfrev_b32_e32 v2, 1
	s_and_saveexec_b64 s[30:31], vcc
	s_cbranch_execz .LBB4_5415
; %bb.5410:                             ;   in Loop: Header=BB4_5364 Depth=3
	v_and_b32_e32 v1, 0x7c, v0
	v_and_b32_e32 v7, 3, v0
	v_cmp_ne_u32_e32 vcc, s71, v1
                                        ; implicit-def: $vgpr2
	s_and_saveexec_b64 s[34:35], vcc
	s_xor_b64 s[34:35], exec, s[34:35]
	s_cbranch_execz .LBB4_5412
; %bb.5411:                             ;   in Loop: Header=BB4_5364 Depth=3
	v_ffbh_u32_e32 v24, v7
	v_min_u32_e32 v24, 32, v24
	v_mov_b32_e32 v1, v61
	v_subrev_u32_e32 v25, 29, v24
	v_bfe_u32 v2, v0, 2, 5
	v_lshlrev_b64 v[0:1], v25, v[0:1]
	v_sub_u32_e32 v1, 30, v24
	v_cmp_eq_u32_e32 vcc, 0, v2
	v_cndmask_b32_e32 v1, v2, v1, vcc
	v_lshlrev_b32_e32 v2, 16, v16
	v_and_b32_e32 v0, 3, v0
	v_and_b32_e32 v2, 0x80000000, v2
	v_cndmask_b32_e32 v0, v7, v0, vcc
	v_lshl_add_u32 v1, v1, 23, v2
	v_lshl_or_b32 v0, v0, 21, v1
	v_add_u32_e32 v2, 0x38000000, v0
                                        ; implicit-def: $vgpr7
.LBB4_5412:                             ;   in Loop: Header=BB4_5364 Depth=3
	s_andn2_saveexec_b64 s[34:35], s[34:35]
; %bb.5413:                             ;   in Loop: Header=BB4_5364 Depth=3
	v_cmp_lt_i16_e32 vcc, -1, v16
	v_mov_b32_e32 v0, 0xff800000
	v_cndmask_b32_e32 v0, v0, v47, vcc
	v_cmp_eq_u32_e32 vcc, 0, v7
	v_mov_b32_e32 v1, 0x7f800001
	v_cndmask_b32_e32 v2, v1, v0, vcc
; %bb.5414:                             ;   in Loop: Header=BB4_5364 Depth=3
	s_or_b64 exec, exec, s[34:35]
.LBB4_5415:                             ;   in Loop: Header=BB4_5364 Depth=3
	s_or_b64 exec, exec, s[30:31]
.LBB4_5416:                             ;   in Loop: Header=BB4_5364 Depth=3
	s_or_b64 exec, exec, s[28:29]
	v_mul_f32_e32 v0, v6, v2
	v_and_b32_e32 v1, 0x7f800000, v0
	v_mov_b32_e32 v2, v61
	v_cmp_ne_u64_e32 vcc, s[62:63], v[1:2]
	v_and_b32_e32 v60, 0x7fffff, v0
                                        ; implicit-def: $vgpr6
	s_and_saveexec_b64 s[28:29], vcc
	s_xor_b64 s[30:31], exec, s[28:29]
	s_cbranch_execz .LBB4_5430
; %bb.5417:                             ;   in Loop: Header=BB4_5364 Depth=3
	v_and_b32_e32 v1, 0x7fffffff, v0
	v_mov_b32_e32 v2, v61
	v_cmp_gt_u64_e32 vcc, s[78:79], v[1:2]
	v_and_b32_sdwa v7, v0, s81 dst_sel:DWORD dst_unused:UNUSED_PAD src0_sel:BYTE_3 src1_sel:DWORD
                                        ; implicit-def: $vgpr6
	s_and_saveexec_b64 s[28:29], vcc
	s_xor_b64 s[34:35], exec, s[28:29]
	s_cbranch_execz .LBB4_5427
; %bb.5418:                             ;   in Loop: Header=BB4_5364 Depth=3
	v_mov_b32_e32 v6, 0
	v_cmp_ne_u32_e32 vcc, 0, v0
	s_and_saveexec_b64 s[36:37], vcc
	s_cbranch_execz .LBB4_5426
; %bb.5419:                             ;   in Loop: Header=BB4_5364 Depth=3
	v_bfe_u32 v6, v0, 23, 8
	v_cmp_gt_u32_e64 s[28:29], s47, v6
	v_sub_u32_e32 v0, 0x71, v6
	v_cmp_eq_u32_e32 vcc, 0, v6
	v_cndmask_b32_e64 v0, 0, v0, s[28:29]
	v_mov_b32_e32 v2, 0x70
	v_cndmask_b32_e32 v24, v0, v2, vcc
	v_add_u32_e32 v2, 21, v24
	v_or_b32_e32 v1, 0x800000, v60
	v_lshlrev_b64 v[34:35], v2, -1
	v_cndmask_b32_e32 v0, v1, v60, vcc
	v_mov_b32_e32 v1, v61
	v_add_u32_e32 v2, 20, v24
	v_bfi_b32 v34, v34, 0, v0
	v_lshlrev_b64 v[36:37], v2, 1
	v_lshrrev_b64 v[0:1], v24, v[0:1]
	v_bfi_b32 v35, v35, 0, 0
	v_cmp_eq_u64_e64 s[28:29], v[34:35], v[36:37]
	v_mov_b32_e32 v2, v1
	v_mov_b32_e32 v1, v0
	s_and_saveexec_b64 s[38:39], s[28:29]
; %bb.5420:                             ;   in Loop: Header=BB4_5364 Depth=3
	v_bfe_u32 v1, v0, 21, 1
	v_add_co_u32_e64 v1, s[28:29], v0, v1
	v_add_co_u32_e64 v1, s[28:29], -1, v1
; %bb.5421:                             ;   in Loop: Header=BB4_5364 Depth=3
	s_or_b64 exec, exec, s[38:39]
	v_add_u32_e32 v2, 0xffffff81, v6
	v_mov_b32_e32 v6, 0xffffff82
	v_cndmask_b32_e32 v2, v2, v6, vcc
	v_lshrrev_b32_e32 v6, 23, v0
	v_add3_u32 v24, v24, v2, v6
	v_add_u32_e32 v6, 14, v24
	v_and_b32_e32 v1, 0x1fffff, v1
	v_add_u32_e32 v60, v1, v0
	v_cmp_ne_u32_e32 vcc, 0, v6
                                        ; implicit-def: $vgpr0_vgpr1
                                        ; implicit-def: $vgpr2
	s_and_saveexec_b64 s[28:29], vcc
	s_xor_b64 s[28:29], exec, s[28:29]
; %bb.5422:                             ;   in Loop: Header=BB4_5364 Depth=3
	v_cmp_lt_u64_e32 vcc, s[88:89], v[60:61]
	v_add_u32_e32 v0, 15, v24
	v_cndmask_b32_e32 v2, v6, v0, vcc
	v_cndmask_b32_e64 v0, 0, 1, vcc
	v_lshrrev_b64 v[0:1], v0, v[60:61]
; %bb.5423:                             ;   in Loop: Header=BB4_5364 Depth=3
	s_andn2_saveexec_b64 s[28:29], s[28:29]
; %bb.5424:                             ;   in Loop: Header=BB4_5364 Depth=3
	v_mov_b32_e32 v0, v60
	v_mov_b32_e32 v1, v61
	v_bfe_u32 v2, v60, 23, 1
; %bb.5425:                             ;   in Loop: Header=BB4_5364 Depth=3
	s_or_b64 exec, exec, s[28:29]
	v_lshrrev_b64 v[0:1], 21, v[0:1]
	v_cmp_gt_i32_e32 vcc, 32, v2
	v_cndmask_b32_e32 v1, 0, v1, vcc
	v_cndmask_b32_e32 v0, 3, v0, vcc
	v_cmp_eq_u64_e64 s[28:29], 0, v[0:1]
	v_min_i32_e32 v1, 31, v2
	v_lshlrev_b32_e32 v1, 2, v1
	v_cmp_eq_u32_e32 vcc, 0, v2
	v_and_b32_e32 v1, 0xfc, v1
	v_and_or_b32 v0, v0, 3, v1
	s_and_b64 s[28:29], vcc, s[28:29]
	v_cndmask_b32_e64 v0, v0, 0, s[28:29]
	v_or_b32_e32 v6, v0, v7
.LBB4_5426:                             ;   in Loop: Header=BB4_5364 Depth=3
	s_or_b64 exec, exec, s[36:37]
                                        ; implicit-def: $vgpr7
.LBB4_5427:                             ;   in Loop: Header=BB4_5364 Depth=3
	s_andn2_saveexec_b64 s[28:29], s[34:35]
; %bb.5428:                             ;   in Loop: Header=BB4_5364 Depth=3
	v_or_b32_e32 v6, 0x7b, v7
; %bb.5429:                             ;   in Loop: Header=BB4_5364 Depth=3
	s_or_b64 exec, exec, s[28:29]
                                        ; implicit-def: $vgpr0
.LBB4_5430:                             ;   in Loop: Header=BB4_5364 Depth=3
	s_andn2_saveexec_b64 s[28:29], s[30:31]
	s_cbranch_execz .LBB4_5436
; %bb.5431:                             ;   in Loop: Header=BB4_5364 Depth=3
	v_cmp_ne_u64_e32 vcc, 0, v[60:61]
                                        ; implicit-def: $vgpr6
	s_and_saveexec_b64 s[30:31], vcc
	s_xor_b64 vcc, exec, s[30:31]
; %bb.5432:                             ;   in Loop: Header=BB4_5364 Depth=3
	v_or_b32_sdwa v6, v0, s44 dst_sel:DWORD dst_unused:UNUSED_PAD src0_sel:BYTE_3 src1_sel:DWORD
                                        ; implicit-def: $vgpr0
; %bb.5433:                             ;   in Loop: Header=BB4_5364 Depth=3
	s_andn2_saveexec_b64 s[30:31], vcc
; %bb.5434:                             ;   in Loop: Header=BB4_5364 Depth=3
	v_cmp_lt_i32_e32 vcc, -1, v0
	v_bfrev_b32_e32 v0, 0.5
	v_mov_b32_e32 v1, 0x7c
	v_cndmask_b32_e32 v6, v0, v1, vcc
; %bb.5435:                             ;   in Loop: Header=BB4_5364 Depth=3
	s_or_b64 exec, exec, s[30:31]
.LBB4_5436:                             ;   in Loop: Header=BB4_5364 Depth=3
	s_or_b64 exec, exec, s[28:29]
	v_lshrrev_b32_e32 v0, 16, v20
	v_cmp_ne_u16_sdwa vcc, v0, v61 src0_sel:BYTE_0 src1_sel:DWORD
	v_mov_b32_e32 v1, 0
	v_mov_b32_e32 v2, 0
	s_and_saveexec_b64 s[28:29], vcc
	s_cbranch_execz .LBB4_5444
; %bb.5437:                             ;   in Loop: Header=BB4_5364 Depth=3
	v_cmp_ne_u16_sdwa vcc, v0, s81 src0_sel:BYTE_0 src1_sel:DWORD
	v_bfrev_b32_e32 v2, 1
	s_and_saveexec_b64 s[30:31], vcc
	s_cbranch_execz .LBB4_5443
; %bb.5438:                             ;   in Loop: Header=BB4_5364 Depth=3
	v_and_b32_e32 v2, 0x7c0000, v20
	v_bfe_u32 v7, v20, 16, 2
	v_cmp_ne_u32_e32 vcc, s45, v2
                                        ; implicit-def: $vgpr2
	s_and_saveexec_b64 s[34:35], vcc
	s_xor_b64 s[34:35], exec, s[34:35]
	s_cbranch_execz .LBB4_5440
; %bb.5439:                             ;   in Loop: Header=BB4_5364 Depth=3
	v_ffbh_u32_e32 v24, v7
	v_min_u32_e32 v34, 32, v24
	v_subrev_u32_e32 v24, 29, v34
	v_lshlrev_b64 v[24:25], v24, v[0:1]
	v_bfe_u32 v2, v20, 18, 5
	v_sub_u32_e32 v0, 30, v34
	v_and_b32_e32 v24, 3, v24
	v_cmp_eq_u32_e32 vcc, 0, v2
	v_cndmask_b32_e32 v0, v2, v0, vcc
	v_cndmask_b32_e32 v2, v7, v24, vcc
	v_lshlrev_b32_e32 v7, 8, v20
	v_and_b32_e32 v7, 0x80000000, v7
	v_lshl_add_u32 v0, v0, 23, v7
	v_lshl_or_b32 v0, v2, 21, v0
	v_add_u32_e32 v2, 0x38000000, v0
                                        ; implicit-def: $vgpr7
                                        ; implicit-def: $vgpr0
.LBB4_5440:                             ;   in Loop: Header=BB4_5364 Depth=3
	s_andn2_saveexec_b64 s[34:35], s[34:35]
; %bb.5441:                             ;   in Loop: Header=BB4_5364 Depth=3
	v_mov_b32_e32 v2, -1
	v_cmp_gt_i16_sdwa vcc, sext(v0), v2 src0_sel:BYTE_0 src1_sel:DWORD
	v_mov_b32_e32 v0, 0xff800000
	v_cndmask_b32_e32 v0, v0, v47, vcc
	v_cmp_eq_u32_e32 vcc, 0, v7
	v_mov_b32_e32 v2, 0x7f800001
	v_cndmask_b32_e32 v2, v2, v0, vcc
; %bb.5442:                             ;   in Loop: Header=BB4_5364 Depth=3
	s_or_b64 exec, exec, s[34:35]
.LBB4_5443:                             ;   in Loop: Header=BB4_5364 Depth=3
	s_or_b64 exec, exec, s[30:31]
.LBB4_5444:                             ;   in Loop: Header=BB4_5364 Depth=3
	s_or_b64 exec, exec, s[28:29]
	v_lshrrev_b32_e32 v0, 16, v16
	v_cmp_ne_u16_sdwa vcc, v0, v61 src0_sel:BYTE_0 src1_sel:DWORD
	s_and_saveexec_b64 s[28:29], vcc
	s_cbranch_execz .LBB4_5452
; %bb.5445:                             ;   in Loop: Header=BB4_5364 Depth=3
	v_cmp_ne_u16_sdwa vcc, v0, s81 src0_sel:BYTE_0 src1_sel:DWORD
	v_bfrev_b32_e32 v1, 1
	s_and_saveexec_b64 s[30:31], vcc
	s_cbranch_execz .LBB4_5451
; %bb.5446:                             ;   in Loop: Header=BB4_5364 Depth=3
	v_and_b32_e32 v1, 0x7c0000, v16
	v_bfe_u32 v7, v16, 16, 2
	v_cmp_ne_u32_e32 vcc, s45, v1
                                        ; implicit-def: $vgpr1
	s_and_saveexec_b64 s[34:35], vcc
	s_xor_b64 s[34:35], exec, s[34:35]
	s_cbranch_execz .LBB4_5448
; %bb.5447:                             ;   in Loop: Header=BB4_5364 Depth=3
	v_ffbh_u32_e32 v1, v7
	v_min_u32_e32 v25, 32, v1
	v_subrev_u32_e32 v1, 29, v25
	v_lshlrev_b64 v[0:1], v1, v[0:1]
	v_bfe_u32 v24, v16, 18, 5
	v_and_b32_e32 v0, 3, v0
	v_cmp_eq_u32_e32 vcc, 0, v24
	v_sub_u32_e32 v1, 30, v25
	v_cndmask_b32_e32 v0, v7, v0, vcc
	v_lshlrev_b32_e32 v7, 8, v16
	v_cndmask_b32_e32 v1, v24, v1, vcc
	v_and_b32_e32 v7, 0x80000000, v7
	v_lshl_add_u32 v1, v1, 23, v7
	v_lshl_or_b32 v0, v0, 21, v1
	v_add_u32_e32 v1, 0x38000000, v0
                                        ; implicit-def: $vgpr7
                                        ; implicit-def: $vgpr0
.LBB4_5448:                             ;   in Loop: Header=BB4_5364 Depth=3
	s_andn2_saveexec_b64 s[34:35], s[34:35]
; %bb.5449:                             ;   in Loop: Header=BB4_5364 Depth=3
	v_mov_b32_e32 v1, -1
	v_cmp_gt_i16_sdwa vcc, sext(v0), v1 src0_sel:BYTE_0 src1_sel:DWORD
	v_mov_b32_e32 v0, 0xff800000
	v_cndmask_b32_e32 v0, v0, v47, vcc
	v_cmp_eq_u32_e32 vcc, 0, v7
	v_mov_b32_e32 v1, 0x7f800001
	v_cndmask_b32_e32 v1, v1, v0, vcc
; %bb.5450:                             ;   in Loop: Header=BB4_5364 Depth=3
	s_or_b64 exec, exec, s[34:35]
.LBB4_5451:                             ;   in Loop: Header=BB4_5364 Depth=3
	s_or_b64 exec, exec, s[30:31]
.LBB4_5452:                             ;   in Loop: Header=BB4_5364 Depth=3
	s_or_b64 exec, exec, s[28:29]
	v_mul_f32_e32 v0, v2, v1
	v_and_b32_e32 v1, 0x7f800000, v0
	v_mov_b32_e32 v2, v61
	v_cmp_ne_u64_e32 vcc, s[62:63], v[1:2]
	v_and_b32_e32 v60, 0x7fffff, v0
                                        ; implicit-def: $vgpr7
	s_and_saveexec_b64 s[28:29], vcc
	s_xor_b64 s[30:31], exec, s[28:29]
	s_cbranch_execz .LBB4_5466
; %bb.5453:                             ;   in Loop: Header=BB4_5364 Depth=3
	v_and_b32_e32 v1, 0x7fffffff, v0
	v_mov_b32_e32 v2, v61
	v_cmp_gt_u64_e32 vcc, s[78:79], v[1:2]
	v_and_b32_sdwa v24, v0, s81 dst_sel:DWORD dst_unused:UNUSED_PAD src0_sel:BYTE_3 src1_sel:DWORD
                                        ; implicit-def: $vgpr7
	s_and_saveexec_b64 s[28:29], vcc
	s_xor_b64 s[34:35], exec, s[28:29]
	s_cbranch_execz .LBB4_5463
; %bb.5454:                             ;   in Loop: Header=BB4_5364 Depth=3
	v_mov_b32_e32 v7, 0
	v_cmp_ne_u32_e32 vcc, 0, v0
	s_and_saveexec_b64 s[36:37], vcc
	s_cbranch_execz .LBB4_5462
; %bb.5455:                             ;   in Loop: Header=BB4_5364 Depth=3
	v_bfe_u32 v7, v0, 23, 8
	v_cmp_gt_u32_e64 s[28:29], s47, v7
	v_sub_u32_e32 v0, 0x71, v7
	v_cmp_eq_u32_e32 vcc, 0, v7
	v_cndmask_b32_e64 v0, 0, v0, s[28:29]
	v_mov_b32_e32 v2, 0x70
	v_cndmask_b32_e32 v25, v0, v2, vcc
	v_add_u32_e32 v2, 21, v25
	v_or_b32_e32 v1, 0x800000, v60
	v_lshlrev_b64 v[34:35], v2, -1
	v_cndmask_b32_e32 v0, v1, v60, vcc
	v_mov_b32_e32 v1, v61
	v_add_u32_e32 v2, 20, v25
	v_bfi_b32 v34, v34, 0, v0
	v_lshlrev_b64 v[36:37], v2, 1
	v_lshrrev_b64 v[0:1], v25, v[0:1]
	v_bfi_b32 v35, v35, 0, 0
	v_cmp_eq_u64_e64 s[28:29], v[34:35], v[36:37]
	v_mov_b32_e32 v2, v1
	v_mov_b32_e32 v1, v0
	s_and_saveexec_b64 s[38:39], s[28:29]
; %bb.5456:                             ;   in Loop: Header=BB4_5364 Depth=3
	v_bfe_u32 v1, v0, 21, 1
	v_add_co_u32_e64 v1, s[28:29], v0, v1
	v_add_co_u32_e64 v1, s[28:29], -1, v1
; %bb.5457:                             ;   in Loop: Header=BB4_5364 Depth=3
	s_or_b64 exec, exec, s[38:39]
	v_add_u32_e32 v2, 0xffffff81, v7
	v_mov_b32_e32 v7, 0xffffff82
	v_cndmask_b32_e32 v2, v2, v7, vcc
	v_lshrrev_b32_e32 v7, 23, v0
	v_add3_u32 v25, v25, v2, v7
	v_add_u32_e32 v7, 14, v25
	v_and_b32_e32 v1, 0x1fffff, v1
	v_add_u32_e32 v60, v1, v0
	v_cmp_ne_u32_e32 vcc, 0, v7
                                        ; implicit-def: $vgpr0_vgpr1
                                        ; implicit-def: $vgpr2
	s_and_saveexec_b64 s[28:29], vcc
	s_xor_b64 s[28:29], exec, s[28:29]
; %bb.5458:                             ;   in Loop: Header=BB4_5364 Depth=3
	v_cmp_lt_u64_e32 vcc, s[88:89], v[60:61]
	v_add_u32_e32 v0, 15, v25
	v_cndmask_b32_e32 v2, v7, v0, vcc
	v_cndmask_b32_e64 v0, 0, 1, vcc
	v_lshrrev_b64 v[0:1], v0, v[60:61]
; %bb.5459:                             ;   in Loop: Header=BB4_5364 Depth=3
	s_andn2_saveexec_b64 s[28:29], s[28:29]
; %bb.5460:                             ;   in Loop: Header=BB4_5364 Depth=3
	v_mov_b32_e32 v0, v60
	v_mov_b32_e32 v1, v61
	v_bfe_u32 v2, v60, 23, 1
; %bb.5461:                             ;   in Loop: Header=BB4_5364 Depth=3
	s_or_b64 exec, exec, s[28:29]
	v_lshrrev_b64 v[0:1], 21, v[0:1]
	v_cmp_gt_i32_e32 vcc, 32, v2
	v_cndmask_b32_e32 v1, 0, v1, vcc
	v_cndmask_b32_e32 v0, 3, v0, vcc
	v_cmp_eq_u64_e64 s[28:29], 0, v[0:1]
	v_min_i32_e32 v1, 31, v2
	v_lshlrev_b32_e32 v1, 2, v1
	v_cmp_eq_u32_e32 vcc, 0, v2
	v_and_b32_e32 v1, 0xfc, v1
	v_and_or_b32 v0, v0, 3, v1
	s_and_b64 s[28:29], vcc, s[28:29]
	v_cndmask_b32_e64 v0, v0, 0, s[28:29]
	v_or_b32_e32 v7, v0, v24
.LBB4_5462:                             ;   in Loop: Header=BB4_5364 Depth=3
	s_or_b64 exec, exec, s[36:37]
                                        ; implicit-def: $vgpr24
.LBB4_5463:                             ;   in Loop: Header=BB4_5364 Depth=3
	s_andn2_saveexec_b64 s[28:29], s[34:35]
; %bb.5464:                             ;   in Loop: Header=BB4_5364 Depth=3
	v_or_b32_e32 v7, 0x7b, v24
; %bb.5465:                             ;   in Loop: Header=BB4_5364 Depth=3
	s_or_b64 exec, exec, s[28:29]
                                        ; implicit-def: $vgpr0
.LBB4_5466:                             ;   in Loop: Header=BB4_5364 Depth=3
	s_andn2_saveexec_b64 s[28:29], s[30:31]
	s_cbranch_execz .LBB4_5472
; %bb.5467:                             ;   in Loop: Header=BB4_5364 Depth=3
	v_cmp_ne_u64_e32 vcc, 0, v[60:61]
                                        ; implicit-def: $vgpr7
	s_and_saveexec_b64 s[30:31], vcc
	s_xor_b64 vcc, exec, s[30:31]
; %bb.5468:                             ;   in Loop: Header=BB4_5364 Depth=3
	v_or_b32_sdwa v7, v0, s44 dst_sel:DWORD dst_unused:UNUSED_PAD src0_sel:BYTE_3 src1_sel:DWORD
                                        ; implicit-def: $vgpr0
; %bb.5469:                             ;   in Loop: Header=BB4_5364 Depth=3
	s_andn2_saveexec_b64 s[30:31], vcc
; %bb.5470:                             ;   in Loop: Header=BB4_5364 Depth=3
	v_cmp_lt_i32_e32 vcc, -1, v0
	v_bfrev_b32_e32 v0, 0.5
	v_mov_b32_e32 v1, 0x7c
	v_cndmask_b32_e32 v7, v0, v1, vcc
; %bb.5471:                             ;   in Loop: Header=BB4_5364 Depth=3
	s_or_b64 exec, exec, s[30:31]
.LBB4_5472:                             ;   in Loop: Header=BB4_5364 Depth=3
	s_or_b64 exec, exec, s[28:29]
	v_cmp_lt_u32_e32 vcc, s57, v20
	v_mov_b32_e32 v1, 0
	v_mov_b32_e32 v2, 0
	s_and_saveexec_b64 s[28:29], vcc
	s_cbranch_execz .LBB4_5480
; %bb.5473:                             ;   in Loop: Header=BB4_5364 Depth=3
	v_lshrrev_b32_e32 v0, 24, v20
	v_cmp_ne_u32_e32 vcc, s81, v0
	v_bfrev_b32_e32 v2, 1
	s_and_saveexec_b64 s[30:31], vcc
	s_cbranch_execz .LBB4_5479
; %bb.5474:                             ;   in Loop: Header=BB4_5364 Depth=3
	v_and_b32_e32 v2, 0x7c000000, v20
	v_bfe_u32 v24, v20, 24, 2
	v_cmp_ne_u32_e32 vcc, s82, v2
                                        ; implicit-def: $vgpr2
	s_and_saveexec_b64 s[34:35], vcc
	s_xor_b64 s[34:35], exec, s[34:35]
	s_cbranch_execz .LBB4_5476
; %bb.5475:                             ;   in Loop: Header=BB4_5364 Depth=3
	v_ffbh_u32_e32 v25, v24
	v_min_u32_e32 v25, 32, v25
	v_subrev_u32_e32 v34, 29, v25
	v_lshlrev_b64 v[34:35], v34, v[0:1]
	v_bfe_u32 v2, v20, 26, 5
	v_sub_u32_e32 v0, 30, v25
	v_and_b32_e32 v25, 3, v34
	v_cmp_eq_u32_e32 vcc, 0, v2
	v_cndmask_b32_e32 v0, v2, v0, vcc
	v_cndmask_b32_e32 v2, v24, v25, vcc
	v_and_b32_e32 v24, 0x80000000, v20
	v_lshl_add_u32 v0, v0, 23, v24
	v_lshl_or_b32 v0, v2, 21, v0
	v_add_u32_e32 v2, 0x38000000, v0
                                        ; implicit-def: $vgpr24
.LBB4_5476:                             ;   in Loop: Header=BB4_5364 Depth=3
	s_andn2_saveexec_b64 s[34:35], s[34:35]
; %bb.5477:                             ;   in Loop: Header=BB4_5364 Depth=3
	v_cmp_lt_i32_e32 vcc, -1, v20
	v_mov_b32_e32 v0, 0xff800000
	v_cndmask_b32_e32 v0, v0, v47, vcc
	v_cmp_eq_u32_e32 vcc, 0, v24
	v_mov_b32_e32 v2, 0x7f800001
	v_cndmask_b32_e32 v2, v2, v0, vcc
; %bb.5478:                             ;   in Loop: Header=BB4_5364 Depth=3
	s_or_b64 exec, exec, s[34:35]
.LBB4_5479:                             ;   in Loop: Header=BB4_5364 Depth=3
	s_or_b64 exec, exec, s[30:31]
.LBB4_5480:                             ;   in Loop: Header=BB4_5364 Depth=3
	s_or_b64 exec, exec, s[28:29]
	v_cmp_lt_u32_e32 vcc, s57, v16
	s_and_saveexec_b64 s[28:29], vcc
	s_cbranch_execz .LBB4_5488
; %bb.5481:                             ;   in Loop: Header=BB4_5364 Depth=3
	v_lshrrev_b32_e32 v0, 24, v16
	v_cmp_ne_u32_e32 vcc, s81, v0
	v_bfrev_b32_e32 v1, 1
	s_and_saveexec_b64 s[30:31], vcc
	s_cbranch_execz .LBB4_5487
; %bb.5482:                             ;   in Loop: Header=BB4_5364 Depth=3
	v_and_b32_e32 v1, 0x7c000000, v16
	v_bfe_u32 v24, v16, 24, 2
	v_cmp_ne_u32_e32 vcc, s82, v1
                                        ; implicit-def: $vgpr1
	s_and_saveexec_b64 s[34:35], vcc
	s_xor_b64 s[34:35], exec, s[34:35]
	s_cbranch_execz .LBB4_5484
; %bb.5483:                             ;   in Loop: Header=BB4_5364 Depth=3
	v_ffbh_u32_e32 v1, v24
	v_min_u32_e32 v34, 32, v1
	v_subrev_u32_e32 v1, 29, v34
	v_lshlrev_b64 v[0:1], v1, v[0:1]
	v_bfe_u32 v25, v16, 26, 5
	v_sub_u32_e32 v1, 30, v34
	v_and_b32_e32 v0, 3, v0
	v_cmp_eq_u32_e32 vcc, 0, v25
	v_cndmask_b32_e32 v1, v25, v1, vcc
	v_cndmask_b32_e32 v0, v24, v0, vcc
	v_and_b32_e32 v24, 0x80000000, v16
	v_lshl_add_u32 v1, v1, 23, v24
	v_lshl_or_b32 v0, v0, 21, v1
	v_add_u32_e32 v1, 0x38000000, v0
                                        ; implicit-def: $vgpr24
.LBB4_5484:                             ;   in Loop: Header=BB4_5364 Depth=3
	s_andn2_saveexec_b64 s[34:35], s[34:35]
; %bb.5485:                             ;   in Loop: Header=BB4_5364 Depth=3
	v_cmp_lt_i32_e32 vcc, -1, v16
	v_mov_b32_e32 v0, 0xff800000
	v_cndmask_b32_e32 v0, v0, v47, vcc
	v_cmp_eq_u32_e32 vcc, 0, v24
	v_mov_b32_e32 v1, 0x7f800001
	v_cndmask_b32_e32 v1, v1, v0, vcc
; %bb.5486:                             ;   in Loop: Header=BB4_5364 Depth=3
	s_or_b64 exec, exec, s[34:35]
.LBB4_5487:                             ;   in Loop: Header=BB4_5364 Depth=3
	s_or_b64 exec, exec, s[30:31]
.LBB4_5488:                             ;   in Loop: Header=BB4_5364 Depth=3
	s_or_b64 exec, exec, s[28:29]
	v_mul_f32_e32 v0, v2, v1
	v_and_b32_e32 v1, 0x7f800000, v0
	v_mov_b32_e32 v2, v61
	v_cmp_ne_u64_e32 vcc, s[62:63], v[1:2]
	v_and_b32_e32 v60, 0x7fffff, v0
                                        ; implicit-def: $vgpr24
	s_and_saveexec_b64 s[28:29], vcc
	s_xor_b64 s[30:31], exec, s[28:29]
	s_cbranch_execz .LBB4_5502
; %bb.5489:                             ;   in Loop: Header=BB4_5364 Depth=3
	v_and_b32_e32 v1, 0x7fffffff, v0
	v_mov_b32_e32 v2, v61
	v_cmp_gt_u64_e32 vcc, s[78:79], v[1:2]
	v_and_b32_sdwa v25, v0, s81 dst_sel:DWORD dst_unused:UNUSED_PAD src0_sel:BYTE_3 src1_sel:DWORD
                                        ; implicit-def: $vgpr24
	s_and_saveexec_b64 s[28:29], vcc
	s_xor_b64 s[34:35], exec, s[28:29]
	s_cbranch_execz .LBB4_5499
; %bb.5490:                             ;   in Loop: Header=BB4_5364 Depth=3
	v_mov_b32_e32 v24, 0
	v_cmp_ne_u32_e32 vcc, 0, v0
	s_and_saveexec_b64 s[36:37], vcc
	s_cbranch_execz .LBB4_5498
; %bb.5491:                             ;   in Loop: Header=BB4_5364 Depth=3
	v_bfe_u32 v24, v0, 23, 8
	v_cmp_gt_u32_e64 s[28:29], s47, v24
	v_sub_u32_e32 v0, 0x71, v24
	v_cmp_eq_u32_e32 vcc, 0, v24
	v_cndmask_b32_e64 v0, 0, v0, s[28:29]
	v_mov_b32_e32 v2, 0x70
	v_cndmask_b32_e32 v34, v0, v2, vcc
	v_add_u32_e32 v2, 21, v34
	v_or_b32_e32 v1, 0x800000, v60
	v_lshlrev_b64 v[35:36], v2, -1
	v_cndmask_b32_e32 v0, v1, v60, vcc
	v_mov_b32_e32 v1, v61
	v_add_u32_e32 v2, 20, v34
	v_bfi_b32 v35, v35, 0, v0
	v_lshlrev_b64 v[37:38], v2, 1
	v_lshrrev_b64 v[0:1], v34, v[0:1]
	v_bfi_b32 v36, v36, 0, 0
	v_cmp_eq_u64_e64 s[28:29], v[35:36], v[37:38]
	v_mov_b32_e32 v2, v1
	v_mov_b32_e32 v1, v0
	s_and_saveexec_b64 s[38:39], s[28:29]
; %bb.5492:                             ;   in Loop: Header=BB4_5364 Depth=3
	v_bfe_u32 v1, v0, 21, 1
	v_add_co_u32_e64 v1, s[28:29], v0, v1
	v_add_co_u32_e64 v1, s[28:29], -1, v1
; %bb.5493:                             ;   in Loop: Header=BB4_5364 Depth=3
	s_or_b64 exec, exec, s[38:39]
	v_add_u32_e32 v2, 0xffffff81, v24
	v_mov_b32_e32 v24, 0xffffff82
	v_cndmask_b32_e32 v2, v2, v24, vcc
	v_lshrrev_b32_e32 v24, 23, v0
	v_add3_u32 v34, v34, v2, v24
	v_add_u32_e32 v24, 14, v34
	v_and_b32_e32 v1, 0x1fffff, v1
	v_add_u32_e32 v60, v1, v0
	v_cmp_ne_u32_e32 vcc, 0, v24
                                        ; implicit-def: $vgpr0_vgpr1
                                        ; implicit-def: $vgpr2
	s_and_saveexec_b64 s[28:29], vcc
	s_xor_b64 s[28:29], exec, s[28:29]
; %bb.5494:                             ;   in Loop: Header=BB4_5364 Depth=3
	v_cmp_lt_u64_e32 vcc, s[88:89], v[60:61]
	v_add_u32_e32 v0, 15, v34
	v_cndmask_b32_e32 v2, v24, v0, vcc
	v_cndmask_b32_e64 v0, 0, 1, vcc
	v_lshrrev_b64 v[0:1], v0, v[60:61]
; %bb.5495:                             ;   in Loop: Header=BB4_5364 Depth=3
	s_andn2_saveexec_b64 s[28:29], s[28:29]
; %bb.5496:                             ;   in Loop: Header=BB4_5364 Depth=3
	v_mov_b32_e32 v0, v60
	v_mov_b32_e32 v1, v61
	v_bfe_u32 v2, v60, 23, 1
; %bb.5497:                             ;   in Loop: Header=BB4_5364 Depth=3
	s_or_b64 exec, exec, s[28:29]
	v_lshrrev_b64 v[0:1], 21, v[0:1]
	v_cmp_gt_i32_e32 vcc, 32, v2
	v_cndmask_b32_e32 v1, 0, v1, vcc
	v_cndmask_b32_e32 v0, 3, v0, vcc
	v_cmp_eq_u64_e64 s[28:29], 0, v[0:1]
	v_min_i32_e32 v1, 31, v2
	v_lshlrev_b32_e32 v1, 2, v1
	v_cmp_eq_u32_e32 vcc, 0, v2
	v_and_b32_e32 v1, 0xfc, v1
	v_and_or_b32 v0, v0, 3, v1
	s_and_b64 s[28:29], vcc, s[28:29]
	v_cndmask_b32_e64 v0, v0, 0, s[28:29]
	v_or_b32_e32 v24, v0, v25
.LBB4_5498:                             ;   in Loop: Header=BB4_5364 Depth=3
	s_or_b64 exec, exec, s[36:37]
                                        ; implicit-def: $vgpr25
.LBB4_5499:                             ;   in Loop: Header=BB4_5364 Depth=3
	s_andn2_saveexec_b64 s[28:29], s[34:35]
; %bb.5500:                             ;   in Loop: Header=BB4_5364 Depth=3
	v_or_b32_e32 v24, 0x7b, v25
; %bb.5501:                             ;   in Loop: Header=BB4_5364 Depth=3
	s_or_b64 exec, exec, s[28:29]
                                        ; implicit-def: $vgpr0
.LBB4_5502:                             ;   in Loop: Header=BB4_5364 Depth=3
	s_andn2_saveexec_b64 s[28:29], s[30:31]
	s_cbranch_execz .LBB4_5508
; %bb.5503:                             ;   in Loop: Header=BB4_5364 Depth=3
	v_cmp_ne_u64_e32 vcc, 0, v[60:61]
                                        ; implicit-def: $vgpr24
	s_and_saveexec_b64 s[30:31], vcc
	s_xor_b64 vcc, exec, s[30:31]
; %bb.5504:                             ;   in Loop: Header=BB4_5364 Depth=3
	v_or_b32_sdwa v24, v0, s44 dst_sel:DWORD dst_unused:UNUSED_PAD src0_sel:BYTE_3 src1_sel:DWORD
                                        ; implicit-def: $vgpr0
; %bb.5505:                             ;   in Loop: Header=BB4_5364 Depth=3
	s_andn2_saveexec_b64 s[30:31], vcc
; %bb.5506:                             ;   in Loop: Header=BB4_5364 Depth=3
	v_cmp_lt_i32_e32 vcc, -1, v0
	v_bfrev_b32_e32 v0, 0.5
	v_mov_b32_e32 v1, 0x7c
	v_cndmask_b32_e32 v24, v0, v1, vcc
; %bb.5507:                             ;   in Loop: Header=BB4_5364 Depth=3
	s_or_b64 exec, exec, s[30:31]
.LBB4_5508:                             ;   in Loop: Header=BB4_5364 Depth=3
	s_or_b64 exec, exec, s[28:29]
	v_mov_b32_e32 v60, v21
	v_cmp_ne_u16_sdwa vcc, v21, v61 src0_sel:BYTE_0 src1_sel:DWORD
	v_mov_b32_e32 v1, 0
	v_mov_b32_e32 v0, 0
	s_and_saveexec_b64 s[28:29], vcc
	s_cbranch_execz .LBB4_5516
; %bb.5509:                             ;   in Loop: Header=BB4_5364 Depth=3
	v_cmp_ne_u16_sdwa vcc, v21, s81 src0_sel:BYTE_0 src1_sel:DWORD
	v_bfrev_b32_e32 v0, 1
	s_and_saveexec_b64 s[30:31], vcc
	s_cbranch_execz .LBB4_5515
; %bb.5510:                             ;   in Loop: Header=BB4_5364 Depth=3
	v_and_b32_e32 v0, 0x7c, v21
	v_and_b32_e32 v2, 3, v21
	v_cmp_ne_u32_e32 vcc, s71, v0
                                        ; implicit-def: $vgpr0
	s_and_saveexec_b64 s[34:35], vcc
	s_xor_b64 s[34:35], exec, s[34:35]
	s_cbranch_execz .LBB4_5512
; %bb.5511:                             ;   in Loop: Header=BB4_5364 Depth=3
	v_ffbh_u32_e32 v25, v2
	v_min_u32_e32 v25, 32, v25
	v_bfe_u32 v0, v21, 2, 5
	v_subrev_u32_e32 v34, 29, v25
	v_lshlrev_b64 v[34:35], v34, v[60:61]
	v_sub_u32_e32 v25, 30, v25
	v_cmp_eq_u32_e32 vcc, 0, v0
	v_cndmask_b32_e32 v0, v0, v25, vcc
	v_lshlrev_b32_e32 v25, 24, v21
	v_and_b32_e32 v34, 3, v34
	v_and_b32_e32 v25, 0x80000000, v25
	v_cndmask_b32_e32 v2, v2, v34, vcc
	v_lshl_add_u32 v0, v0, 23, v25
	v_lshl_or_b32 v0, v2, 21, v0
	v_add_u32_e32 v0, 0x38000000, v0
                                        ; implicit-def: $vgpr2
.LBB4_5512:                             ;   in Loop: Header=BB4_5364 Depth=3
	s_andn2_saveexec_b64 s[34:35], s[34:35]
; %bb.5513:                             ;   in Loop: Header=BB4_5364 Depth=3
	v_mov_b32_e32 v0, -1
	v_cmp_gt_i16_sdwa vcc, sext(v21), v0 src0_sel:BYTE_0 src1_sel:DWORD
	v_mov_b32_e32 v0, 0xff800000
	v_cndmask_b32_e32 v0, v0, v47, vcc
	v_cmp_eq_u32_e32 vcc, 0, v2
	v_mov_b32_e32 v2, 0x7f800001
	v_cndmask_b32_e32 v0, v2, v0, vcc
; %bb.5514:                             ;   in Loop: Header=BB4_5364 Depth=3
	s_or_b64 exec, exec, s[34:35]
.LBB4_5515:                             ;   in Loop: Header=BB4_5364 Depth=3
	s_or_b64 exec, exec, s[30:31]
.LBB4_5516:                             ;   in Loop: Header=BB4_5364 Depth=3
	s_or_b64 exec, exec, s[28:29]
	v_cmp_ne_u16_sdwa vcc, v17, v61 src0_sel:BYTE_0 src1_sel:DWORD
	s_and_saveexec_b64 s[28:29], vcc
	s_cbranch_execz .LBB4_5524
; %bb.5517:                             ;   in Loop: Header=BB4_5364 Depth=3
	v_cmp_ne_u16_sdwa vcc, v17, s81 src0_sel:BYTE_0 src1_sel:DWORD
	v_bfrev_b32_e32 v1, 1
	s_and_saveexec_b64 s[30:31], vcc
	s_cbranch_execz .LBB4_5523
; %bb.5518:                             ;   in Loop: Header=BB4_5364 Depth=3
	v_and_b32_e32 v1, 0x7c, v17
	v_and_b32_e32 v2, 3, v17
	v_cmp_ne_u32_e32 vcc, s71, v1
                                        ; implicit-def: $vgpr1
	s_and_saveexec_b64 s[34:35], vcc
	s_xor_b64 s[34:35], exec, s[34:35]
	s_cbranch_execz .LBB4_5520
; %bb.5519:                             ;   in Loop: Header=BB4_5364 Depth=3
	v_ffbh_u32_e32 v25, v2
	v_min_u32_e32 v25, 32, v25
	v_mov_b32_e32 v34, v17
	v_mov_b32_e32 v35, v61
	v_bfe_u32 v1, v17, 2, 5
	v_subrev_u32_e32 v36, 29, v25
	v_lshlrev_b64 v[34:35], v36, v[34:35]
	v_sub_u32_e32 v25, 30, v25
	v_cmp_eq_u32_e32 vcc, 0, v1
	v_cndmask_b32_e32 v1, v1, v25, vcc
	v_lshlrev_b32_e32 v25, 24, v17
	v_and_b32_e32 v34, 3, v34
	v_and_b32_e32 v25, 0x80000000, v25
	v_cndmask_b32_e32 v2, v2, v34, vcc
	v_lshl_add_u32 v1, v1, 23, v25
	v_lshl_or_b32 v1, v2, 21, v1
	v_add_u32_e32 v1, 0x38000000, v1
                                        ; implicit-def: $vgpr2
.LBB4_5520:                             ;   in Loop: Header=BB4_5364 Depth=3
	s_andn2_saveexec_b64 s[34:35], s[34:35]
; %bb.5521:                             ;   in Loop: Header=BB4_5364 Depth=3
	v_mov_b32_e32 v1, -1
	v_cmp_gt_i16_sdwa vcc, sext(v17), v1 src0_sel:BYTE_0 src1_sel:DWORD
	v_mov_b32_e32 v1, 0xff800000
	v_cndmask_b32_e32 v1, v1, v47, vcc
	v_cmp_eq_u32_e32 vcc, 0, v2
	v_mov_b32_e32 v2, 0x7f800001
	v_cndmask_b32_e32 v1, v2, v1, vcc
; %bb.5522:                             ;   in Loop: Header=BB4_5364 Depth=3
	s_or_b64 exec, exec, s[34:35]
.LBB4_5523:                             ;   in Loop: Header=BB4_5364 Depth=3
	s_or_b64 exec, exec, s[30:31]
.LBB4_5524:                             ;   in Loop: Header=BB4_5364 Depth=3
	s_or_b64 exec, exec, s[28:29]
	v_mul_f32_e32 v2, v0, v1
	v_and_b32_e32 v34, 0x7f800000, v2
	v_mov_b32_e32 v35, v61
	v_cmp_ne_u64_e32 vcc, s[62:63], v[34:35]
	v_and_b32_e32 v0, 0x7fffff, v2
	v_mov_b32_e32 v1, v61
                                        ; implicit-def: $vgpr25
	s_and_saveexec_b64 s[28:29], vcc
	s_xor_b64 s[30:31], exec, s[28:29]
	s_cbranch_execz .LBB4_5538
; %bb.5525:                             ;   in Loop: Header=BB4_5364 Depth=3
	v_and_b32_e32 v34, 0x7fffffff, v2
	v_mov_b32_e32 v35, v61
	v_cmp_gt_u64_e32 vcc, s[78:79], v[34:35]
	v_and_b32_sdwa v34, v2, s81 dst_sel:DWORD dst_unused:UNUSED_PAD src0_sel:BYTE_3 src1_sel:DWORD
                                        ; implicit-def: $vgpr25
	s_and_saveexec_b64 s[28:29], vcc
	s_xor_b64 s[34:35], exec, s[28:29]
	s_cbranch_execz .LBB4_5535
; %bb.5526:                             ;   in Loop: Header=BB4_5364 Depth=3
	v_mov_b32_e32 v25, 0
	v_cmp_ne_u32_e32 vcc, 0, v2
	s_and_saveexec_b64 s[36:37], vcc
	s_cbranch_execz .LBB4_5534
; %bb.5527:                             ;   in Loop: Header=BB4_5364 Depth=3
	v_bfe_u32 v25, v2, 23, 8
	v_cmp_gt_u32_e64 s[28:29], s47, v25
	v_sub_u32_e32 v2, 0x71, v25
	v_cmp_eq_u32_e32 vcc, 0, v25
	v_cndmask_b32_e64 v2, 0, v2, s[28:29]
	v_mov_b32_e32 v35, 0x70
	v_cndmask_b32_e32 v35, v2, v35, vcc
	v_or_b32_e32 v36, 0x800000, v0
	v_add_u32_e32 v2, 21, v35
	v_cndmask_b32_e32 v0, v36, v0, vcc
	v_lshlrev_b64 v[36:37], v2, -1
	v_add_u32_e32 v2, 20, v35
	v_bfi_b32 v36, v36, 0, v0
	v_lshlrev_b64 v[38:39], v2, 1
	v_lshrrev_b64 v[0:1], v35, v[0:1]
	v_bfi_b32 v37, v37, 0, 0
	v_cmp_eq_u64_e64 s[28:29], v[36:37], v[38:39]
	v_mov_b32_e32 v2, v1
	v_mov_b32_e32 v1, v0
	s_and_saveexec_b64 s[38:39], s[28:29]
; %bb.5528:                             ;   in Loop: Header=BB4_5364 Depth=3
	v_bfe_u32 v1, v0, 21, 1
	v_add_co_u32_e64 v1, s[28:29], v0, v1
	v_add_co_u32_e64 v1, s[28:29], -1, v1
; %bb.5529:                             ;   in Loop: Header=BB4_5364 Depth=3
	s_or_b64 exec, exec, s[38:39]
	v_add_u32_e32 v2, 0xffffff81, v25
	v_mov_b32_e32 v25, 0xffffff82
	v_cndmask_b32_e32 v2, v2, v25, vcc
	v_lshrrev_b32_e32 v25, 23, v0
	v_add3_u32 v35, v35, v2, v25
	v_add_u32_e32 v25, 14, v35
	v_and_b32_e32 v1, 0x1fffff, v1
	v_add_u32_e32 v0, v1, v0
	v_mov_b32_e32 v1, v61
	v_cmp_ne_u32_e32 vcc, 0, v25
                                        ; implicit-def: $vgpr2
	s_and_saveexec_b64 s[28:29], vcc
	s_xor_b64 s[28:29], exec, s[28:29]
; %bb.5530:                             ;   in Loop: Header=BB4_5364 Depth=3
	v_cmp_lt_u64_e32 vcc, s[88:89], v[0:1]
	v_add_u32_e32 v2, 15, v35
	v_cndmask_b32_e32 v2, v25, v2, vcc
	v_cndmask_b32_e64 v25, 0, 1, vcc
	v_lshrrev_b64 v[0:1], v25, v[0:1]
; %bb.5531:                             ;   in Loop: Header=BB4_5364 Depth=3
	s_andn2_saveexec_b64 s[28:29], s[28:29]
; %bb.5532:                             ;   in Loop: Header=BB4_5364 Depth=3
	v_bfe_u32 v2, v0, 23, 1
; %bb.5533:                             ;   in Loop: Header=BB4_5364 Depth=3
	s_or_b64 exec, exec, s[28:29]
	v_lshrrev_b64 v[0:1], 21, v[0:1]
	v_cmp_gt_i32_e32 vcc, 32, v2
	v_cndmask_b32_e32 v1, 0, v1, vcc
	v_cndmask_b32_e32 v0, 3, v0, vcc
	v_cmp_eq_u64_e64 s[28:29], 0, v[0:1]
	v_min_i32_e32 v1, 31, v2
	v_lshlrev_b32_e32 v1, 2, v1
	v_cmp_eq_u32_e32 vcc, 0, v2
	v_and_b32_e32 v1, 0xfc, v1
	v_and_or_b32 v0, v0, 3, v1
	s_and_b64 s[28:29], vcc, s[28:29]
	v_cndmask_b32_e64 v0, v0, 0, s[28:29]
	v_or_b32_e32 v25, v0, v34
.LBB4_5534:                             ;   in Loop: Header=BB4_5364 Depth=3
	s_or_b64 exec, exec, s[36:37]
                                        ; implicit-def: $vgpr34
.LBB4_5535:                             ;   in Loop: Header=BB4_5364 Depth=3
	s_andn2_saveexec_b64 s[28:29], s[34:35]
; %bb.5536:                             ;   in Loop: Header=BB4_5364 Depth=3
	v_or_b32_e32 v25, 0x7b, v34
; %bb.5537:                             ;   in Loop: Header=BB4_5364 Depth=3
	s_or_b64 exec, exec, s[28:29]
                                        ; implicit-def: $vgpr2
                                        ; implicit-def: $vgpr0_vgpr1
.LBB4_5538:                             ;   in Loop: Header=BB4_5364 Depth=3
	s_andn2_saveexec_b64 s[28:29], s[30:31]
	s_cbranch_execz .LBB4_5544
; %bb.5539:                             ;   in Loop: Header=BB4_5364 Depth=3
	v_cmp_ne_u64_e32 vcc, 0, v[0:1]
                                        ; implicit-def: $vgpr25
	s_and_saveexec_b64 s[30:31], vcc
	s_xor_b64 vcc, exec, s[30:31]
; %bb.5540:                             ;   in Loop: Header=BB4_5364 Depth=3
	v_or_b32_sdwa v25, v2, s44 dst_sel:DWORD dst_unused:UNUSED_PAD src0_sel:BYTE_3 src1_sel:DWORD
                                        ; implicit-def: $vgpr2
; %bb.5541:                             ;   in Loop: Header=BB4_5364 Depth=3
	s_andn2_saveexec_b64 s[30:31], vcc
; %bb.5542:                             ;   in Loop: Header=BB4_5364 Depth=3
	v_cmp_lt_i32_e32 vcc, -1, v2
	v_bfrev_b32_e32 v0, 0.5
	v_mov_b32_e32 v1, 0x7c
	v_cndmask_b32_e32 v25, v0, v1, vcc
; %bb.5543:                             ;   in Loop: Header=BB4_5364 Depth=3
	s_or_b64 exec, exec, s[30:31]
.LBB4_5544:                             ;   in Loop: Header=BB4_5364 Depth=3
	s_or_b64 exec, exec, s[28:29]
	v_lshrrev_b16_e32 v0, 8, v60
	v_cmp_ne_u16_e32 vcc, 0, v0
	v_mov_b32_e32 v2, 0
	v_mov_b32_e32 v34, 0
	s_and_saveexec_b64 s[28:29], vcc
	s_cbranch_execz .LBB4_5552
; %bb.5545:                             ;   in Loop: Header=BB4_5364 Depth=3
	v_cmp_ne_u16_e32 vcc, s81, v0
	v_bfrev_b32_e32 v34, 1
	s_and_saveexec_b64 s[30:31], vcc
	s_cbranch_execz .LBB4_5551
; %bb.5546:                             ;   in Loop: Header=BB4_5364 Depth=3
	v_and_b32_e32 v1, 0x7c, v0
	v_and_b32_e32 v35, 3, v0
	v_cmp_ne_u32_e32 vcc, s71, v1
                                        ; implicit-def: $vgpr34
	s_and_saveexec_b64 s[34:35], vcc
	s_xor_b64 s[34:35], exec, s[34:35]
	s_cbranch_execz .LBB4_5548
; %bb.5547:                             ;   in Loop: Header=BB4_5364 Depth=3
	v_ffbh_u32_e32 v36, v35
	v_min_u32_e32 v36, 32, v36
	v_mov_b32_e32 v1, v61
	v_subrev_u32_e32 v37, 29, v36
	v_bfe_u32 v34, v0, 2, 5
	v_lshlrev_b64 v[0:1], v37, v[0:1]
	v_sub_u32_e32 v1, 30, v36
	v_cmp_eq_u32_e32 vcc, 0, v34
	v_cndmask_b32_e32 v1, v34, v1, vcc
	v_lshlrev_b32_e32 v34, 16, v60
	v_and_b32_e32 v0, 3, v0
	v_and_b32_e32 v34, 0x80000000, v34
	v_cndmask_b32_e32 v0, v35, v0, vcc
	v_lshl_add_u32 v1, v1, 23, v34
	v_lshl_or_b32 v0, v0, 21, v1
	v_add_u32_e32 v34, 0x38000000, v0
                                        ; implicit-def: $vgpr35
.LBB4_5548:                             ;   in Loop: Header=BB4_5364 Depth=3
	s_andn2_saveexec_b64 s[34:35], s[34:35]
; %bb.5549:                             ;   in Loop: Header=BB4_5364 Depth=3
	v_cmp_lt_i16_e32 vcc, -1, v60
	v_mov_b32_e32 v0, 0xff800000
	v_cndmask_b32_e32 v0, v0, v47, vcc
	v_cmp_eq_u32_e32 vcc, 0, v35
	v_mov_b32_e32 v1, 0x7f800001
	v_cndmask_b32_e32 v34, v1, v0, vcc
; %bb.5550:                             ;   in Loop: Header=BB4_5364 Depth=3
	s_or_b64 exec, exec, s[34:35]
.LBB4_5551:                             ;   in Loop: Header=BB4_5364 Depth=3
	s_or_b64 exec, exec, s[30:31]
.LBB4_5552:                             ;   in Loop: Header=BB4_5364 Depth=3
	s_or_b64 exec, exec, s[28:29]
	v_lshrrev_b16_e32 v0, 8, v17
	v_cmp_ne_u16_e32 vcc, 0, v0
	s_and_saveexec_b64 s[28:29], vcc
	s_cbranch_execz .LBB4_5560
; %bb.5553:                             ;   in Loop: Header=BB4_5364 Depth=3
	v_cmp_ne_u16_e32 vcc, s81, v0
	v_bfrev_b32_e32 v2, 1
	s_and_saveexec_b64 s[30:31], vcc
	s_cbranch_execz .LBB4_5559
; %bb.5554:                             ;   in Loop: Header=BB4_5364 Depth=3
	v_and_b32_e32 v1, 0x7c, v0
	v_and_b32_e32 v35, 3, v0
	v_cmp_ne_u32_e32 vcc, s71, v1
                                        ; implicit-def: $vgpr2
	s_and_saveexec_b64 s[34:35], vcc
	s_xor_b64 s[34:35], exec, s[34:35]
	s_cbranch_execz .LBB4_5556
; %bb.5555:                             ;   in Loop: Header=BB4_5364 Depth=3
	v_ffbh_u32_e32 v36, v35
	v_min_u32_e32 v36, 32, v36
	v_mov_b32_e32 v1, v61
	v_subrev_u32_e32 v37, 29, v36
	v_bfe_u32 v2, v0, 2, 5
	v_lshlrev_b64 v[0:1], v37, v[0:1]
	v_sub_u32_e32 v1, 30, v36
	v_cmp_eq_u32_e32 vcc, 0, v2
	v_cndmask_b32_e32 v1, v2, v1, vcc
	v_lshlrev_b32_e32 v2, 16, v17
	v_and_b32_e32 v0, 3, v0
	v_and_b32_e32 v2, 0x80000000, v2
	v_cndmask_b32_e32 v0, v35, v0, vcc
	v_lshl_add_u32 v1, v1, 23, v2
	v_lshl_or_b32 v0, v0, 21, v1
	v_add_u32_e32 v2, 0x38000000, v0
                                        ; implicit-def: $vgpr35
.LBB4_5556:                             ;   in Loop: Header=BB4_5364 Depth=3
	s_andn2_saveexec_b64 s[34:35], s[34:35]
; %bb.5557:                             ;   in Loop: Header=BB4_5364 Depth=3
	v_cmp_lt_i16_e32 vcc, -1, v17
	v_mov_b32_e32 v0, 0xff800000
	v_cndmask_b32_e32 v0, v0, v47, vcc
	v_cmp_eq_u32_e32 vcc, 0, v35
	v_mov_b32_e32 v1, 0x7f800001
	v_cndmask_b32_e32 v2, v1, v0, vcc
; %bb.5558:                             ;   in Loop: Header=BB4_5364 Depth=3
	s_or_b64 exec, exec, s[34:35]
.LBB4_5559:                             ;   in Loop: Header=BB4_5364 Depth=3
	s_or_b64 exec, exec, s[30:31]
.LBB4_5560:                             ;   in Loop: Header=BB4_5364 Depth=3
	s_or_b64 exec, exec, s[28:29]
	v_mul_f32_e32 v0, v34, v2
	v_and_b32_e32 v1, 0x7f800000, v0
	v_mov_b32_e32 v2, v61
	v_cmp_ne_u64_e32 vcc, s[62:63], v[1:2]
	v_and_b32_e32 v60, 0x7fffff, v0
                                        ; implicit-def: $vgpr34
	s_and_saveexec_b64 s[28:29], vcc
	s_xor_b64 s[30:31], exec, s[28:29]
	s_cbranch_execz .LBB4_5574
; %bb.5561:                             ;   in Loop: Header=BB4_5364 Depth=3
	v_and_b32_e32 v1, 0x7fffffff, v0
	v_mov_b32_e32 v2, v61
	v_cmp_gt_u64_e32 vcc, s[78:79], v[1:2]
	v_and_b32_sdwa v35, v0, s81 dst_sel:DWORD dst_unused:UNUSED_PAD src0_sel:BYTE_3 src1_sel:DWORD
                                        ; implicit-def: $vgpr34
	s_and_saveexec_b64 s[28:29], vcc
	s_xor_b64 s[34:35], exec, s[28:29]
	s_cbranch_execz .LBB4_5571
; %bb.5562:                             ;   in Loop: Header=BB4_5364 Depth=3
	v_mov_b32_e32 v34, 0
	v_cmp_ne_u32_e32 vcc, 0, v0
	s_and_saveexec_b64 s[36:37], vcc
	s_cbranch_execz .LBB4_5570
; %bb.5563:                             ;   in Loop: Header=BB4_5364 Depth=3
	v_bfe_u32 v34, v0, 23, 8
	v_cmp_gt_u32_e64 s[28:29], s47, v34
	v_sub_u32_e32 v0, 0x71, v34
	v_cmp_eq_u32_e32 vcc, 0, v34
	v_cndmask_b32_e64 v0, 0, v0, s[28:29]
	v_mov_b32_e32 v2, 0x70
	v_cndmask_b32_e32 v36, v0, v2, vcc
	v_add_u32_e32 v2, 21, v36
	v_or_b32_e32 v1, 0x800000, v60
	v_lshlrev_b64 v[37:38], v2, -1
	v_cndmask_b32_e32 v0, v1, v60, vcc
	v_mov_b32_e32 v1, v61
	v_add_u32_e32 v2, 20, v36
	v_bfi_b32 v37, v37, 0, v0
	v_lshlrev_b64 v[50:51], v2, 1
	v_lshrrev_b64 v[0:1], v36, v[0:1]
	v_bfi_b32 v38, v38, 0, 0
	v_cmp_eq_u64_e64 s[28:29], v[37:38], v[50:51]
	v_mov_b32_e32 v2, v1
	v_mov_b32_e32 v1, v0
	s_and_saveexec_b64 s[38:39], s[28:29]
; %bb.5564:                             ;   in Loop: Header=BB4_5364 Depth=3
	v_bfe_u32 v1, v0, 21, 1
	v_add_co_u32_e64 v1, s[28:29], v0, v1
	v_add_co_u32_e64 v1, s[28:29], -1, v1
; %bb.5565:                             ;   in Loop: Header=BB4_5364 Depth=3
	s_or_b64 exec, exec, s[38:39]
	v_add_u32_e32 v2, 0xffffff81, v34
	v_mov_b32_e32 v34, 0xffffff82
	v_cndmask_b32_e32 v2, v2, v34, vcc
	v_lshrrev_b32_e32 v34, 23, v0
	v_add3_u32 v36, v36, v2, v34
	v_add_u32_e32 v34, 14, v36
	v_and_b32_e32 v1, 0x1fffff, v1
	v_add_u32_e32 v60, v1, v0
	v_cmp_ne_u32_e32 vcc, 0, v34
                                        ; implicit-def: $vgpr0_vgpr1
                                        ; implicit-def: $vgpr2
	s_and_saveexec_b64 s[28:29], vcc
	s_xor_b64 s[28:29], exec, s[28:29]
; %bb.5566:                             ;   in Loop: Header=BB4_5364 Depth=3
	v_cmp_lt_u64_e32 vcc, s[88:89], v[60:61]
	v_add_u32_e32 v0, 15, v36
	v_cndmask_b32_e32 v2, v34, v0, vcc
	v_cndmask_b32_e64 v0, 0, 1, vcc
	v_lshrrev_b64 v[0:1], v0, v[60:61]
; %bb.5567:                             ;   in Loop: Header=BB4_5364 Depth=3
	s_andn2_saveexec_b64 s[28:29], s[28:29]
; %bb.5568:                             ;   in Loop: Header=BB4_5364 Depth=3
	v_mov_b32_e32 v0, v60
	v_mov_b32_e32 v1, v61
	v_bfe_u32 v2, v60, 23, 1
; %bb.5569:                             ;   in Loop: Header=BB4_5364 Depth=3
	s_or_b64 exec, exec, s[28:29]
	v_lshrrev_b64 v[0:1], 21, v[0:1]
	v_cmp_gt_i32_e32 vcc, 32, v2
	v_cndmask_b32_e32 v1, 0, v1, vcc
	v_cndmask_b32_e32 v0, 3, v0, vcc
	v_cmp_eq_u64_e64 s[28:29], 0, v[0:1]
	v_min_i32_e32 v1, 31, v2
	v_lshlrev_b32_e32 v1, 2, v1
	v_cmp_eq_u32_e32 vcc, 0, v2
	v_and_b32_e32 v1, 0xfc, v1
	v_and_or_b32 v0, v0, 3, v1
	s_and_b64 s[28:29], vcc, s[28:29]
	v_cndmask_b32_e64 v0, v0, 0, s[28:29]
	v_or_b32_e32 v34, v0, v35
.LBB4_5570:                             ;   in Loop: Header=BB4_5364 Depth=3
	s_or_b64 exec, exec, s[36:37]
                                        ; implicit-def: $vgpr35
.LBB4_5571:                             ;   in Loop: Header=BB4_5364 Depth=3
	s_andn2_saveexec_b64 s[28:29], s[34:35]
; %bb.5572:                             ;   in Loop: Header=BB4_5364 Depth=3
	v_or_b32_e32 v34, 0x7b, v35
; %bb.5573:                             ;   in Loop: Header=BB4_5364 Depth=3
	s_or_b64 exec, exec, s[28:29]
                                        ; implicit-def: $vgpr0
.LBB4_5574:                             ;   in Loop: Header=BB4_5364 Depth=3
	s_andn2_saveexec_b64 s[28:29], s[30:31]
	s_cbranch_execz .LBB4_5580
; %bb.5575:                             ;   in Loop: Header=BB4_5364 Depth=3
	v_cmp_ne_u64_e32 vcc, 0, v[60:61]
                                        ; implicit-def: $vgpr34
	s_and_saveexec_b64 s[30:31], vcc
	s_xor_b64 vcc, exec, s[30:31]
; %bb.5576:                             ;   in Loop: Header=BB4_5364 Depth=3
	v_or_b32_sdwa v34, v0, s44 dst_sel:DWORD dst_unused:UNUSED_PAD src0_sel:BYTE_3 src1_sel:DWORD
                                        ; implicit-def: $vgpr0
; %bb.5577:                             ;   in Loop: Header=BB4_5364 Depth=3
	s_andn2_saveexec_b64 s[30:31], vcc
; %bb.5578:                             ;   in Loop: Header=BB4_5364 Depth=3
	v_cmp_lt_i32_e32 vcc, -1, v0
	v_bfrev_b32_e32 v0, 0.5
	v_mov_b32_e32 v1, 0x7c
	v_cndmask_b32_e32 v34, v0, v1, vcc
; %bb.5579:                             ;   in Loop: Header=BB4_5364 Depth=3
	s_or_b64 exec, exec, s[30:31]
.LBB4_5580:                             ;   in Loop: Header=BB4_5364 Depth=3
	s_or_b64 exec, exec, s[28:29]
	v_lshrrev_b32_e32 v0, 16, v21
	v_cmp_ne_u16_sdwa vcc, v0, v61 src0_sel:BYTE_0 src1_sel:DWORD
	v_mov_b32_e32 v1, 0
	v_mov_b32_e32 v2, 0
	s_and_saveexec_b64 s[28:29], vcc
	s_cbranch_execz .LBB4_5588
; %bb.5581:                             ;   in Loop: Header=BB4_5364 Depth=3
	v_cmp_ne_u16_sdwa vcc, v0, s81 src0_sel:BYTE_0 src1_sel:DWORD
	v_bfrev_b32_e32 v2, 1
	s_and_saveexec_b64 s[30:31], vcc
	s_cbranch_execz .LBB4_5587
; %bb.5582:                             ;   in Loop: Header=BB4_5364 Depth=3
	v_and_b32_e32 v2, 0x7c0000, v21
	v_bfe_u32 v35, v21, 16, 2
	v_cmp_ne_u32_e32 vcc, s45, v2
                                        ; implicit-def: $vgpr2
	s_and_saveexec_b64 s[34:35], vcc
	s_xor_b64 s[34:35], exec, s[34:35]
	s_cbranch_execz .LBB4_5584
; %bb.5583:                             ;   in Loop: Header=BB4_5364 Depth=3
	v_ffbh_u32_e32 v36, v35
	v_min_u32_e32 v38, 32, v36
	v_subrev_u32_e32 v36, 29, v38
	v_lshlrev_b64 v[36:37], v36, v[0:1]
	v_bfe_u32 v2, v21, 18, 5
	v_sub_u32_e32 v0, 30, v38
	v_and_b32_e32 v36, 3, v36
	v_cmp_eq_u32_e32 vcc, 0, v2
	v_cndmask_b32_e32 v0, v2, v0, vcc
	v_cndmask_b32_e32 v2, v35, v36, vcc
	v_lshlrev_b32_e32 v35, 8, v21
	v_and_b32_e32 v35, 0x80000000, v35
	v_lshl_add_u32 v0, v0, 23, v35
	v_lshl_or_b32 v0, v2, 21, v0
	v_add_u32_e32 v2, 0x38000000, v0
                                        ; implicit-def: $vgpr35
                                        ; implicit-def: $vgpr0
.LBB4_5584:                             ;   in Loop: Header=BB4_5364 Depth=3
	s_andn2_saveexec_b64 s[34:35], s[34:35]
; %bb.5585:                             ;   in Loop: Header=BB4_5364 Depth=3
	v_mov_b32_e32 v2, -1
	v_cmp_gt_i16_sdwa vcc, sext(v0), v2 src0_sel:BYTE_0 src1_sel:DWORD
	v_mov_b32_e32 v0, 0xff800000
	v_cndmask_b32_e32 v0, v0, v47, vcc
	v_cmp_eq_u32_e32 vcc, 0, v35
	v_mov_b32_e32 v2, 0x7f800001
	v_cndmask_b32_e32 v2, v2, v0, vcc
; %bb.5586:                             ;   in Loop: Header=BB4_5364 Depth=3
	s_or_b64 exec, exec, s[34:35]
.LBB4_5587:                             ;   in Loop: Header=BB4_5364 Depth=3
	s_or_b64 exec, exec, s[30:31]
.LBB4_5588:                             ;   in Loop: Header=BB4_5364 Depth=3
	s_or_b64 exec, exec, s[28:29]
	v_lshrrev_b32_e32 v0, 16, v17
	v_cmp_ne_u16_sdwa vcc, v0, v61 src0_sel:BYTE_0 src1_sel:DWORD
	s_and_saveexec_b64 s[28:29], vcc
	s_cbranch_execz .LBB4_5596
; %bb.5589:                             ;   in Loop: Header=BB4_5364 Depth=3
	v_cmp_ne_u16_sdwa vcc, v0, s81 src0_sel:BYTE_0 src1_sel:DWORD
	v_bfrev_b32_e32 v1, 1
	s_and_saveexec_b64 s[30:31], vcc
	s_cbranch_execz .LBB4_5595
; %bb.5590:                             ;   in Loop: Header=BB4_5364 Depth=3
	v_and_b32_e32 v1, 0x7c0000, v17
	v_bfe_u32 v35, v17, 16, 2
	v_cmp_ne_u32_e32 vcc, s45, v1
                                        ; implicit-def: $vgpr1
	s_and_saveexec_b64 s[34:35], vcc
	s_xor_b64 s[34:35], exec, s[34:35]
	s_cbranch_execz .LBB4_5592
; %bb.5591:                             ;   in Loop: Header=BB4_5364 Depth=3
	v_ffbh_u32_e32 v1, v35
	v_min_u32_e32 v37, 32, v1
	v_subrev_u32_e32 v1, 29, v37
	v_lshlrev_b64 v[0:1], v1, v[0:1]
	v_bfe_u32 v36, v17, 18, 5
	v_and_b32_e32 v0, 3, v0
	v_cmp_eq_u32_e32 vcc, 0, v36
	v_sub_u32_e32 v1, 30, v37
	v_cndmask_b32_e32 v0, v35, v0, vcc
	v_lshlrev_b32_e32 v35, 8, v17
	v_cndmask_b32_e32 v1, v36, v1, vcc
	v_and_b32_e32 v35, 0x80000000, v35
	v_lshl_add_u32 v1, v1, 23, v35
	v_lshl_or_b32 v0, v0, 21, v1
	v_add_u32_e32 v1, 0x38000000, v0
                                        ; implicit-def: $vgpr35
                                        ; implicit-def: $vgpr0
.LBB4_5592:                             ;   in Loop: Header=BB4_5364 Depth=3
	s_andn2_saveexec_b64 s[34:35], s[34:35]
; %bb.5593:                             ;   in Loop: Header=BB4_5364 Depth=3
	v_mov_b32_e32 v1, -1
	v_cmp_gt_i16_sdwa vcc, sext(v0), v1 src0_sel:BYTE_0 src1_sel:DWORD
	v_mov_b32_e32 v0, 0xff800000
	v_cndmask_b32_e32 v0, v0, v47, vcc
	v_cmp_eq_u32_e32 vcc, 0, v35
	v_mov_b32_e32 v1, 0x7f800001
	v_cndmask_b32_e32 v1, v1, v0, vcc
; %bb.5594:                             ;   in Loop: Header=BB4_5364 Depth=3
	s_or_b64 exec, exec, s[34:35]
.LBB4_5595:                             ;   in Loop: Header=BB4_5364 Depth=3
	s_or_b64 exec, exec, s[30:31]
.LBB4_5596:                             ;   in Loop: Header=BB4_5364 Depth=3
	s_or_b64 exec, exec, s[28:29]
	v_mul_f32_e32 v0, v2, v1
	v_and_b32_e32 v1, 0x7f800000, v0
	v_mov_b32_e32 v2, v61
	v_cmp_ne_u64_e32 vcc, s[62:63], v[1:2]
	v_and_b32_e32 v60, 0x7fffff, v0
                                        ; implicit-def: $vgpr35
	s_and_saveexec_b64 s[28:29], vcc
	s_xor_b64 s[30:31], exec, s[28:29]
	s_cbranch_execz .LBB4_5610
; %bb.5597:                             ;   in Loop: Header=BB4_5364 Depth=3
	v_and_b32_e32 v1, 0x7fffffff, v0
	v_mov_b32_e32 v2, v61
	v_cmp_gt_u64_e32 vcc, s[78:79], v[1:2]
	v_and_b32_sdwa v36, v0, s81 dst_sel:DWORD dst_unused:UNUSED_PAD src0_sel:BYTE_3 src1_sel:DWORD
                                        ; implicit-def: $vgpr35
	s_and_saveexec_b64 s[28:29], vcc
	s_xor_b64 s[34:35], exec, s[28:29]
	s_cbranch_execz .LBB4_5607
; %bb.5598:                             ;   in Loop: Header=BB4_5364 Depth=3
	v_mov_b32_e32 v35, 0
	v_cmp_ne_u32_e32 vcc, 0, v0
	s_and_saveexec_b64 s[36:37], vcc
	s_cbranch_execz .LBB4_5606
; %bb.5599:                             ;   in Loop: Header=BB4_5364 Depth=3
	v_bfe_u32 v35, v0, 23, 8
	v_cmp_gt_u32_e64 s[28:29], s47, v35
	v_sub_u32_e32 v0, 0x71, v35
	v_cmp_eq_u32_e32 vcc, 0, v35
	v_cndmask_b32_e64 v0, 0, v0, s[28:29]
	v_mov_b32_e32 v2, 0x70
	v_cndmask_b32_e32 v37, v0, v2, vcc
	v_add_u32_e32 v2, 21, v37
	v_or_b32_e32 v1, 0x800000, v60
	v_lshlrev_b64 v[38:39], v2, -1
	v_cndmask_b32_e32 v0, v1, v60, vcc
	v_mov_b32_e32 v1, v61
	v_add_u32_e32 v2, 20, v37
	v_bfi_b32 v38, v38, 0, v0
	v_lshlrev_b64 v[50:51], v2, 1
	v_lshrrev_b64 v[0:1], v37, v[0:1]
	v_bfi_b32 v39, v39, 0, 0
	v_cmp_eq_u64_e64 s[28:29], v[38:39], v[50:51]
	v_mov_b32_e32 v2, v1
	v_mov_b32_e32 v1, v0
	s_and_saveexec_b64 s[38:39], s[28:29]
; %bb.5600:                             ;   in Loop: Header=BB4_5364 Depth=3
	v_bfe_u32 v1, v0, 21, 1
	v_add_co_u32_e64 v1, s[28:29], v0, v1
	v_add_co_u32_e64 v1, s[28:29], -1, v1
; %bb.5601:                             ;   in Loop: Header=BB4_5364 Depth=3
	s_or_b64 exec, exec, s[38:39]
	v_add_u32_e32 v2, 0xffffff81, v35
	v_mov_b32_e32 v35, 0xffffff82
	v_cndmask_b32_e32 v2, v2, v35, vcc
	v_lshrrev_b32_e32 v35, 23, v0
	v_add3_u32 v37, v37, v2, v35
	v_add_u32_e32 v35, 14, v37
	v_and_b32_e32 v1, 0x1fffff, v1
	v_add_u32_e32 v60, v1, v0
	v_cmp_ne_u32_e32 vcc, 0, v35
                                        ; implicit-def: $vgpr0_vgpr1
                                        ; implicit-def: $vgpr2
	s_and_saveexec_b64 s[28:29], vcc
	s_xor_b64 s[28:29], exec, s[28:29]
; %bb.5602:                             ;   in Loop: Header=BB4_5364 Depth=3
	v_cmp_lt_u64_e32 vcc, s[88:89], v[60:61]
	v_add_u32_e32 v0, 15, v37
	v_cndmask_b32_e32 v2, v35, v0, vcc
	v_cndmask_b32_e64 v0, 0, 1, vcc
	v_lshrrev_b64 v[0:1], v0, v[60:61]
; %bb.5603:                             ;   in Loop: Header=BB4_5364 Depth=3
	s_andn2_saveexec_b64 s[28:29], s[28:29]
; %bb.5604:                             ;   in Loop: Header=BB4_5364 Depth=3
	v_mov_b32_e32 v0, v60
	v_mov_b32_e32 v1, v61
	v_bfe_u32 v2, v60, 23, 1
; %bb.5605:                             ;   in Loop: Header=BB4_5364 Depth=3
	s_or_b64 exec, exec, s[28:29]
	v_lshrrev_b64 v[0:1], 21, v[0:1]
	v_cmp_gt_i32_e32 vcc, 32, v2
	v_cndmask_b32_e32 v1, 0, v1, vcc
	v_cndmask_b32_e32 v0, 3, v0, vcc
	v_cmp_eq_u64_e64 s[28:29], 0, v[0:1]
	v_min_i32_e32 v1, 31, v2
	v_lshlrev_b32_e32 v1, 2, v1
	v_cmp_eq_u32_e32 vcc, 0, v2
	v_and_b32_e32 v1, 0xfc, v1
	v_and_or_b32 v0, v0, 3, v1
	s_and_b64 s[28:29], vcc, s[28:29]
	v_cndmask_b32_e64 v0, v0, 0, s[28:29]
	v_or_b32_e32 v35, v0, v36
.LBB4_5606:                             ;   in Loop: Header=BB4_5364 Depth=3
	s_or_b64 exec, exec, s[36:37]
                                        ; implicit-def: $vgpr36
.LBB4_5607:                             ;   in Loop: Header=BB4_5364 Depth=3
	s_andn2_saveexec_b64 s[28:29], s[34:35]
; %bb.5608:                             ;   in Loop: Header=BB4_5364 Depth=3
	v_or_b32_e32 v35, 0x7b, v36
; %bb.5609:                             ;   in Loop: Header=BB4_5364 Depth=3
	s_or_b64 exec, exec, s[28:29]
                                        ; implicit-def: $vgpr0
.LBB4_5610:                             ;   in Loop: Header=BB4_5364 Depth=3
	s_andn2_saveexec_b64 s[28:29], s[30:31]
	s_cbranch_execz .LBB4_5616
; %bb.5611:                             ;   in Loop: Header=BB4_5364 Depth=3
	v_cmp_ne_u64_e32 vcc, 0, v[60:61]
                                        ; implicit-def: $vgpr35
	s_and_saveexec_b64 s[30:31], vcc
	s_xor_b64 vcc, exec, s[30:31]
; %bb.5612:                             ;   in Loop: Header=BB4_5364 Depth=3
	v_or_b32_sdwa v35, v0, s44 dst_sel:DWORD dst_unused:UNUSED_PAD src0_sel:BYTE_3 src1_sel:DWORD
                                        ; implicit-def: $vgpr0
; %bb.5613:                             ;   in Loop: Header=BB4_5364 Depth=3
	s_andn2_saveexec_b64 s[30:31], vcc
; %bb.5614:                             ;   in Loop: Header=BB4_5364 Depth=3
	v_cmp_lt_i32_e32 vcc, -1, v0
	v_bfrev_b32_e32 v0, 0.5
	v_mov_b32_e32 v1, 0x7c
	v_cndmask_b32_e32 v35, v0, v1, vcc
; %bb.5615:                             ;   in Loop: Header=BB4_5364 Depth=3
	s_or_b64 exec, exec, s[30:31]
.LBB4_5616:                             ;   in Loop: Header=BB4_5364 Depth=3
	s_or_b64 exec, exec, s[28:29]
	v_cmp_lt_u64_e32 vcc, s[56:57], v[20:21]
	v_mov_b32_e32 v1, 0
	v_mov_b32_e32 v2, 0
	s_and_saveexec_b64 s[28:29], vcc
	s_cbranch_execz .LBB4_5624
; %bb.5617:                             ;   in Loop: Header=BB4_5364 Depth=3
	v_lshrrev_b32_e32 v0, 24, v21
	v_cmp_ne_u32_e32 vcc, s81, v0
	v_bfrev_b32_e32 v2, 1
	s_and_saveexec_b64 s[30:31], vcc
	s_cbranch_execz .LBB4_5623
; %bb.5618:                             ;   in Loop: Header=BB4_5364 Depth=3
	v_and_b32_e32 v2, 0x7c000000, v21
	v_bfe_u32 v36, v21, 24, 2
	v_cmp_ne_u32_e32 vcc, s82, v2
                                        ; implicit-def: $vgpr2
	s_and_saveexec_b64 s[34:35], vcc
	s_xor_b64 s[34:35], exec, s[34:35]
	s_cbranch_execz .LBB4_5620
; %bb.5619:                             ;   in Loop: Header=BB4_5364 Depth=3
	v_ffbh_u32_e32 v37, v36
	v_min_u32_e32 v39, 32, v37
	v_subrev_u32_e32 v37, 29, v39
	v_lshlrev_b64 v[37:38], v37, v[0:1]
	v_bfe_u32 v2, v21, 26, 5
	v_sub_u32_e32 v0, 30, v39
	v_and_b32_e32 v37, 3, v37
	v_cmp_eq_u32_e32 vcc, 0, v2
	v_cndmask_b32_e32 v0, v2, v0, vcc
	v_cndmask_b32_e32 v2, v36, v37, vcc
	v_and_b32_e32 v36, 0x80000000, v21
	v_lshl_add_u32 v0, v0, 23, v36
	v_lshl_or_b32 v0, v2, 21, v0
	v_add_u32_e32 v2, 0x38000000, v0
                                        ; implicit-def: $vgpr36
.LBB4_5620:                             ;   in Loop: Header=BB4_5364 Depth=3
	s_andn2_saveexec_b64 s[34:35], s[34:35]
; %bb.5621:                             ;   in Loop: Header=BB4_5364 Depth=3
	v_cmp_lt_i64_e32 vcc, -1, v[20:21]
	v_mov_b32_e32 v0, 0xff800000
	v_cndmask_b32_e32 v0, v0, v47, vcc
	v_cmp_eq_u32_e32 vcc, 0, v36
	v_mov_b32_e32 v2, 0x7f800001
	v_cndmask_b32_e32 v2, v2, v0, vcc
; %bb.5622:                             ;   in Loop: Header=BB4_5364 Depth=3
	s_or_b64 exec, exec, s[34:35]
.LBB4_5623:                             ;   in Loop: Header=BB4_5364 Depth=3
	s_or_b64 exec, exec, s[30:31]
.LBB4_5624:                             ;   in Loop: Header=BB4_5364 Depth=3
	s_or_b64 exec, exec, s[28:29]
	v_cmp_lt_u64_e32 vcc, s[56:57], v[16:17]
	s_and_saveexec_b64 s[28:29], vcc
	s_cbranch_execz .LBB4_5632
; %bb.5625:                             ;   in Loop: Header=BB4_5364 Depth=3
	v_lshrrev_b32_e32 v0, 24, v17
	v_cmp_ne_u32_e32 vcc, s81, v0
	v_bfrev_b32_e32 v1, 1
	s_and_saveexec_b64 s[30:31], vcc
	s_cbranch_execz .LBB4_5631
; %bb.5626:                             ;   in Loop: Header=BB4_5364 Depth=3
	v_and_b32_e32 v1, 0x7c000000, v17
	v_bfe_u32 v20, v17, 24, 2
	v_cmp_ne_u32_e32 vcc, s82, v1
                                        ; implicit-def: $vgpr1
	s_and_saveexec_b64 s[34:35], vcc
	s_xor_b64 s[34:35], exec, s[34:35]
	s_cbranch_execz .LBB4_5628
; %bb.5627:                             ;   in Loop: Header=BB4_5364 Depth=3
	v_ffbh_u32_e32 v1, v20
	v_min_u32_e32 v36, 32, v1
	v_subrev_u32_e32 v1, 29, v36
	v_lshlrev_b64 v[0:1], v1, v[0:1]
	v_bfe_u32 v21, v17, 26, 5
	v_sub_u32_e32 v1, 30, v36
	v_and_b32_e32 v0, 3, v0
	v_cmp_eq_u32_e32 vcc, 0, v21
	v_cndmask_b32_e32 v1, v21, v1, vcc
	v_cndmask_b32_e32 v0, v20, v0, vcc
	v_and_b32_e32 v20, 0x80000000, v17
	v_lshl_add_u32 v1, v1, 23, v20
	v_lshl_or_b32 v0, v0, 21, v1
	v_add_u32_e32 v1, 0x38000000, v0
                                        ; implicit-def: $vgpr20
.LBB4_5628:                             ;   in Loop: Header=BB4_5364 Depth=3
	s_andn2_saveexec_b64 s[34:35], s[34:35]
; %bb.5629:                             ;   in Loop: Header=BB4_5364 Depth=3
	v_cmp_lt_i64_e32 vcc, -1, v[16:17]
	v_mov_b32_e32 v0, 0xff800000
	v_cndmask_b32_e32 v0, v0, v47, vcc
	v_cmp_eq_u32_e32 vcc, 0, v20
	v_mov_b32_e32 v1, 0x7f800001
	v_cndmask_b32_e32 v1, v1, v0, vcc
; %bb.5630:                             ;   in Loop: Header=BB4_5364 Depth=3
	s_or_b64 exec, exec, s[34:35]
.LBB4_5631:                             ;   in Loop: Header=BB4_5364 Depth=3
	s_or_b64 exec, exec, s[30:31]
.LBB4_5632:                             ;   in Loop: Header=BB4_5364 Depth=3
	s_or_b64 exec, exec, s[28:29]
	v_mul_f32_e32 v0, v2, v1
	v_and_b32_e32 v1, 0x7f800000, v0
	v_mov_b32_e32 v2, v61
	v_cmp_ne_u64_e32 vcc, s[62:63], v[1:2]
	v_and_b32_e32 v60, 0x7fffff, v0
                                        ; implicit-def: $vgpr16
	s_and_saveexec_b64 s[28:29], vcc
	s_xor_b64 s[30:31], exec, s[28:29]
	s_cbranch_execz .LBB4_5646
; %bb.5633:                             ;   in Loop: Header=BB4_5364 Depth=3
	v_and_b32_e32 v1, 0x7fffffff, v0
	v_mov_b32_e32 v2, v61
	v_cmp_gt_u64_e32 vcc, s[78:79], v[1:2]
	v_and_b32_sdwa v17, v0, s81 dst_sel:DWORD dst_unused:UNUSED_PAD src0_sel:BYTE_3 src1_sel:DWORD
                                        ; implicit-def: $vgpr16
	s_and_saveexec_b64 s[28:29], vcc
	s_xor_b64 s[34:35], exec, s[28:29]
	s_cbranch_execz .LBB4_5643
; %bb.5634:                             ;   in Loop: Header=BB4_5364 Depth=3
	v_mov_b32_e32 v16, 0
	v_cmp_ne_u32_e32 vcc, 0, v0
	s_and_saveexec_b64 s[36:37], vcc
	s_cbranch_execz .LBB4_5642
; %bb.5635:                             ;   in Loop: Header=BB4_5364 Depth=3
	v_bfe_u32 v16, v0, 23, 8
	v_cmp_gt_u32_e64 s[28:29], s47, v16
	v_sub_u32_e32 v0, 0x71, v16
	v_cmp_eq_u32_e32 vcc, 0, v16
	v_cndmask_b32_e64 v0, 0, v0, s[28:29]
	v_mov_b32_e32 v2, 0x70
	v_cndmask_b32_e32 v20, v0, v2, vcc
	v_add_u32_e32 v2, 21, v20
	v_or_b32_e32 v1, 0x800000, v60
	v_lshlrev_b64 v[36:37], v2, -1
	v_cndmask_b32_e32 v0, v1, v60, vcc
	v_mov_b32_e32 v1, v61
	v_add_u32_e32 v2, 20, v20
	v_bfi_b32 v36, v36, 0, v0
	v_lshlrev_b64 v[38:39], v2, 1
	v_lshrrev_b64 v[0:1], v20, v[0:1]
	v_bfi_b32 v37, v37, 0, 0
	v_cmp_eq_u64_e64 s[28:29], v[36:37], v[38:39]
	v_mov_b32_e32 v2, v1
	v_mov_b32_e32 v1, v0
	s_and_saveexec_b64 s[38:39], s[28:29]
; %bb.5636:                             ;   in Loop: Header=BB4_5364 Depth=3
	v_bfe_u32 v1, v0, 21, 1
	v_add_co_u32_e64 v1, s[28:29], v0, v1
	v_add_co_u32_e64 v1, s[28:29], -1, v1
; %bb.5637:                             ;   in Loop: Header=BB4_5364 Depth=3
	s_or_b64 exec, exec, s[38:39]
	v_add_u32_e32 v2, 0xffffff81, v16
	v_mov_b32_e32 v16, 0xffffff82
	v_cndmask_b32_e32 v2, v2, v16, vcc
	v_lshrrev_b32_e32 v16, 23, v0
	v_add3_u32 v20, v20, v2, v16
	v_add_u32_e32 v16, 14, v20
	v_and_b32_e32 v1, 0x1fffff, v1
	v_add_u32_e32 v60, v1, v0
	v_cmp_ne_u32_e32 vcc, 0, v16
                                        ; implicit-def: $vgpr0_vgpr1
                                        ; implicit-def: $vgpr2
	s_and_saveexec_b64 s[28:29], vcc
	s_xor_b64 s[28:29], exec, s[28:29]
; %bb.5638:                             ;   in Loop: Header=BB4_5364 Depth=3
	v_cmp_lt_u64_e32 vcc, s[88:89], v[60:61]
	v_add_u32_e32 v0, 15, v20
	v_cndmask_b32_e32 v2, v16, v0, vcc
	v_cndmask_b32_e64 v0, 0, 1, vcc
	v_lshrrev_b64 v[0:1], v0, v[60:61]
; %bb.5639:                             ;   in Loop: Header=BB4_5364 Depth=3
	s_andn2_saveexec_b64 s[28:29], s[28:29]
; %bb.5640:                             ;   in Loop: Header=BB4_5364 Depth=3
	v_mov_b32_e32 v0, v60
	v_mov_b32_e32 v1, v61
	v_bfe_u32 v2, v60, 23, 1
; %bb.5641:                             ;   in Loop: Header=BB4_5364 Depth=3
	s_or_b64 exec, exec, s[28:29]
	v_lshrrev_b64 v[0:1], 21, v[0:1]
	v_cmp_gt_i32_e32 vcc, 32, v2
	v_cndmask_b32_e32 v1, 0, v1, vcc
	v_cndmask_b32_e32 v0, 3, v0, vcc
	v_cmp_eq_u64_e64 s[28:29], 0, v[0:1]
	v_min_i32_e32 v1, 31, v2
	v_lshlrev_b32_e32 v1, 2, v1
	v_cmp_eq_u32_e32 vcc, 0, v2
	v_and_b32_e32 v1, 0xfc, v1
	v_and_or_b32 v0, v0, 3, v1
	s_and_b64 s[28:29], vcc, s[28:29]
	v_cndmask_b32_e64 v0, v0, 0, s[28:29]
	v_or_b32_e32 v16, v0, v17
.LBB4_5642:                             ;   in Loop: Header=BB4_5364 Depth=3
	s_or_b64 exec, exec, s[36:37]
                                        ; implicit-def: $vgpr17
.LBB4_5643:                             ;   in Loop: Header=BB4_5364 Depth=3
	s_andn2_saveexec_b64 s[28:29], s[34:35]
; %bb.5644:                             ;   in Loop: Header=BB4_5364 Depth=3
	v_or_b32_e32 v16, 0x7b, v17
; %bb.5645:                             ;   in Loop: Header=BB4_5364 Depth=3
	s_or_b64 exec, exec, s[28:29]
                                        ; implicit-def: $vgpr0
.LBB4_5646:                             ;   in Loop: Header=BB4_5364 Depth=3
	s_andn2_saveexec_b64 s[28:29], s[30:31]
	s_cbranch_execz .LBB4_5652
; %bb.5647:                             ;   in Loop: Header=BB4_5364 Depth=3
	v_cmp_ne_u64_e32 vcc, 0, v[60:61]
                                        ; implicit-def: $vgpr16
	s_and_saveexec_b64 s[30:31], vcc
	s_xor_b64 vcc, exec, s[30:31]
; %bb.5648:                             ;   in Loop: Header=BB4_5364 Depth=3
	v_or_b32_sdwa v16, v0, s44 dst_sel:DWORD dst_unused:UNUSED_PAD src0_sel:BYTE_3 src1_sel:DWORD
                                        ; implicit-def: $vgpr0
; %bb.5649:                             ;   in Loop: Header=BB4_5364 Depth=3
	s_andn2_saveexec_b64 s[30:31], vcc
; %bb.5650:                             ;   in Loop: Header=BB4_5364 Depth=3
	v_cmp_lt_i32_e32 vcc, -1, v0
	v_bfrev_b32_e32 v0, 0.5
	v_mov_b32_e32 v1, 0x7c
	v_cndmask_b32_e32 v16, v0, v1, vcc
; %bb.5651:                             ;   in Loop: Header=BB4_5364 Depth=3
	s_or_b64 exec, exec, s[30:31]
.LBB4_5652:                             ;   in Loop: Header=BB4_5364 Depth=3
	s_or_b64 exec, exec, s[28:29]
	v_cmp_ne_u16_sdwa vcc, v22, v61 src0_sel:BYTE_0 src1_sel:DWORD
	v_mov_b32_e32 v0, 0
	v_mov_b32_e32 v1, 0
	s_and_saveexec_b64 s[28:29], vcc
	s_cbranch_execz .LBB4_5660
; %bb.5653:                             ;   in Loop: Header=BB4_5364 Depth=3
	v_cmp_ne_u16_sdwa vcc, sext(v22), s70 src0_sel:BYTE_0 src1_sel:DWORD
	v_bfrev_b32_e32 v1, 1
	s_and_saveexec_b64 s[30:31], vcc
	s_cbranch_execz .LBB4_5659
; %bb.5654:                             ;   in Loop: Header=BB4_5364 Depth=3
	v_and_b32_e32 v1, 0x7c, v22
	v_and_b32_e32 v2, 3, v22
	v_cmp_ne_u32_e32 vcc, s71, v1
                                        ; implicit-def: $vgpr1
	s_and_saveexec_b64 s[34:35], vcc
	s_xor_b64 s[34:35], exec, s[34:35]
	s_cbranch_execz .LBB4_5656
; %bb.5655:                             ;   in Loop: Header=BB4_5364 Depth=3
	v_ffbh_u32_e32 v17, v2
	v_min_u32_e32 v17, 32, v17
	v_bfe_u32 v1, v22, 2, 5
	v_subrev_u32_e32 v20, 29, v17
	v_lshlrev_b64 v[20:21], v20, v[22:23]
	v_sub_u32_e32 v17, 30, v17
	v_cmp_eq_u32_e32 vcc, 0, v1
	v_cndmask_b32_e32 v1, v1, v17, vcc
	v_lshlrev_b32_e32 v17, 24, v22
	v_and_b32_e32 v20, 3, v20
	v_and_b32_e32 v17, 0x80000000, v17
	v_cndmask_b32_e32 v2, v2, v20, vcc
	v_lshl_add_u32 v1, v1, 23, v17
	v_lshl_or_b32 v1, v2, 21, v1
	v_add_u32_e32 v1, 0x38000000, v1
                                        ; implicit-def: $vgpr2
.LBB4_5656:                             ;   in Loop: Header=BB4_5364 Depth=3
	s_andn2_saveexec_b64 s[34:35], s[34:35]
; %bb.5657:                             ;   in Loop: Header=BB4_5364 Depth=3
	v_mov_b32_e32 v1, -1
	v_cmp_gt_i16_sdwa vcc, sext(v22), v1 src0_sel:BYTE_0 src1_sel:DWORD
	v_mov_b32_e32 v1, 0xff800000
	v_cndmask_b32_e32 v1, v1, v47, vcc
	v_cmp_eq_u32_e32 vcc, 0, v2
	v_mov_b32_e32 v2, 0x7f800001
	v_cndmask_b32_e32 v1, v2, v1, vcc
; %bb.5658:                             ;   in Loop: Header=BB4_5364 Depth=3
	s_or_b64 exec, exec, s[34:35]
.LBB4_5659:                             ;   in Loop: Header=BB4_5364 Depth=3
	s_or_b64 exec, exec, s[30:31]
.LBB4_5660:                             ;   in Loop: Header=BB4_5364 Depth=3
	s_or_b64 exec, exec, s[28:29]
	v_cmp_ne_u16_sdwa vcc, v18, v61 src0_sel:BYTE_0 src1_sel:DWORD
	s_and_saveexec_b64 s[28:29], vcc
	s_cbranch_execz .LBB4_5668
; %bb.5661:                             ;   in Loop: Header=BB4_5364 Depth=3
	v_cmp_ne_u16_sdwa vcc, sext(v18), s70 src0_sel:BYTE_0 src1_sel:DWORD
	v_bfrev_b32_e32 v0, 1
	s_and_saveexec_b64 s[30:31], vcc
	s_cbranch_execz .LBB4_5667
; %bb.5662:                             ;   in Loop: Header=BB4_5364 Depth=3
	v_and_b32_e32 v0, 0x7c, v18
	v_and_b32_e32 v2, 3, v18
	v_cmp_ne_u32_e32 vcc, s71, v0
                                        ; implicit-def: $vgpr0
	s_and_saveexec_b64 s[34:35], vcc
	s_xor_b64 s[34:35], exec, s[34:35]
	s_cbranch_execz .LBB4_5664
; %bb.5663:                             ;   in Loop: Header=BB4_5364 Depth=3
	v_ffbh_u32_e32 v17, v2
	v_min_u32_e32 v17, 32, v17
	v_bfe_u32 v0, v18, 2, 5
	v_subrev_u32_e32 v20, 29, v17
	v_lshlrev_b64 v[20:21], v20, v[18:19]
	v_sub_u32_e32 v17, 30, v17
	v_cmp_eq_u32_e32 vcc, 0, v0
	v_cndmask_b32_e32 v0, v0, v17, vcc
	v_lshlrev_b32_e32 v17, 24, v18
	v_and_b32_e32 v20, 3, v20
	v_and_b32_e32 v17, 0x80000000, v17
	v_cndmask_b32_e32 v2, v2, v20, vcc
	v_lshl_add_u32 v0, v0, 23, v17
	v_lshl_or_b32 v0, v2, 21, v0
	v_add_u32_e32 v0, 0x38000000, v0
                                        ; implicit-def: $vgpr2
.LBB4_5664:                             ;   in Loop: Header=BB4_5364 Depth=3
	s_andn2_saveexec_b64 s[34:35], s[34:35]
; %bb.5665:                             ;   in Loop: Header=BB4_5364 Depth=3
	v_mov_b32_e32 v0, -1
	v_cmp_gt_i16_sdwa vcc, sext(v18), v0 src0_sel:BYTE_0 src1_sel:DWORD
	v_mov_b32_e32 v0, 0xff800000
	v_cndmask_b32_e32 v0, v0, v47, vcc
	v_cmp_eq_u32_e32 vcc, 0, v2
	v_mov_b32_e32 v2, 0x7f800001
	v_cndmask_b32_e32 v0, v2, v0, vcc
; %bb.5666:                             ;   in Loop: Header=BB4_5364 Depth=3
	s_or_b64 exec, exec, s[34:35]
.LBB4_5667:                             ;   in Loop: Header=BB4_5364 Depth=3
	s_or_b64 exec, exec, s[30:31]
.LBB4_5668:                             ;   in Loop: Header=BB4_5364 Depth=3
	s_or_b64 exec, exec, s[28:29]
	v_mul_f32_e32 v0, v1, v0
	v_and_b32_e32 v1, 0x7f800000, v0
	v_mov_b32_e32 v2, v61
	v_cmp_ne_u64_e32 vcc, s[62:63], v[1:2]
	v_and_b32_e32 v60, 0x7fffff, v0
                                        ; implicit-def: $vgpr17
	s_and_saveexec_b64 s[28:29], vcc
	s_xor_b64 s[30:31], exec, s[28:29]
	s_cbranch_execz .LBB4_5682
; %bb.5669:                             ;   in Loop: Header=BB4_5364 Depth=3
	v_and_b32_e32 v1, 0x7fffffff, v0
	v_mov_b32_e32 v2, v61
	v_cmp_gt_u64_e32 vcc, s[78:79], v[1:2]
	v_and_b32_sdwa v20, v0, s81 dst_sel:DWORD dst_unused:UNUSED_PAD src0_sel:BYTE_3 src1_sel:DWORD
                                        ; implicit-def: $vgpr17
	s_and_saveexec_b64 s[28:29], vcc
	s_xor_b64 s[34:35], exec, s[28:29]
	s_cbranch_execz .LBB4_5679
; %bb.5670:                             ;   in Loop: Header=BB4_5364 Depth=3
	v_mov_b32_e32 v17, 0
	v_cmp_ne_u32_e32 vcc, 0, v0
	s_and_saveexec_b64 s[36:37], vcc
	s_cbranch_execz .LBB4_5678
; %bb.5671:                             ;   in Loop: Header=BB4_5364 Depth=3
	v_bfe_u32 v17, v0, 23, 8
	v_cmp_gt_u32_e64 s[28:29], s47, v17
	v_sub_u32_e32 v0, 0x71, v17
	v_cmp_eq_u32_e32 vcc, 0, v17
	v_cndmask_b32_e64 v0, 0, v0, s[28:29]
	v_mov_b32_e32 v2, 0x70
	v_cndmask_b32_e32 v21, v0, v2, vcc
	v_add_u32_e32 v2, 21, v21
	v_or_b32_e32 v1, 0x800000, v60
	v_lshlrev_b64 v[36:37], v2, -1
	v_cndmask_b32_e32 v0, v1, v60, vcc
	v_mov_b32_e32 v1, v61
	v_add_u32_e32 v2, 20, v21
	v_bfi_b32 v36, v36, 0, v0
	v_lshlrev_b64 v[38:39], v2, 1
	v_lshrrev_b64 v[0:1], v21, v[0:1]
	v_bfi_b32 v37, v37, 0, 0
	v_cmp_eq_u64_e64 s[28:29], v[36:37], v[38:39]
	v_mov_b32_e32 v2, v1
	v_mov_b32_e32 v1, v0
	s_and_saveexec_b64 s[38:39], s[28:29]
; %bb.5672:                             ;   in Loop: Header=BB4_5364 Depth=3
	v_bfe_u32 v1, v0, 21, 1
	v_add_co_u32_e64 v1, s[28:29], v0, v1
	v_add_co_u32_e64 v1, s[28:29], -1, v1
; %bb.5673:                             ;   in Loop: Header=BB4_5364 Depth=3
	s_or_b64 exec, exec, s[38:39]
	v_add_u32_e32 v2, 0xffffff81, v17
	v_mov_b32_e32 v17, 0xffffff82
	v_cndmask_b32_e32 v2, v2, v17, vcc
	v_lshrrev_b32_e32 v17, 23, v0
	v_add3_u32 v21, v21, v2, v17
	v_add_u32_e32 v17, 14, v21
	v_and_b32_e32 v1, 0x1fffff, v1
	v_add_u32_e32 v60, v1, v0
	v_cmp_ne_u32_e32 vcc, 0, v17
                                        ; implicit-def: $vgpr0_vgpr1
                                        ; implicit-def: $vgpr2
	s_and_saveexec_b64 s[28:29], vcc
	s_xor_b64 s[28:29], exec, s[28:29]
; %bb.5674:                             ;   in Loop: Header=BB4_5364 Depth=3
	v_cmp_lt_u64_e32 vcc, s[88:89], v[60:61]
	v_add_u32_e32 v0, 15, v21
	v_cndmask_b32_e32 v2, v17, v0, vcc
	v_cndmask_b32_e64 v0, 0, 1, vcc
	v_lshrrev_b64 v[0:1], v0, v[60:61]
; %bb.5675:                             ;   in Loop: Header=BB4_5364 Depth=3
	s_andn2_saveexec_b64 s[28:29], s[28:29]
; %bb.5676:                             ;   in Loop: Header=BB4_5364 Depth=3
	v_mov_b32_e32 v0, v60
	v_mov_b32_e32 v1, v61
	v_bfe_u32 v2, v60, 23, 1
; %bb.5677:                             ;   in Loop: Header=BB4_5364 Depth=3
	s_or_b64 exec, exec, s[28:29]
	v_lshrrev_b64 v[0:1], 21, v[0:1]
	v_cmp_gt_i32_e32 vcc, 32, v2
	v_cndmask_b32_e32 v1, 0, v1, vcc
	v_cndmask_b32_e32 v0, 3, v0, vcc
	v_cmp_eq_u64_e64 s[28:29], 0, v[0:1]
	v_min_i32_e32 v1, 31, v2
	v_lshlrev_b32_e32 v1, 2, v1
	v_cmp_eq_u32_e32 vcc, 0, v2
	v_and_b32_e32 v1, 0xfc, v1
	v_and_or_b32 v0, v0, 3, v1
	s_and_b64 s[28:29], vcc, s[28:29]
	v_cndmask_b32_e64 v0, v0, 0, s[28:29]
	v_or_b32_e32 v17, v0, v20
.LBB4_5678:                             ;   in Loop: Header=BB4_5364 Depth=3
	s_or_b64 exec, exec, s[36:37]
                                        ; implicit-def: $vgpr20
.LBB4_5679:                             ;   in Loop: Header=BB4_5364 Depth=3
	s_andn2_saveexec_b64 s[28:29], s[34:35]
; %bb.5680:                             ;   in Loop: Header=BB4_5364 Depth=3
	v_or_b32_e32 v17, 0x7b, v20
; %bb.5681:                             ;   in Loop: Header=BB4_5364 Depth=3
	s_or_b64 exec, exec, s[28:29]
                                        ; implicit-def: $vgpr0
.LBB4_5682:                             ;   in Loop: Header=BB4_5364 Depth=3
	s_andn2_saveexec_b64 s[28:29], s[30:31]
	s_cbranch_execz .LBB4_5688
; %bb.5683:                             ;   in Loop: Header=BB4_5364 Depth=3
	v_cmp_ne_u64_e32 vcc, 0, v[60:61]
                                        ; implicit-def: $vgpr17
	s_and_saveexec_b64 s[30:31], vcc
	s_xor_b64 vcc, exec, s[30:31]
; %bb.5684:                             ;   in Loop: Header=BB4_5364 Depth=3
	v_or_b32_sdwa v17, v0, s44 dst_sel:DWORD dst_unused:UNUSED_PAD src0_sel:BYTE_3 src1_sel:DWORD
                                        ; implicit-def: $vgpr0
; %bb.5685:                             ;   in Loop: Header=BB4_5364 Depth=3
	s_andn2_saveexec_b64 s[30:31], vcc
; %bb.5686:                             ;   in Loop: Header=BB4_5364 Depth=3
	v_cmp_lt_i32_e32 vcc, -1, v0
	v_bfrev_b32_e32 v0, 0.5
	v_mov_b32_e32 v1, 0x7c
	v_cndmask_b32_e32 v17, v0, v1, vcc
; %bb.5687:                             ;   in Loop: Header=BB4_5364 Depth=3
	s_or_b64 exec, exec, s[30:31]
.LBB4_5688:                             ;   in Loop: Header=BB4_5364 Depth=3
	s_or_b64 exec, exec, s[28:29]
	v_lshrrev_b16_e32 v0, 8, v22
	v_cmp_ne_u16_e32 vcc, 0, v0
	v_mov_b32_e32 v2, 0
	v_mov_b32_e32 v20, 0
	s_and_saveexec_b64 s[28:29], vcc
	s_cbranch_execz .LBB4_5696
; %bb.5689:                             ;   in Loop: Header=BB4_5364 Depth=3
	v_cmp_ne_u16_e32 vcc, s81, v0
	v_bfrev_b32_e32 v20, 1
	s_and_saveexec_b64 s[30:31], vcc
	s_cbranch_execz .LBB4_5695
; %bb.5690:                             ;   in Loop: Header=BB4_5364 Depth=3
	v_and_b32_e32 v1, 0x7c, v0
	v_and_b32_e32 v21, 3, v0
	v_cmp_ne_u32_e32 vcc, s71, v1
                                        ; implicit-def: $vgpr20
	s_and_saveexec_b64 s[34:35], vcc
	s_xor_b64 s[34:35], exec, s[34:35]
	s_cbranch_execz .LBB4_5692
; %bb.5691:                             ;   in Loop: Header=BB4_5364 Depth=3
	v_ffbh_u32_e32 v36, v21
	v_min_u32_e32 v36, 32, v36
	v_mov_b32_e32 v1, v61
	v_subrev_u32_e32 v37, 29, v36
	v_bfe_u32 v20, v0, 2, 5
	v_lshlrev_b64 v[0:1], v37, v[0:1]
	v_sub_u32_e32 v1, 30, v36
	v_cmp_eq_u32_e32 vcc, 0, v20
	v_cndmask_b32_e32 v1, v20, v1, vcc
	v_lshlrev_b32_e32 v20, 16, v22
	v_and_b32_e32 v0, 3, v0
	v_and_b32_e32 v20, 0x80000000, v20
	v_cndmask_b32_e32 v0, v21, v0, vcc
	v_lshl_add_u32 v1, v1, 23, v20
	v_lshl_or_b32 v0, v0, 21, v1
	v_add_u32_e32 v20, 0x38000000, v0
                                        ; implicit-def: $vgpr21
.LBB4_5692:                             ;   in Loop: Header=BB4_5364 Depth=3
	s_andn2_saveexec_b64 s[34:35], s[34:35]
; %bb.5693:                             ;   in Loop: Header=BB4_5364 Depth=3
	v_cmp_lt_i16_e32 vcc, -1, v22
	v_mov_b32_e32 v0, 0xff800000
	v_cndmask_b32_e32 v0, v0, v47, vcc
	v_cmp_eq_u32_e32 vcc, 0, v21
	v_mov_b32_e32 v1, 0x7f800001
	v_cndmask_b32_e32 v20, v1, v0, vcc
; %bb.5694:                             ;   in Loop: Header=BB4_5364 Depth=3
	s_or_b64 exec, exec, s[34:35]
.LBB4_5695:                             ;   in Loop: Header=BB4_5364 Depth=3
	s_or_b64 exec, exec, s[30:31]
.LBB4_5696:                             ;   in Loop: Header=BB4_5364 Depth=3
	s_or_b64 exec, exec, s[28:29]
	v_lshrrev_b16_e32 v0, 8, v18
	v_cmp_ne_u16_e32 vcc, 0, v0
	s_and_saveexec_b64 s[28:29], vcc
	s_cbranch_execz .LBB4_5704
; %bb.5697:                             ;   in Loop: Header=BB4_5364 Depth=3
	v_cmp_ne_u16_e32 vcc, s81, v0
	v_bfrev_b32_e32 v2, 1
	s_and_saveexec_b64 s[30:31], vcc
	s_cbranch_execz .LBB4_5703
; %bb.5698:                             ;   in Loop: Header=BB4_5364 Depth=3
	v_and_b32_e32 v1, 0x7c, v0
	v_and_b32_e32 v21, 3, v0
	v_cmp_ne_u32_e32 vcc, s71, v1
                                        ; implicit-def: $vgpr2
	s_and_saveexec_b64 s[34:35], vcc
	s_xor_b64 s[34:35], exec, s[34:35]
	s_cbranch_execz .LBB4_5700
; %bb.5699:                             ;   in Loop: Header=BB4_5364 Depth=3
	v_ffbh_u32_e32 v36, v21
	v_min_u32_e32 v36, 32, v36
	v_mov_b32_e32 v1, v61
	v_subrev_u32_e32 v37, 29, v36
	v_bfe_u32 v2, v0, 2, 5
	v_lshlrev_b64 v[0:1], v37, v[0:1]
	v_sub_u32_e32 v1, 30, v36
	v_cmp_eq_u32_e32 vcc, 0, v2
	v_cndmask_b32_e32 v1, v2, v1, vcc
	v_lshlrev_b32_e32 v2, 16, v18
	v_and_b32_e32 v0, 3, v0
	v_and_b32_e32 v2, 0x80000000, v2
	v_cndmask_b32_e32 v0, v21, v0, vcc
	v_lshl_add_u32 v1, v1, 23, v2
	v_lshl_or_b32 v0, v0, 21, v1
	v_add_u32_e32 v2, 0x38000000, v0
                                        ; implicit-def: $vgpr21
.LBB4_5700:                             ;   in Loop: Header=BB4_5364 Depth=3
	s_andn2_saveexec_b64 s[34:35], s[34:35]
; %bb.5701:                             ;   in Loop: Header=BB4_5364 Depth=3
	v_cmp_lt_i16_e32 vcc, -1, v18
	v_mov_b32_e32 v0, 0xff800000
	v_cndmask_b32_e32 v0, v0, v47, vcc
	v_cmp_eq_u32_e32 vcc, 0, v21
	v_mov_b32_e32 v1, 0x7f800001
	v_cndmask_b32_e32 v2, v1, v0, vcc
; %bb.5702:                             ;   in Loop: Header=BB4_5364 Depth=3
	s_or_b64 exec, exec, s[34:35]
.LBB4_5703:                             ;   in Loop: Header=BB4_5364 Depth=3
	s_or_b64 exec, exec, s[30:31]
.LBB4_5704:                             ;   in Loop: Header=BB4_5364 Depth=3
	s_or_b64 exec, exec, s[28:29]
	v_mul_f32_e32 v0, v20, v2
	v_and_b32_e32 v1, 0x7f800000, v0
	v_mov_b32_e32 v2, v61
	v_cmp_ne_u64_e32 vcc, s[62:63], v[1:2]
	v_and_b32_e32 v60, 0x7fffff, v0
                                        ; implicit-def: $vgpr20
	s_and_saveexec_b64 s[28:29], vcc
	s_xor_b64 s[30:31], exec, s[28:29]
	s_cbranch_execz .LBB4_5718
; %bb.5705:                             ;   in Loop: Header=BB4_5364 Depth=3
	v_and_b32_e32 v1, 0x7fffffff, v0
	v_mov_b32_e32 v2, v61
	v_cmp_gt_u64_e32 vcc, s[78:79], v[1:2]
	v_and_b32_sdwa v21, v0, s81 dst_sel:DWORD dst_unused:UNUSED_PAD src0_sel:BYTE_3 src1_sel:DWORD
                                        ; implicit-def: $vgpr20
	s_and_saveexec_b64 s[28:29], vcc
	s_xor_b64 s[34:35], exec, s[28:29]
	s_cbranch_execz .LBB4_5715
; %bb.5706:                             ;   in Loop: Header=BB4_5364 Depth=3
	v_mov_b32_e32 v20, 0
	v_cmp_ne_u32_e32 vcc, 0, v0
	s_and_saveexec_b64 s[36:37], vcc
	s_cbranch_execz .LBB4_5714
; %bb.5707:                             ;   in Loop: Header=BB4_5364 Depth=3
	v_bfe_u32 v20, v0, 23, 8
	v_cmp_gt_u32_e64 s[28:29], s47, v20
	v_sub_u32_e32 v0, 0x71, v20
	v_cmp_eq_u32_e32 vcc, 0, v20
	v_cndmask_b32_e64 v0, 0, v0, s[28:29]
	v_mov_b32_e32 v2, 0x70
	v_cndmask_b32_e32 v36, v0, v2, vcc
	v_add_u32_e32 v2, 21, v36
	v_or_b32_e32 v1, 0x800000, v60
	v_lshlrev_b64 v[37:38], v2, -1
	v_cndmask_b32_e32 v0, v1, v60, vcc
	v_mov_b32_e32 v1, v61
	v_add_u32_e32 v2, 20, v36
	v_bfi_b32 v37, v37, 0, v0
	v_lshlrev_b64 v[50:51], v2, 1
	v_lshrrev_b64 v[0:1], v36, v[0:1]
	v_bfi_b32 v38, v38, 0, 0
	v_cmp_eq_u64_e64 s[28:29], v[37:38], v[50:51]
	v_mov_b32_e32 v2, v1
	v_mov_b32_e32 v1, v0
	s_and_saveexec_b64 s[38:39], s[28:29]
; %bb.5708:                             ;   in Loop: Header=BB4_5364 Depth=3
	v_bfe_u32 v1, v0, 21, 1
	v_add_co_u32_e64 v1, s[28:29], v0, v1
	v_add_co_u32_e64 v1, s[28:29], -1, v1
; %bb.5709:                             ;   in Loop: Header=BB4_5364 Depth=3
	s_or_b64 exec, exec, s[38:39]
	v_add_u32_e32 v2, 0xffffff81, v20
	v_mov_b32_e32 v20, 0xffffff82
	v_cndmask_b32_e32 v2, v2, v20, vcc
	v_lshrrev_b32_e32 v20, 23, v0
	v_add3_u32 v36, v36, v2, v20
	v_add_u32_e32 v20, 14, v36
	v_and_b32_e32 v1, 0x1fffff, v1
	v_add_u32_e32 v60, v1, v0
	v_cmp_ne_u32_e32 vcc, 0, v20
                                        ; implicit-def: $vgpr0_vgpr1
                                        ; implicit-def: $vgpr2
	s_and_saveexec_b64 s[28:29], vcc
	s_xor_b64 s[28:29], exec, s[28:29]
; %bb.5710:                             ;   in Loop: Header=BB4_5364 Depth=3
	v_cmp_lt_u64_e32 vcc, s[88:89], v[60:61]
	v_add_u32_e32 v0, 15, v36
	v_cndmask_b32_e32 v2, v20, v0, vcc
	v_cndmask_b32_e64 v0, 0, 1, vcc
	v_lshrrev_b64 v[0:1], v0, v[60:61]
; %bb.5711:                             ;   in Loop: Header=BB4_5364 Depth=3
	s_andn2_saveexec_b64 s[28:29], s[28:29]
; %bb.5712:                             ;   in Loop: Header=BB4_5364 Depth=3
	v_mov_b32_e32 v0, v60
	v_mov_b32_e32 v1, v61
	v_bfe_u32 v2, v60, 23, 1
; %bb.5713:                             ;   in Loop: Header=BB4_5364 Depth=3
	s_or_b64 exec, exec, s[28:29]
	v_lshrrev_b64 v[0:1], 21, v[0:1]
	v_cmp_gt_i32_e32 vcc, 32, v2
	v_cndmask_b32_e32 v1, 0, v1, vcc
	v_cndmask_b32_e32 v0, 3, v0, vcc
	v_cmp_eq_u64_e64 s[28:29], 0, v[0:1]
	v_min_i32_e32 v1, 31, v2
	v_lshlrev_b32_e32 v1, 2, v1
	v_cmp_eq_u32_e32 vcc, 0, v2
	v_and_b32_e32 v1, 0xfc, v1
	v_and_or_b32 v0, v0, 3, v1
	s_and_b64 s[28:29], vcc, s[28:29]
	v_cndmask_b32_e64 v0, v0, 0, s[28:29]
	v_or_b32_e32 v20, v0, v21
.LBB4_5714:                             ;   in Loop: Header=BB4_5364 Depth=3
	s_or_b64 exec, exec, s[36:37]
                                        ; implicit-def: $vgpr21
.LBB4_5715:                             ;   in Loop: Header=BB4_5364 Depth=3
	s_andn2_saveexec_b64 s[28:29], s[34:35]
; %bb.5716:                             ;   in Loop: Header=BB4_5364 Depth=3
	v_or_b32_e32 v20, 0x7b, v21
; %bb.5717:                             ;   in Loop: Header=BB4_5364 Depth=3
	s_or_b64 exec, exec, s[28:29]
                                        ; implicit-def: $vgpr0
.LBB4_5718:                             ;   in Loop: Header=BB4_5364 Depth=3
	s_andn2_saveexec_b64 s[28:29], s[30:31]
	s_cbranch_execz .LBB4_5724
; %bb.5719:                             ;   in Loop: Header=BB4_5364 Depth=3
	v_cmp_ne_u64_e32 vcc, 0, v[60:61]
                                        ; implicit-def: $vgpr20
	s_and_saveexec_b64 s[30:31], vcc
	s_xor_b64 vcc, exec, s[30:31]
; %bb.5720:                             ;   in Loop: Header=BB4_5364 Depth=3
	v_or_b32_sdwa v20, v0, s44 dst_sel:DWORD dst_unused:UNUSED_PAD src0_sel:BYTE_3 src1_sel:DWORD
                                        ; implicit-def: $vgpr0
; %bb.5721:                             ;   in Loop: Header=BB4_5364 Depth=3
	s_andn2_saveexec_b64 s[30:31], vcc
; %bb.5722:                             ;   in Loop: Header=BB4_5364 Depth=3
	v_cmp_lt_i32_e32 vcc, -1, v0
	v_bfrev_b32_e32 v0, 0.5
	v_mov_b32_e32 v1, 0x7c
	v_cndmask_b32_e32 v20, v0, v1, vcc
; %bb.5723:                             ;   in Loop: Header=BB4_5364 Depth=3
	s_or_b64 exec, exec, s[30:31]
.LBB4_5724:                             ;   in Loop: Header=BB4_5364 Depth=3
	s_or_b64 exec, exec, s[28:29]
	v_lshrrev_b32_e32 v0, 16, v22
	v_cmp_ne_u16_sdwa vcc, v0, v61 src0_sel:BYTE_0 src1_sel:DWORD
	v_mov_b32_e32 v1, 0
	v_mov_b32_e32 v2, 0
	s_and_saveexec_b64 s[28:29], vcc
	s_cbranch_execz .LBB4_5732
; %bb.5725:                             ;   in Loop: Header=BB4_5364 Depth=3
	v_cmp_ne_u16_sdwa vcc, v0, s81 src0_sel:BYTE_0 src1_sel:DWORD
	v_bfrev_b32_e32 v2, 1
	s_and_saveexec_b64 s[30:31], vcc
	s_cbranch_execz .LBB4_5731
; %bb.5726:                             ;   in Loop: Header=BB4_5364 Depth=3
	v_and_b32_e32 v2, 0x7c0000, v22
	v_bfe_u32 v21, v22, 16, 2
	v_cmp_ne_u32_e32 vcc, s45, v2
                                        ; implicit-def: $vgpr2
	s_and_saveexec_b64 s[34:35], vcc
	s_xor_b64 s[34:35], exec, s[34:35]
	s_cbranch_execz .LBB4_5728
; %bb.5727:                             ;   in Loop: Header=BB4_5364 Depth=3
	v_ffbh_u32_e32 v36, v21
	v_min_u32_e32 v38, 32, v36
	v_subrev_u32_e32 v36, 29, v38
	v_lshlrev_b64 v[36:37], v36, v[0:1]
	v_bfe_u32 v2, v22, 18, 5
	v_sub_u32_e32 v0, 30, v38
	v_and_b32_e32 v36, 3, v36
	v_cmp_eq_u32_e32 vcc, 0, v2
	v_cndmask_b32_e32 v0, v2, v0, vcc
	v_cndmask_b32_e32 v2, v21, v36, vcc
	v_lshlrev_b32_e32 v21, 8, v22
	v_and_b32_e32 v21, 0x80000000, v21
	v_lshl_add_u32 v0, v0, 23, v21
	v_lshl_or_b32 v0, v2, 21, v0
	v_add_u32_e32 v2, 0x38000000, v0
                                        ; implicit-def: $vgpr21
                                        ; implicit-def: $vgpr0
.LBB4_5728:                             ;   in Loop: Header=BB4_5364 Depth=3
	s_andn2_saveexec_b64 s[34:35], s[34:35]
; %bb.5729:                             ;   in Loop: Header=BB4_5364 Depth=3
	v_mov_b32_e32 v2, -1
	v_cmp_gt_i16_sdwa vcc, sext(v0), v2 src0_sel:BYTE_0 src1_sel:DWORD
	v_mov_b32_e32 v0, 0xff800000
	v_cndmask_b32_e32 v0, v0, v47, vcc
	v_cmp_eq_u32_e32 vcc, 0, v21
	v_mov_b32_e32 v2, 0x7f800001
	v_cndmask_b32_e32 v2, v2, v0, vcc
; %bb.5730:                             ;   in Loop: Header=BB4_5364 Depth=3
	s_or_b64 exec, exec, s[34:35]
.LBB4_5731:                             ;   in Loop: Header=BB4_5364 Depth=3
	s_or_b64 exec, exec, s[30:31]
.LBB4_5732:                             ;   in Loop: Header=BB4_5364 Depth=3
	s_or_b64 exec, exec, s[28:29]
	v_lshrrev_b32_e32 v0, 16, v18
	v_cmp_ne_u16_sdwa vcc, v0, v61 src0_sel:BYTE_0 src1_sel:DWORD
	s_and_saveexec_b64 s[28:29], vcc
	s_cbranch_execz .LBB4_5740
; %bb.5733:                             ;   in Loop: Header=BB4_5364 Depth=3
	v_cmp_ne_u16_sdwa vcc, v0, s81 src0_sel:BYTE_0 src1_sel:DWORD
	v_bfrev_b32_e32 v1, 1
	s_and_saveexec_b64 s[30:31], vcc
	s_cbranch_execz .LBB4_5739
; %bb.5734:                             ;   in Loop: Header=BB4_5364 Depth=3
	v_and_b32_e32 v1, 0x7c0000, v18
	v_bfe_u32 v21, v18, 16, 2
	v_cmp_ne_u32_e32 vcc, s45, v1
                                        ; implicit-def: $vgpr1
	s_and_saveexec_b64 s[34:35], vcc
	s_xor_b64 s[34:35], exec, s[34:35]
	s_cbranch_execz .LBB4_5736
; %bb.5735:                             ;   in Loop: Header=BB4_5364 Depth=3
	v_ffbh_u32_e32 v1, v21
	v_min_u32_e32 v37, 32, v1
	v_subrev_u32_e32 v1, 29, v37
	v_lshlrev_b64 v[0:1], v1, v[0:1]
	v_bfe_u32 v36, v18, 18, 5
	v_and_b32_e32 v0, 3, v0
	v_cmp_eq_u32_e32 vcc, 0, v36
	v_sub_u32_e32 v1, 30, v37
	v_cndmask_b32_e32 v0, v21, v0, vcc
	v_lshlrev_b32_e32 v21, 8, v18
	v_cndmask_b32_e32 v1, v36, v1, vcc
	v_and_b32_e32 v21, 0x80000000, v21
	v_lshl_add_u32 v1, v1, 23, v21
	v_lshl_or_b32 v0, v0, 21, v1
	v_add_u32_e32 v1, 0x38000000, v0
                                        ; implicit-def: $vgpr21
                                        ; implicit-def: $vgpr0
.LBB4_5736:                             ;   in Loop: Header=BB4_5364 Depth=3
	s_andn2_saveexec_b64 s[34:35], s[34:35]
; %bb.5737:                             ;   in Loop: Header=BB4_5364 Depth=3
	v_mov_b32_e32 v1, -1
	v_cmp_gt_i16_sdwa vcc, sext(v0), v1 src0_sel:BYTE_0 src1_sel:DWORD
	v_mov_b32_e32 v0, 0xff800000
	v_cndmask_b32_e32 v0, v0, v47, vcc
	v_cmp_eq_u32_e32 vcc, 0, v21
	v_mov_b32_e32 v1, 0x7f800001
	v_cndmask_b32_e32 v1, v1, v0, vcc
; %bb.5738:                             ;   in Loop: Header=BB4_5364 Depth=3
	s_or_b64 exec, exec, s[34:35]
.LBB4_5739:                             ;   in Loop: Header=BB4_5364 Depth=3
	s_or_b64 exec, exec, s[30:31]
.LBB4_5740:                             ;   in Loop: Header=BB4_5364 Depth=3
	s_or_b64 exec, exec, s[28:29]
	v_mul_f32_e32 v0, v2, v1
	v_and_b32_e32 v1, 0x7f800000, v0
	v_mov_b32_e32 v2, v61
	v_cmp_ne_u64_e32 vcc, s[62:63], v[1:2]
	v_and_b32_e32 v60, 0x7fffff, v0
                                        ; implicit-def: $vgpr21
	s_and_saveexec_b64 s[28:29], vcc
	s_xor_b64 s[30:31], exec, s[28:29]
	s_cbranch_execz .LBB4_5754
; %bb.5741:                             ;   in Loop: Header=BB4_5364 Depth=3
	v_and_b32_e32 v1, 0x7fffffff, v0
	v_mov_b32_e32 v2, v61
	v_cmp_gt_u64_e32 vcc, s[78:79], v[1:2]
	v_and_b32_sdwa v36, v0, s81 dst_sel:DWORD dst_unused:UNUSED_PAD src0_sel:BYTE_3 src1_sel:DWORD
                                        ; implicit-def: $vgpr21
	s_and_saveexec_b64 s[28:29], vcc
	s_xor_b64 s[34:35], exec, s[28:29]
	s_cbranch_execz .LBB4_5751
; %bb.5742:                             ;   in Loop: Header=BB4_5364 Depth=3
	v_mov_b32_e32 v21, 0
	v_cmp_ne_u32_e32 vcc, 0, v0
	s_and_saveexec_b64 s[36:37], vcc
	s_cbranch_execz .LBB4_5750
; %bb.5743:                             ;   in Loop: Header=BB4_5364 Depth=3
	v_bfe_u32 v21, v0, 23, 8
	v_cmp_gt_u32_e64 s[28:29], s47, v21
	v_sub_u32_e32 v0, 0x71, v21
	v_cmp_eq_u32_e32 vcc, 0, v21
	v_cndmask_b32_e64 v0, 0, v0, s[28:29]
	v_mov_b32_e32 v2, 0x70
	v_cndmask_b32_e32 v37, v0, v2, vcc
	v_add_u32_e32 v2, 21, v37
	v_or_b32_e32 v1, 0x800000, v60
	v_lshlrev_b64 v[38:39], v2, -1
	v_cndmask_b32_e32 v0, v1, v60, vcc
	v_mov_b32_e32 v1, v61
	v_add_u32_e32 v2, 20, v37
	v_bfi_b32 v38, v38, 0, v0
	v_lshlrev_b64 v[50:51], v2, 1
	v_lshrrev_b64 v[0:1], v37, v[0:1]
	v_bfi_b32 v39, v39, 0, 0
	v_cmp_eq_u64_e64 s[28:29], v[38:39], v[50:51]
	v_mov_b32_e32 v2, v1
	v_mov_b32_e32 v1, v0
	s_and_saveexec_b64 s[38:39], s[28:29]
; %bb.5744:                             ;   in Loop: Header=BB4_5364 Depth=3
	v_bfe_u32 v1, v0, 21, 1
	v_add_co_u32_e64 v1, s[28:29], v0, v1
	v_add_co_u32_e64 v1, s[28:29], -1, v1
; %bb.5745:                             ;   in Loop: Header=BB4_5364 Depth=3
	s_or_b64 exec, exec, s[38:39]
	v_add_u32_e32 v2, 0xffffff81, v21
	v_mov_b32_e32 v21, 0xffffff82
	v_cndmask_b32_e32 v2, v2, v21, vcc
	v_lshrrev_b32_e32 v21, 23, v0
	v_add3_u32 v37, v37, v2, v21
	v_add_u32_e32 v21, 14, v37
	v_and_b32_e32 v1, 0x1fffff, v1
	v_add_u32_e32 v60, v1, v0
	v_cmp_ne_u32_e32 vcc, 0, v21
                                        ; implicit-def: $vgpr0_vgpr1
                                        ; implicit-def: $vgpr2
	s_and_saveexec_b64 s[28:29], vcc
	s_xor_b64 s[28:29], exec, s[28:29]
; %bb.5746:                             ;   in Loop: Header=BB4_5364 Depth=3
	v_cmp_lt_u64_e32 vcc, s[88:89], v[60:61]
	v_add_u32_e32 v0, 15, v37
	v_cndmask_b32_e32 v2, v21, v0, vcc
	v_cndmask_b32_e64 v0, 0, 1, vcc
	v_lshrrev_b64 v[0:1], v0, v[60:61]
; %bb.5747:                             ;   in Loop: Header=BB4_5364 Depth=3
	s_andn2_saveexec_b64 s[28:29], s[28:29]
; %bb.5748:                             ;   in Loop: Header=BB4_5364 Depth=3
	v_mov_b32_e32 v0, v60
	v_mov_b32_e32 v1, v61
	v_bfe_u32 v2, v60, 23, 1
; %bb.5749:                             ;   in Loop: Header=BB4_5364 Depth=3
	s_or_b64 exec, exec, s[28:29]
	v_lshrrev_b64 v[0:1], 21, v[0:1]
	v_cmp_gt_i32_e32 vcc, 32, v2
	v_cndmask_b32_e32 v1, 0, v1, vcc
	v_cndmask_b32_e32 v0, 3, v0, vcc
	v_cmp_eq_u64_e64 s[28:29], 0, v[0:1]
	v_min_i32_e32 v1, 31, v2
	v_lshlrev_b32_e32 v1, 2, v1
	v_cmp_eq_u32_e32 vcc, 0, v2
	v_and_b32_e32 v1, 0xfc, v1
	v_and_or_b32 v0, v0, 3, v1
	s_and_b64 s[28:29], vcc, s[28:29]
	v_cndmask_b32_e64 v0, v0, 0, s[28:29]
	v_or_b32_e32 v21, v0, v36
.LBB4_5750:                             ;   in Loop: Header=BB4_5364 Depth=3
	s_or_b64 exec, exec, s[36:37]
                                        ; implicit-def: $vgpr36
.LBB4_5751:                             ;   in Loop: Header=BB4_5364 Depth=3
	s_andn2_saveexec_b64 s[28:29], s[34:35]
; %bb.5752:                             ;   in Loop: Header=BB4_5364 Depth=3
	v_or_b32_e32 v21, 0x7b, v36
; %bb.5753:                             ;   in Loop: Header=BB4_5364 Depth=3
	s_or_b64 exec, exec, s[28:29]
                                        ; implicit-def: $vgpr0
.LBB4_5754:                             ;   in Loop: Header=BB4_5364 Depth=3
	s_andn2_saveexec_b64 s[28:29], s[30:31]
	s_cbranch_execz .LBB4_5760
; %bb.5755:                             ;   in Loop: Header=BB4_5364 Depth=3
	v_cmp_ne_u64_e32 vcc, 0, v[60:61]
                                        ; implicit-def: $vgpr21
	s_and_saveexec_b64 s[30:31], vcc
	s_xor_b64 vcc, exec, s[30:31]
; %bb.5756:                             ;   in Loop: Header=BB4_5364 Depth=3
	v_or_b32_sdwa v21, v0, s44 dst_sel:DWORD dst_unused:UNUSED_PAD src0_sel:BYTE_3 src1_sel:DWORD
                                        ; implicit-def: $vgpr0
; %bb.5757:                             ;   in Loop: Header=BB4_5364 Depth=3
	s_andn2_saveexec_b64 s[30:31], vcc
; %bb.5758:                             ;   in Loop: Header=BB4_5364 Depth=3
	v_cmp_lt_i32_e32 vcc, -1, v0
	v_bfrev_b32_e32 v0, 0.5
	v_mov_b32_e32 v1, 0x7c
	v_cndmask_b32_e32 v21, v0, v1, vcc
; %bb.5759:                             ;   in Loop: Header=BB4_5364 Depth=3
	s_or_b64 exec, exec, s[30:31]
.LBB4_5760:                             ;   in Loop: Header=BB4_5364 Depth=3
	s_or_b64 exec, exec, s[28:29]
	v_cmp_lt_u32_e32 vcc, s57, v22
	v_mov_b32_e32 v1, 0
	v_mov_b32_e32 v2, 0
	s_and_saveexec_b64 s[28:29], vcc
	s_cbranch_execz .LBB4_5768
; %bb.5761:                             ;   in Loop: Header=BB4_5364 Depth=3
	v_lshrrev_b32_e32 v0, 24, v22
	v_cmp_ne_u32_e32 vcc, s81, v0
	v_bfrev_b32_e32 v2, 1
	s_and_saveexec_b64 s[30:31], vcc
	s_cbranch_execz .LBB4_5767
; %bb.5762:                             ;   in Loop: Header=BB4_5364 Depth=3
	v_and_b32_e32 v2, 0x7c000000, v22
	v_bfe_u32 v36, v22, 24, 2
	v_cmp_ne_u32_e32 vcc, s82, v2
                                        ; implicit-def: $vgpr2
	s_and_saveexec_b64 s[34:35], vcc
	s_xor_b64 s[34:35], exec, s[34:35]
	s_cbranch_execz .LBB4_5764
; %bb.5763:                             ;   in Loop: Header=BB4_5364 Depth=3
	v_ffbh_u32_e32 v37, v36
	v_min_u32_e32 v39, 32, v37
	v_subrev_u32_e32 v37, 29, v39
	v_lshlrev_b64 v[37:38], v37, v[0:1]
	v_bfe_u32 v2, v22, 26, 5
	v_sub_u32_e32 v0, 30, v39
	v_and_b32_e32 v37, 3, v37
	v_cmp_eq_u32_e32 vcc, 0, v2
	v_cndmask_b32_e32 v0, v2, v0, vcc
	v_cndmask_b32_e32 v2, v36, v37, vcc
	v_and_b32_e32 v36, 0x80000000, v22
	v_lshl_add_u32 v0, v0, 23, v36
	v_lshl_or_b32 v0, v2, 21, v0
	v_add_u32_e32 v2, 0x38000000, v0
                                        ; implicit-def: $vgpr36
.LBB4_5764:                             ;   in Loop: Header=BB4_5364 Depth=3
	s_andn2_saveexec_b64 s[34:35], s[34:35]
; %bb.5765:                             ;   in Loop: Header=BB4_5364 Depth=3
	v_cmp_lt_i32_e32 vcc, -1, v22
	v_mov_b32_e32 v0, 0xff800000
	v_cndmask_b32_e32 v0, v0, v47, vcc
	v_cmp_eq_u32_e32 vcc, 0, v36
	v_mov_b32_e32 v2, 0x7f800001
	v_cndmask_b32_e32 v2, v2, v0, vcc
; %bb.5766:                             ;   in Loop: Header=BB4_5364 Depth=3
	s_or_b64 exec, exec, s[34:35]
.LBB4_5767:                             ;   in Loop: Header=BB4_5364 Depth=3
	s_or_b64 exec, exec, s[30:31]
.LBB4_5768:                             ;   in Loop: Header=BB4_5364 Depth=3
	s_or_b64 exec, exec, s[28:29]
	v_cmp_lt_u32_e32 vcc, s57, v18
	s_and_saveexec_b64 s[28:29], vcc
	s_cbranch_execz .LBB4_5776
; %bb.5769:                             ;   in Loop: Header=BB4_5364 Depth=3
	v_lshrrev_b32_e32 v0, 24, v18
	v_cmp_ne_u32_e32 vcc, s81, v0
	v_bfrev_b32_e32 v1, 1
	s_and_saveexec_b64 s[30:31], vcc
	s_cbranch_execz .LBB4_5775
; %bb.5770:                             ;   in Loop: Header=BB4_5364 Depth=3
	v_and_b32_e32 v1, 0x7c000000, v18
	v_bfe_u32 v36, v18, 24, 2
	v_cmp_ne_u32_e32 vcc, s82, v1
                                        ; implicit-def: $vgpr1
	s_and_saveexec_b64 s[34:35], vcc
	s_xor_b64 s[34:35], exec, s[34:35]
	s_cbranch_execz .LBB4_5772
; %bb.5771:                             ;   in Loop: Header=BB4_5364 Depth=3
	v_ffbh_u32_e32 v1, v36
	v_min_u32_e32 v38, 32, v1
	v_subrev_u32_e32 v1, 29, v38
	v_lshlrev_b64 v[0:1], v1, v[0:1]
	v_bfe_u32 v37, v18, 26, 5
	v_sub_u32_e32 v1, 30, v38
	v_and_b32_e32 v0, 3, v0
	v_cmp_eq_u32_e32 vcc, 0, v37
	v_cndmask_b32_e32 v1, v37, v1, vcc
	v_cndmask_b32_e32 v0, v36, v0, vcc
	v_and_b32_e32 v36, 0x80000000, v18
	v_lshl_add_u32 v1, v1, 23, v36
	v_lshl_or_b32 v0, v0, 21, v1
	v_add_u32_e32 v1, 0x38000000, v0
                                        ; implicit-def: $vgpr36
.LBB4_5772:                             ;   in Loop: Header=BB4_5364 Depth=3
	s_andn2_saveexec_b64 s[34:35], s[34:35]
; %bb.5773:                             ;   in Loop: Header=BB4_5364 Depth=3
	v_cmp_lt_i32_e32 vcc, -1, v18
	v_mov_b32_e32 v0, 0xff800000
	v_cndmask_b32_e32 v0, v0, v47, vcc
	v_cmp_eq_u32_e32 vcc, 0, v36
	v_mov_b32_e32 v1, 0x7f800001
	v_cndmask_b32_e32 v1, v1, v0, vcc
; %bb.5774:                             ;   in Loop: Header=BB4_5364 Depth=3
	s_or_b64 exec, exec, s[34:35]
.LBB4_5775:                             ;   in Loop: Header=BB4_5364 Depth=3
	s_or_b64 exec, exec, s[30:31]
.LBB4_5776:                             ;   in Loop: Header=BB4_5364 Depth=3
	s_or_b64 exec, exec, s[28:29]
	v_mul_f32_e32 v0, v2, v1
	v_and_b32_e32 v1, 0x7f800000, v0
	v_mov_b32_e32 v2, v61
	v_cmp_ne_u64_e32 vcc, s[62:63], v[1:2]
	v_and_b32_e32 v60, 0x7fffff, v0
                                        ; implicit-def: $vgpr36
	s_and_saveexec_b64 s[28:29], vcc
	s_xor_b64 s[30:31], exec, s[28:29]
	s_cbranch_execz .LBB4_5790
; %bb.5777:                             ;   in Loop: Header=BB4_5364 Depth=3
	v_and_b32_e32 v1, 0x7fffffff, v0
	v_mov_b32_e32 v2, v61
	v_cmp_gt_u64_e32 vcc, s[78:79], v[1:2]
	v_and_b32_sdwa v37, v0, s81 dst_sel:DWORD dst_unused:UNUSED_PAD src0_sel:BYTE_3 src1_sel:DWORD
                                        ; implicit-def: $vgpr36
	s_and_saveexec_b64 s[28:29], vcc
	s_xor_b64 s[34:35], exec, s[28:29]
	s_cbranch_execz .LBB4_5787
; %bb.5778:                             ;   in Loop: Header=BB4_5364 Depth=3
	v_mov_b32_e32 v36, 0
	v_cmp_ne_u32_e32 vcc, 0, v0
	s_and_saveexec_b64 s[36:37], vcc
	s_cbranch_execz .LBB4_5786
; %bb.5779:                             ;   in Loop: Header=BB4_5364 Depth=3
	v_bfe_u32 v36, v0, 23, 8
	v_cmp_gt_u32_e64 s[28:29], s47, v36
	v_sub_u32_e32 v0, 0x71, v36
	v_cmp_eq_u32_e32 vcc, 0, v36
	v_cndmask_b32_e64 v0, 0, v0, s[28:29]
	v_mov_b32_e32 v2, 0x70
	v_cndmask_b32_e32 v38, v0, v2, vcc
	v_add_u32_e32 v2, 21, v38
	v_or_b32_e32 v1, 0x800000, v60
	v_lshlrev_b64 v[50:51], v2, -1
	v_cndmask_b32_e32 v0, v1, v60, vcc
	v_mov_b32_e32 v1, v61
	v_add_u32_e32 v2, 20, v38
	v_bfi_b32 v50, v50, 0, v0
	v_lshlrev_b64 v[52:53], v2, 1
	v_lshrrev_b64 v[0:1], v38, v[0:1]
	v_bfi_b32 v51, v51, 0, 0
	v_cmp_eq_u64_e64 s[28:29], v[50:51], v[52:53]
	v_mov_b32_e32 v2, v1
	v_mov_b32_e32 v1, v0
	s_and_saveexec_b64 s[38:39], s[28:29]
; %bb.5780:                             ;   in Loop: Header=BB4_5364 Depth=3
	v_bfe_u32 v1, v0, 21, 1
	v_add_co_u32_e64 v1, s[28:29], v0, v1
	v_add_co_u32_e64 v1, s[28:29], -1, v1
; %bb.5781:                             ;   in Loop: Header=BB4_5364 Depth=3
	s_or_b64 exec, exec, s[38:39]
	v_add_u32_e32 v2, 0xffffff81, v36
	v_mov_b32_e32 v36, 0xffffff82
	v_cndmask_b32_e32 v2, v2, v36, vcc
	v_lshrrev_b32_e32 v36, 23, v0
	v_add3_u32 v38, v38, v2, v36
	v_add_u32_e32 v36, 14, v38
	v_and_b32_e32 v1, 0x1fffff, v1
	v_add_u32_e32 v60, v1, v0
	v_cmp_ne_u32_e32 vcc, 0, v36
                                        ; implicit-def: $vgpr0_vgpr1
                                        ; implicit-def: $vgpr2
	s_and_saveexec_b64 s[28:29], vcc
	s_xor_b64 s[28:29], exec, s[28:29]
; %bb.5782:                             ;   in Loop: Header=BB4_5364 Depth=3
	v_cmp_lt_u64_e32 vcc, s[88:89], v[60:61]
	v_add_u32_e32 v0, 15, v38
	v_cndmask_b32_e32 v2, v36, v0, vcc
	v_cndmask_b32_e64 v0, 0, 1, vcc
	v_lshrrev_b64 v[0:1], v0, v[60:61]
; %bb.5783:                             ;   in Loop: Header=BB4_5364 Depth=3
	s_andn2_saveexec_b64 s[28:29], s[28:29]
; %bb.5784:                             ;   in Loop: Header=BB4_5364 Depth=3
	v_mov_b32_e32 v0, v60
	v_mov_b32_e32 v1, v61
	v_bfe_u32 v2, v60, 23, 1
; %bb.5785:                             ;   in Loop: Header=BB4_5364 Depth=3
	s_or_b64 exec, exec, s[28:29]
	v_lshrrev_b64 v[0:1], 21, v[0:1]
	v_cmp_gt_i32_e32 vcc, 32, v2
	v_cndmask_b32_e32 v1, 0, v1, vcc
	v_cndmask_b32_e32 v0, 3, v0, vcc
	v_cmp_eq_u64_e64 s[28:29], 0, v[0:1]
	v_min_i32_e32 v1, 31, v2
	v_lshlrev_b32_e32 v1, 2, v1
	v_cmp_eq_u32_e32 vcc, 0, v2
	v_and_b32_e32 v1, 0xfc, v1
	v_and_or_b32 v0, v0, 3, v1
	s_and_b64 s[28:29], vcc, s[28:29]
	v_cndmask_b32_e64 v0, v0, 0, s[28:29]
	v_or_b32_e32 v36, v0, v37
.LBB4_5786:                             ;   in Loop: Header=BB4_5364 Depth=3
	s_or_b64 exec, exec, s[36:37]
                                        ; implicit-def: $vgpr37
.LBB4_5787:                             ;   in Loop: Header=BB4_5364 Depth=3
	s_andn2_saveexec_b64 s[28:29], s[34:35]
; %bb.5788:                             ;   in Loop: Header=BB4_5364 Depth=3
	v_or_b32_e32 v36, 0x7b, v37
; %bb.5789:                             ;   in Loop: Header=BB4_5364 Depth=3
	s_or_b64 exec, exec, s[28:29]
                                        ; implicit-def: $vgpr0
.LBB4_5790:                             ;   in Loop: Header=BB4_5364 Depth=3
	s_andn2_saveexec_b64 s[28:29], s[30:31]
	s_cbranch_execz .LBB4_5796
; %bb.5791:                             ;   in Loop: Header=BB4_5364 Depth=3
	v_cmp_ne_u64_e32 vcc, 0, v[60:61]
                                        ; implicit-def: $vgpr36
	s_and_saveexec_b64 s[30:31], vcc
	s_xor_b64 vcc, exec, s[30:31]
; %bb.5792:                             ;   in Loop: Header=BB4_5364 Depth=3
	v_or_b32_sdwa v36, v0, s44 dst_sel:DWORD dst_unused:UNUSED_PAD src0_sel:BYTE_3 src1_sel:DWORD
                                        ; implicit-def: $vgpr0
; %bb.5793:                             ;   in Loop: Header=BB4_5364 Depth=3
	s_andn2_saveexec_b64 s[30:31], vcc
; %bb.5794:                             ;   in Loop: Header=BB4_5364 Depth=3
	v_cmp_lt_i32_e32 vcc, -1, v0
	v_bfrev_b32_e32 v0, 0.5
	v_mov_b32_e32 v1, 0x7c
	v_cndmask_b32_e32 v36, v0, v1, vcc
; %bb.5795:                             ;   in Loop: Header=BB4_5364 Depth=3
	s_or_b64 exec, exec, s[30:31]
.LBB4_5796:                             ;   in Loop: Header=BB4_5364 Depth=3
	s_or_b64 exec, exec, s[28:29]
	v_mov_b32_e32 v60, v23
	v_cmp_ne_u16_sdwa vcc, v23, v61 src0_sel:BYTE_0 src1_sel:DWORD
	v_mov_b32_e32 v1, 0
	v_mov_b32_e32 v0, 0
	s_and_saveexec_b64 s[28:29], vcc
	s_cbranch_execz .LBB4_5804
; %bb.5797:                             ;   in Loop: Header=BB4_5364 Depth=3
	v_cmp_ne_u16_sdwa vcc, v23, s81 src0_sel:BYTE_0 src1_sel:DWORD
	v_bfrev_b32_e32 v0, 1
	s_and_saveexec_b64 s[30:31], vcc
	s_cbranch_execz .LBB4_5803
; %bb.5798:                             ;   in Loop: Header=BB4_5364 Depth=3
	v_and_b32_e32 v0, 0x7c, v23
	v_and_b32_e32 v2, 3, v23
	v_cmp_ne_u32_e32 vcc, s71, v0
                                        ; implicit-def: $vgpr0
	s_and_saveexec_b64 s[34:35], vcc
	s_xor_b64 s[34:35], exec, s[34:35]
	s_cbranch_execz .LBB4_5800
; %bb.5799:                             ;   in Loop: Header=BB4_5364 Depth=3
	v_ffbh_u32_e32 v37, v2
	v_min_u32_e32 v39, 32, v37
	v_subrev_u32_e32 v37, 29, v39
	v_lshlrev_b64 v[37:38], v37, v[60:61]
	v_bfe_u32 v0, v23, 2, 5
	v_and_b32_e32 v37, 3, v37
	v_cmp_eq_u32_e32 vcc, 0, v0
	v_sub_u32_e32 v38, 30, v39
	v_cndmask_b32_e32 v2, v2, v37, vcc
	v_lshlrev_b32_e32 v37, 24, v23
	v_cndmask_b32_e32 v0, v0, v38, vcc
	v_and_b32_e32 v37, 0x80000000, v37
	v_lshl_add_u32 v0, v0, 23, v37
	v_lshl_or_b32 v0, v2, 21, v0
	v_add_u32_e32 v0, 0x38000000, v0
                                        ; implicit-def: $vgpr2
.LBB4_5800:                             ;   in Loop: Header=BB4_5364 Depth=3
	s_andn2_saveexec_b64 s[34:35], s[34:35]
; %bb.5801:                             ;   in Loop: Header=BB4_5364 Depth=3
	v_mov_b32_e32 v0, -1
	v_cmp_gt_i16_sdwa vcc, sext(v23), v0 src0_sel:BYTE_0 src1_sel:DWORD
	v_mov_b32_e32 v0, 0xff800000
	v_cndmask_b32_e32 v0, v0, v47, vcc
	v_cmp_eq_u32_e32 vcc, 0, v2
	v_mov_b32_e32 v2, 0x7f800001
	v_cndmask_b32_e32 v0, v2, v0, vcc
; %bb.5802:                             ;   in Loop: Header=BB4_5364 Depth=3
	s_or_b64 exec, exec, s[34:35]
.LBB4_5803:                             ;   in Loop: Header=BB4_5364 Depth=3
	s_or_b64 exec, exec, s[30:31]
.LBB4_5804:                             ;   in Loop: Header=BB4_5364 Depth=3
	s_or_b64 exec, exec, s[28:29]
	v_cmp_ne_u16_sdwa vcc, v19, v61 src0_sel:BYTE_0 src1_sel:DWORD
	s_and_saveexec_b64 s[28:29], vcc
	s_cbranch_execz .LBB4_5812
; %bb.5805:                             ;   in Loop: Header=BB4_5364 Depth=3
	v_cmp_ne_u16_sdwa vcc, v19, s81 src0_sel:BYTE_0 src1_sel:DWORD
	v_bfrev_b32_e32 v1, 1
	s_and_saveexec_b64 s[30:31], vcc
	s_cbranch_execz .LBB4_5811
; %bb.5806:                             ;   in Loop: Header=BB4_5364 Depth=3
	v_and_b32_e32 v1, 0x7c, v19
	v_and_b32_e32 v2, 3, v19
	v_cmp_ne_u32_e32 vcc, s71, v1
                                        ; implicit-def: $vgpr1
	s_and_saveexec_b64 s[34:35], vcc
	s_xor_b64 s[34:35], exec, s[34:35]
	s_cbranch_execz .LBB4_5808
; %bb.5807:                             ;   in Loop: Header=BB4_5364 Depth=3
	v_ffbh_u32_e32 v39, v2
	v_min_u32_e32 v39, 32, v39
	v_mov_b32_e32 v37, v19
	v_mov_b32_e32 v38, v61
	v_subrev_u32_e32 v50, 29, v39
	v_lshlrev_b64 v[37:38], v50, v[37:38]
	v_bfe_u32 v1, v19, 2, 5
	v_and_b32_e32 v37, 3, v37
	v_cmp_eq_u32_e32 vcc, 0, v1
	v_sub_u32_e32 v38, 30, v39
	v_cndmask_b32_e32 v2, v2, v37, vcc
	v_lshlrev_b32_e32 v37, 24, v19
	v_cndmask_b32_e32 v1, v1, v38, vcc
	v_and_b32_e32 v37, 0x80000000, v37
	v_lshl_add_u32 v1, v1, 23, v37
	v_lshl_or_b32 v1, v2, 21, v1
	v_add_u32_e32 v1, 0x38000000, v1
                                        ; implicit-def: $vgpr2
.LBB4_5808:                             ;   in Loop: Header=BB4_5364 Depth=3
	s_andn2_saveexec_b64 s[34:35], s[34:35]
; %bb.5809:                             ;   in Loop: Header=BB4_5364 Depth=3
	v_mov_b32_e32 v1, -1
	v_cmp_gt_i16_sdwa vcc, sext(v19), v1 src0_sel:BYTE_0 src1_sel:DWORD
	v_mov_b32_e32 v1, 0xff800000
	v_cndmask_b32_e32 v1, v1, v47, vcc
	v_cmp_eq_u32_e32 vcc, 0, v2
	v_mov_b32_e32 v2, 0x7f800001
	v_cndmask_b32_e32 v1, v2, v1, vcc
; %bb.5810:                             ;   in Loop: Header=BB4_5364 Depth=3
	s_or_b64 exec, exec, s[34:35]
.LBB4_5811:                             ;   in Loop: Header=BB4_5364 Depth=3
	s_or_b64 exec, exec, s[30:31]
.LBB4_5812:                             ;   in Loop: Header=BB4_5364 Depth=3
	s_or_b64 exec, exec, s[28:29]
	v_mul_f32_e32 v2, v0, v1
	v_and_b32_e32 v37, 0x7f800000, v2
	v_mov_b32_e32 v38, v61
	v_cmp_ne_u64_e32 vcc, s[62:63], v[37:38]
	v_and_b32_e32 v0, 0x7fffff, v2
	v_mov_b32_e32 v1, v61
                                        ; implicit-def: $vgpr37
	s_and_saveexec_b64 s[28:29], vcc
	s_xor_b64 s[30:31], exec, s[28:29]
	s_cbranch_execz .LBB4_5826
; %bb.5813:                             ;   in Loop: Header=BB4_5364 Depth=3
	v_and_b32_e32 v37, 0x7fffffff, v2
	v_mov_b32_e32 v38, v61
	v_cmp_gt_u64_e32 vcc, s[78:79], v[37:38]
	v_and_b32_sdwa v38, v2, s81 dst_sel:DWORD dst_unused:UNUSED_PAD src0_sel:BYTE_3 src1_sel:DWORD
                                        ; implicit-def: $vgpr37
	s_and_saveexec_b64 s[28:29], vcc
	s_xor_b64 s[34:35], exec, s[28:29]
	s_cbranch_execz .LBB4_5823
; %bb.5814:                             ;   in Loop: Header=BB4_5364 Depth=3
	v_mov_b32_e32 v37, 0
	v_cmp_ne_u32_e32 vcc, 0, v2
	s_and_saveexec_b64 s[36:37], vcc
	s_cbranch_execz .LBB4_5822
; %bb.5815:                             ;   in Loop: Header=BB4_5364 Depth=3
	v_bfe_u32 v37, v2, 23, 8
	v_cmp_gt_u32_e64 s[28:29], s47, v37
	v_sub_u32_e32 v2, 0x71, v37
	v_cmp_eq_u32_e32 vcc, 0, v37
	v_cndmask_b32_e64 v2, 0, v2, s[28:29]
	v_mov_b32_e32 v39, 0x70
	v_cndmask_b32_e32 v39, v2, v39, vcc
	v_or_b32_e32 v50, 0x800000, v0
	v_add_u32_e32 v2, 21, v39
	v_cndmask_b32_e32 v0, v50, v0, vcc
	v_lshlrev_b64 v[50:51], v2, -1
	v_add_u32_e32 v2, 20, v39
	v_bfi_b32 v50, v50, 0, v0
	v_lshlrev_b64 v[52:53], v2, 1
	v_lshrrev_b64 v[0:1], v39, v[0:1]
	v_bfi_b32 v51, v51, 0, 0
	v_cmp_eq_u64_e64 s[28:29], v[50:51], v[52:53]
	v_mov_b32_e32 v2, v1
	v_mov_b32_e32 v1, v0
	s_and_saveexec_b64 s[38:39], s[28:29]
; %bb.5816:                             ;   in Loop: Header=BB4_5364 Depth=3
	v_bfe_u32 v1, v0, 21, 1
	v_add_co_u32_e64 v1, s[28:29], v0, v1
	v_add_co_u32_e64 v1, s[28:29], -1, v1
; %bb.5817:                             ;   in Loop: Header=BB4_5364 Depth=3
	s_or_b64 exec, exec, s[38:39]
	v_add_u32_e32 v2, 0xffffff81, v37
	v_mov_b32_e32 v37, 0xffffff82
	v_cndmask_b32_e32 v2, v2, v37, vcc
	v_lshrrev_b32_e32 v37, 23, v0
	v_add3_u32 v39, v39, v2, v37
	v_add_u32_e32 v37, 14, v39
	v_and_b32_e32 v1, 0x1fffff, v1
	v_add_u32_e32 v0, v1, v0
	v_mov_b32_e32 v1, v61
	v_cmp_ne_u32_e32 vcc, 0, v37
                                        ; implicit-def: $vgpr2
	s_and_saveexec_b64 s[28:29], vcc
	s_xor_b64 s[28:29], exec, s[28:29]
; %bb.5818:                             ;   in Loop: Header=BB4_5364 Depth=3
	v_cmp_lt_u64_e32 vcc, s[88:89], v[0:1]
	v_add_u32_e32 v2, 15, v39
	v_cndmask_b32_e32 v2, v37, v2, vcc
	v_cndmask_b32_e64 v37, 0, 1, vcc
	v_lshrrev_b64 v[0:1], v37, v[0:1]
; %bb.5819:                             ;   in Loop: Header=BB4_5364 Depth=3
	s_andn2_saveexec_b64 s[28:29], s[28:29]
; %bb.5820:                             ;   in Loop: Header=BB4_5364 Depth=3
	v_bfe_u32 v2, v0, 23, 1
; %bb.5821:                             ;   in Loop: Header=BB4_5364 Depth=3
	s_or_b64 exec, exec, s[28:29]
	v_lshrrev_b64 v[0:1], 21, v[0:1]
	v_cmp_gt_i32_e32 vcc, 32, v2
	v_cndmask_b32_e32 v1, 0, v1, vcc
	v_cndmask_b32_e32 v0, 3, v0, vcc
	v_cmp_eq_u64_e64 s[28:29], 0, v[0:1]
	v_min_i32_e32 v1, 31, v2
	v_lshlrev_b32_e32 v1, 2, v1
	v_cmp_eq_u32_e32 vcc, 0, v2
	v_and_b32_e32 v1, 0xfc, v1
	v_and_or_b32 v0, v0, 3, v1
	s_and_b64 s[28:29], vcc, s[28:29]
	v_cndmask_b32_e64 v0, v0, 0, s[28:29]
	v_or_b32_e32 v37, v0, v38
.LBB4_5822:                             ;   in Loop: Header=BB4_5364 Depth=3
	s_or_b64 exec, exec, s[36:37]
                                        ; implicit-def: $vgpr38
.LBB4_5823:                             ;   in Loop: Header=BB4_5364 Depth=3
	s_andn2_saveexec_b64 s[28:29], s[34:35]
; %bb.5824:                             ;   in Loop: Header=BB4_5364 Depth=3
	v_or_b32_e32 v37, 0x7b, v38
; %bb.5825:                             ;   in Loop: Header=BB4_5364 Depth=3
	s_or_b64 exec, exec, s[28:29]
                                        ; implicit-def: $vgpr2
                                        ; implicit-def: $vgpr0_vgpr1
.LBB4_5826:                             ;   in Loop: Header=BB4_5364 Depth=3
	s_andn2_saveexec_b64 s[28:29], s[30:31]
	s_cbranch_execz .LBB4_5832
; %bb.5827:                             ;   in Loop: Header=BB4_5364 Depth=3
	v_cmp_ne_u64_e32 vcc, 0, v[0:1]
                                        ; implicit-def: $vgpr37
	s_and_saveexec_b64 s[30:31], vcc
	s_xor_b64 vcc, exec, s[30:31]
; %bb.5828:                             ;   in Loop: Header=BB4_5364 Depth=3
	v_or_b32_sdwa v37, v2, s44 dst_sel:DWORD dst_unused:UNUSED_PAD src0_sel:BYTE_3 src1_sel:DWORD
                                        ; implicit-def: $vgpr2
; %bb.5829:                             ;   in Loop: Header=BB4_5364 Depth=3
	s_andn2_saveexec_b64 s[30:31], vcc
; %bb.5830:                             ;   in Loop: Header=BB4_5364 Depth=3
	v_cmp_lt_i32_e32 vcc, -1, v2
	v_bfrev_b32_e32 v0, 0.5
	v_mov_b32_e32 v1, 0x7c
	v_cndmask_b32_e32 v37, v0, v1, vcc
; %bb.5831:                             ;   in Loop: Header=BB4_5364 Depth=3
	s_or_b64 exec, exec, s[30:31]
.LBB4_5832:                             ;   in Loop: Header=BB4_5364 Depth=3
	s_or_b64 exec, exec, s[28:29]
	v_lshrrev_b16_e32 v0, 8, v60
	v_cmp_ne_u16_e32 vcc, 0, v0
	v_mov_b32_e32 v2, 0
	v_mov_b32_e32 v38, 0
	s_and_saveexec_b64 s[28:29], vcc
	s_cbranch_execz .LBB4_5840
; %bb.5833:                             ;   in Loop: Header=BB4_5364 Depth=3
	v_cmp_ne_u16_e32 vcc, s81, v0
	v_bfrev_b32_e32 v38, 1
	s_and_saveexec_b64 s[30:31], vcc
	s_cbranch_execz .LBB4_5839
; %bb.5834:                             ;   in Loop: Header=BB4_5364 Depth=3
	v_and_b32_e32 v1, 0x7c, v0
	v_and_b32_e32 v39, 3, v0
	v_cmp_ne_u32_e32 vcc, s71, v1
                                        ; implicit-def: $vgpr38
	s_and_saveexec_b64 s[34:35], vcc
	s_xor_b64 s[34:35], exec, s[34:35]
	s_cbranch_execz .LBB4_5836
; %bb.5835:                             ;   in Loop: Header=BB4_5364 Depth=3
	v_ffbh_u32_e32 v50, v39
	v_min_u32_e32 v50, 32, v50
	v_mov_b32_e32 v1, v61
	v_subrev_u32_e32 v51, 29, v50
	v_bfe_u32 v38, v0, 2, 5
	v_lshlrev_b64 v[0:1], v51, v[0:1]
	v_sub_u32_e32 v1, 30, v50
	v_cmp_eq_u32_e32 vcc, 0, v38
	v_cndmask_b32_e32 v1, v38, v1, vcc
	v_lshlrev_b32_e32 v38, 16, v60
	v_and_b32_e32 v0, 3, v0
	v_and_b32_e32 v38, 0x80000000, v38
	v_cndmask_b32_e32 v0, v39, v0, vcc
	v_lshl_add_u32 v1, v1, 23, v38
	v_lshl_or_b32 v0, v0, 21, v1
	v_add_u32_e32 v38, 0x38000000, v0
                                        ; implicit-def: $vgpr39
.LBB4_5836:                             ;   in Loop: Header=BB4_5364 Depth=3
	s_andn2_saveexec_b64 s[34:35], s[34:35]
; %bb.5837:                             ;   in Loop: Header=BB4_5364 Depth=3
	v_cmp_lt_i16_e32 vcc, -1, v60
	v_mov_b32_e32 v0, 0xff800000
	v_cndmask_b32_e32 v0, v0, v47, vcc
	v_cmp_eq_u32_e32 vcc, 0, v39
	v_mov_b32_e32 v1, 0x7f800001
	v_cndmask_b32_e32 v38, v1, v0, vcc
; %bb.5838:                             ;   in Loop: Header=BB4_5364 Depth=3
	s_or_b64 exec, exec, s[34:35]
.LBB4_5839:                             ;   in Loop: Header=BB4_5364 Depth=3
	s_or_b64 exec, exec, s[30:31]
.LBB4_5840:                             ;   in Loop: Header=BB4_5364 Depth=3
	s_or_b64 exec, exec, s[28:29]
	v_lshrrev_b16_e32 v0, 8, v19
	v_cmp_ne_u16_e32 vcc, 0, v0
	s_and_saveexec_b64 s[28:29], vcc
	s_cbranch_execz .LBB4_5848
; %bb.5841:                             ;   in Loop: Header=BB4_5364 Depth=3
	v_cmp_ne_u16_e32 vcc, s81, v0
	v_bfrev_b32_e32 v2, 1
	s_and_saveexec_b64 s[30:31], vcc
	s_cbranch_execz .LBB4_5847
; %bb.5842:                             ;   in Loop: Header=BB4_5364 Depth=3
	v_and_b32_e32 v1, 0x7c, v0
	v_and_b32_e32 v39, 3, v0
	v_cmp_ne_u32_e32 vcc, s71, v1
                                        ; implicit-def: $vgpr2
	s_and_saveexec_b64 s[34:35], vcc
	s_xor_b64 s[34:35], exec, s[34:35]
	s_cbranch_execz .LBB4_5844
; %bb.5843:                             ;   in Loop: Header=BB4_5364 Depth=3
	v_ffbh_u32_e32 v50, v39
	v_min_u32_e32 v50, 32, v50
	v_mov_b32_e32 v1, v61
	v_subrev_u32_e32 v51, 29, v50
	v_bfe_u32 v2, v0, 2, 5
	v_lshlrev_b64 v[0:1], v51, v[0:1]
	v_sub_u32_e32 v1, 30, v50
	v_cmp_eq_u32_e32 vcc, 0, v2
	v_cndmask_b32_e32 v1, v2, v1, vcc
	v_lshlrev_b32_e32 v2, 16, v19
	v_and_b32_e32 v0, 3, v0
	v_and_b32_e32 v2, 0x80000000, v2
	v_cndmask_b32_e32 v0, v39, v0, vcc
	v_lshl_add_u32 v1, v1, 23, v2
	v_lshl_or_b32 v0, v0, 21, v1
	v_add_u32_e32 v2, 0x38000000, v0
                                        ; implicit-def: $vgpr39
.LBB4_5844:                             ;   in Loop: Header=BB4_5364 Depth=3
	s_andn2_saveexec_b64 s[34:35], s[34:35]
; %bb.5845:                             ;   in Loop: Header=BB4_5364 Depth=3
	v_cmp_lt_i16_e32 vcc, -1, v19
	v_mov_b32_e32 v0, 0xff800000
	v_cndmask_b32_e32 v0, v0, v47, vcc
	v_cmp_eq_u32_e32 vcc, 0, v39
	v_mov_b32_e32 v1, 0x7f800001
	v_cndmask_b32_e32 v2, v1, v0, vcc
; %bb.5846:                             ;   in Loop: Header=BB4_5364 Depth=3
	s_or_b64 exec, exec, s[34:35]
.LBB4_5847:                             ;   in Loop: Header=BB4_5364 Depth=3
	s_or_b64 exec, exec, s[30:31]
.LBB4_5848:                             ;   in Loop: Header=BB4_5364 Depth=3
	s_or_b64 exec, exec, s[28:29]
	v_mul_f32_e32 v0, v38, v2
	v_and_b32_e32 v1, 0x7f800000, v0
	v_mov_b32_e32 v2, v61
	v_cmp_ne_u64_e32 vcc, s[62:63], v[1:2]
	v_and_b32_e32 v60, 0x7fffff, v0
                                        ; implicit-def: $vgpr38
	s_and_saveexec_b64 s[28:29], vcc
	s_xor_b64 s[30:31], exec, s[28:29]
	s_cbranch_execz .LBB4_5862
; %bb.5849:                             ;   in Loop: Header=BB4_5364 Depth=3
	v_and_b32_e32 v1, 0x7fffffff, v0
	v_mov_b32_e32 v2, v61
	v_cmp_gt_u64_e32 vcc, s[78:79], v[1:2]
	v_and_b32_sdwa v39, v0, s81 dst_sel:DWORD dst_unused:UNUSED_PAD src0_sel:BYTE_3 src1_sel:DWORD
                                        ; implicit-def: $vgpr38
	s_and_saveexec_b64 s[28:29], vcc
	s_xor_b64 s[34:35], exec, s[28:29]
	s_cbranch_execz .LBB4_5859
; %bb.5850:                             ;   in Loop: Header=BB4_5364 Depth=3
	v_mov_b32_e32 v38, 0
	v_cmp_ne_u32_e32 vcc, 0, v0
	s_and_saveexec_b64 s[36:37], vcc
	s_cbranch_execz .LBB4_5858
; %bb.5851:                             ;   in Loop: Header=BB4_5364 Depth=3
	v_bfe_u32 v38, v0, 23, 8
	v_cmp_gt_u32_e64 s[28:29], s47, v38
	v_sub_u32_e32 v0, 0x71, v38
	v_cmp_eq_u32_e32 vcc, 0, v38
	v_cndmask_b32_e64 v0, 0, v0, s[28:29]
	v_mov_b32_e32 v2, 0x70
	v_cndmask_b32_e32 v50, v0, v2, vcc
	v_add_u32_e32 v2, 21, v50
	v_or_b32_e32 v1, 0x800000, v60
	v_lshlrev_b64 v[51:52], v2, -1
	v_cndmask_b32_e32 v0, v1, v60, vcc
	v_mov_b32_e32 v1, v61
	v_add_u32_e32 v2, 20, v50
	v_bfi_b32 v51, v51, 0, v0
	v_lshlrev_b64 v[53:54], v2, 1
	v_lshrrev_b64 v[0:1], v50, v[0:1]
	v_bfi_b32 v52, v52, 0, 0
	v_cmp_eq_u64_e64 s[28:29], v[51:52], v[53:54]
	v_mov_b32_e32 v2, v1
	v_mov_b32_e32 v1, v0
	s_and_saveexec_b64 s[38:39], s[28:29]
; %bb.5852:                             ;   in Loop: Header=BB4_5364 Depth=3
	v_bfe_u32 v1, v0, 21, 1
	v_add_co_u32_e64 v1, s[28:29], v0, v1
	v_add_co_u32_e64 v1, s[28:29], -1, v1
; %bb.5853:                             ;   in Loop: Header=BB4_5364 Depth=3
	s_or_b64 exec, exec, s[38:39]
	v_add_u32_e32 v2, 0xffffff81, v38
	v_mov_b32_e32 v38, 0xffffff82
	v_cndmask_b32_e32 v2, v2, v38, vcc
	v_lshrrev_b32_e32 v38, 23, v0
	v_add3_u32 v50, v50, v2, v38
	v_add_u32_e32 v38, 14, v50
	v_and_b32_e32 v1, 0x1fffff, v1
	v_add_u32_e32 v60, v1, v0
	v_cmp_ne_u32_e32 vcc, 0, v38
                                        ; implicit-def: $vgpr0_vgpr1
                                        ; implicit-def: $vgpr2
	s_and_saveexec_b64 s[28:29], vcc
	s_xor_b64 s[28:29], exec, s[28:29]
; %bb.5854:                             ;   in Loop: Header=BB4_5364 Depth=3
	v_cmp_lt_u64_e32 vcc, s[88:89], v[60:61]
	v_add_u32_e32 v0, 15, v50
	v_cndmask_b32_e32 v2, v38, v0, vcc
	v_cndmask_b32_e64 v0, 0, 1, vcc
	v_lshrrev_b64 v[0:1], v0, v[60:61]
; %bb.5855:                             ;   in Loop: Header=BB4_5364 Depth=3
	s_andn2_saveexec_b64 s[28:29], s[28:29]
; %bb.5856:                             ;   in Loop: Header=BB4_5364 Depth=3
	v_mov_b32_e32 v0, v60
	v_mov_b32_e32 v1, v61
	v_bfe_u32 v2, v60, 23, 1
; %bb.5857:                             ;   in Loop: Header=BB4_5364 Depth=3
	s_or_b64 exec, exec, s[28:29]
	v_lshrrev_b64 v[0:1], 21, v[0:1]
	v_cmp_gt_i32_e32 vcc, 32, v2
	v_cndmask_b32_e32 v1, 0, v1, vcc
	v_cndmask_b32_e32 v0, 3, v0, vcc
	v_cmp_eq_u64_e64 s[28:29], 0, v[0:1]
	v_min_i32_e32 v1, 31, v2
	v_lshlrev_b32_e32 v1, 2, v1
	v_cmp_eq_u32_e32 vcc, 0, v2
	v_and_b32_e32 v1, 0xfc, v1
	v_and_or_b32 v0, v0, 3, v1
	s_and_b64 s[28:29], vcc, s[28:29]
	v_cndmask_b32_e64 v0, v0, 0, s[28:29]
	v_or_b32_e32 v38, v0, v39
.LBB4_5858:                             ;   in Loop: Header=BB4_5364 Depth=3
	s_or_b64 exec, exec, s[36:37]
                                        ; implicit-def: $vgpr39
.LBB4_5859:                             ;   in Loop: Header=BB4_5364 Depth=3
	s_andn2_saveexec_b64 s[28:29], s[34:35]
; %bb.5860:                             ;   in Loop: Header=BB4_5364 Depth=3
	v_or_b32_e32 v38, 0x7b, v39
; %bb.5861:                             ;   in Loop: Header=BB4_5364 Depth=3
	s_or_b64 exec, exec, s[28:29]
                                        ; implicit-def: $vgpr0
.LBB4_5862:                             ;   in Loop: Header=BB4_5364 Depth=3
	s_andn2_saveexec_b64 s[28:29], s[30:31]
	s_cbranch_execz .LBB4_5868
; %bb.5863:                             ;   in Loop: Header=BB4_5364 Depth=3
	v_cmp_ne_u64_e32 vcc, 0, v[60:61]
                                        ; implicit-def: $vgpr38
	s_and_saveexec_b64 s[30:31], vcc
	s_xor_b64 vcc, exec, s[30:31]
; %bb.5864:                             ;   in Loop: Header=BB4_5364 Depth=3
	v_or_b32_sdwa v38, v0, s44 dst_sel:DWORD dst_unused:UNUSED_PAD src0_sel:BYTE_3 src1_sel:DWORD
                                        ; implicit-def: $vgpr0
; %bb.5865:                             ;   in Loop: Header=BB4_5364 Depth=3
	s_andn2_saveexec_b64 s[30:31], vcc
; %bb.5866:                             ;   in Loop: Header=BB4_5364 Depth=3
	v_cmp_lt_i32_e32 vcc, -1, v0
	v_bfrev_b32_e32 v0, 0.5
	v_mov_b32_e32 v1, 0x7c
	v_cndmask_b32_e32 v38, v0, v1, vcc
; %bb.5867:                             ;   in Loop: Header=BB4_5364 Depth=3
	s_or_b64 exec, exec, s[30:31]
.LBB4_5868:                             ;   in Loop: Header=BB4_5364 Depth=3
	s_or_b64 exec, exec, s[28:29]
	v_lshrrev_b32_e32 v0, 16, v23
	v_cmp_ne_u16_sdwa vcc, v0, v61 src0_sel:BYTE_0 src1_sel:DWORD
	v_mov_b32_e32 v1, 0
	v_mov_b32_e32 v2, 0
	s_and_saveexec_b64 s[28:29], vcc
	s_cbranch_execz .LBB4_5876
; %bb.5869:                             ;   in Loop: Header=BB4_5364 Depth=3
	v_cmp_ne_u16_sdwa vcc, v0, s81 src0_sel:BYTE_0 src1_sel:DWORD
	v_bfrev_b32_e32 v2, 1
	s_and_saveexec_b64 s[30:31], vcc
	s_cbranch_execz .LBB4_5875
; %bb.5870:                             ;   in Loop: Header=BB4_5364 Depth=3
	v_and_b32_e32 v2, 0x7c0000, v23
	v_bfe_u32 v39, v23, 16, 2
	v_cmp_ne_u32_e32 vcc, s45, v2
                                        ; implicit-def: $vgpr2
	s_and_saveexec_b64 s[34:35], vcc
	s_xor_b64 s[34:35], exec, s[34:35]
	s_cbranch_execz .LBB4_5872
; %bb.5871:                             ;   in Loop: Header=BB4_5364 Depth=3
	v_ffbh_u32_e32 v50, v39
	v_min_u32_e32 v52, 32, v50
	v_subrev_u32_e32 v50, 29, v52
	v_lshlrev_b64 v[50:51], v50, v[0:1]
	v_bfe_u32 v2, v23, 18, 5
	v_sub_u32_e32 v0, 30, v52
	v_and_b32_e32 v50, 3, v50
	v_cmp_eq_u32_e32 vcc, 0, v2
	v_cndmask_b32_e32 v0, v2, v0, vcc
	v_cndmask_b32_e32 v2, v39, v50, vcc
	v_lshlrev_b32_e32 v39, 8, v23
	v_and_b32_e32 v39, 0x80000000, v39
	v_lshl_add_u32 v0, v0, 23, v39
	v_lshl_or_b32 v0, v2, 21, v0
	v_add_u32_e32 v2, 0x38000000, v0
                                        ; implicit-def: $vgpr39
                                        ; implicit-def: $vgpr0
.LBB4_5872:                             ;   in Loop: Header=BB4_5364 Depth=3
	s_andn2_saveexec_b64 s[34:35], s[34:35]
; %bb.5873:                             ;   in Loop: Header=BB4_5364 Depth=3
	v_mov_b32_e32 v2, -1
	v_cmp_gt_i16_sdwa vcc, sext(v0), v2 src0_sel:BYTE_0 src1_sel:DWORD
	v_mov_b32_e32 v0, 0xff800000
	v_cndmask_b32_e32 v0, v0, v47, vcc
	v_cmp_eq_u32_e32 vcc, 0, v39
	v_mov_b32_e32 v2, 0x7f800001
	v_cndmask_b32_e32 v2, v2, v0, vcc
; %bb.5874:                             ;   in Loop: Header=BB4_5364 Depth=3
	s_or_b64 exec, exec, s[34:35]
.LBB4_5875:                             ;   in Loop: Header=BB4_5364 Depth=3
	s_or_b64 exec, exec, s[30:31]
.LBB4_5876:                             ;   in Loop: Header=BB4_5364 Depth=3
	s_or_b64 exec, exec, s[28:29]
	v_lshrrev_b32_e32 v0, 16, v19
	v_cmp_ne_u16_sdwa vcc, v0, v61 src0_sel:BYTE_0 src1_sel:DWORD
	s_and_saveexec_b64 s[28:29], vcc
	s_cbranch_execz .LBB4_5884
; %bb.5877:                             ;   in Loop: Header=BB4_5364 Depth=3
	v_cmp_ne_u16_sdwa vcc, v0, s81 src0_sel:BYTE_0 src1_sel:DWORD
	v_bfrev_b32_e32 v1, 1
	s_and_saveexec_b64 s[30:31], vcc
	s_cbranch_execz .LBB4_5883
; %bb.5878:                             ;   in Loop: Header=BB4_5364 Depth=3
	v_and_b32_e32 v1, 0x7c0000, v19
	v_bfe_u32 v39, v19, 16, 2
	v_cmp_ne_u32_e32 vcc, s45, v1
                                        ; implicit-def: $vgpr1
	s_and_saveexec_b64 s[34:35], vcc
	s_xor_b64 s[34:35], exec, s[34:35]
	s_cbranch_execz .LBB4_5880
; %bb.5879:                             ;   in Loop: Header=BB4_5364 Depth=3
	v_ffbh_u32_e32 v1, v39
	v_min_u32_e32 v51, 32, v1
	v_subrev_u32_e32 v1, 29, v51
	v_lshlrev_b64 v[0:1], v1, v[0:1]
	v_bfe_u32 v50, v19, 18, 5
	v_and_b32_e32 v0, 3, v0
	v_cmp_eq_u32_e32 vcc, 0, v50
	v_sub_u32_e32 v1, 30, v51
	v_cndmask_b32_e32 v0, v39, v0, vcc
	v_lshlrev_b32_e32 v39, 8, v19
	v_cndmask_b32_e32 v1, v50, v1, vcc
	v_and_b32_e32 v39, 0x80000000, v39
	v_lshl_add_u32 v1, v1, 23, v39
	v_lshl_or_b32 v0, v0, 21, v1
	v_add_u32_e32 v1, 0x38000000, v0
                                        ; implicit-def: $vgpr39
                                        ; implicit-def: $vgpr0
.LBB4_5880:                             ;   in Loop: Header=BB4_5364 Depth=3
	s_andn2_saveexec_b64 s[34:35], s[34:35]
; %bb.5881:                             ;   in Loop: Header=BB4_5364 Depth=3
	v_mov_b32_e32 v1, -1
	v_cmp_gt_i16_sdwa vcc, sext(v0), v1 src0_sel:BYTE_0 src1_sel:DWORD
	v_mov_b32_e32 v0, 0xff800000
	v_cndmask_b32_e32 v0, v0, v47, vcc
	v_cmp_eq_u32_e32 vcc, 0, v39
	v_mov_b32_e32 v1, 0x7f800001
	v_cndmask_b32_e32 v1, v1, v0, vcc
; %bb.5882:                             ;   in Loop: Header=BB4_5364 Depth=3
	s_or_b64 exec, exec, s[34:35]
.LBB4_5883:                             ;   in Loop: Header=BB4_5364 Depth=3
	s_or_b64 exec, exec, s[30:31]
.LBB4_5884:                             ;   in Loop: Header=BB4_5364 Depth=3
	s_or_b64 exec, exec, s[28:29]
	v_mul_f32_e32 v0, v2, v1
	v_and_b32_e32 v1, 0x7f800000, v0
	v_mov_b32_e32 v2, v61
	v_cmp_ne_u64_e32 vcc, s[62:63], v[1:2]
	v_and_b32_e32 v60, 0x7fffff, v0
                                        ; implicit-def: $vgpr39
	s_and_saveexec_b64 s[28:29], vcc
	s_xor_b64 s[30:31], exec, s[28:29]
	s_cbranch_execz .LBB4_5898
; %bb.5885:                             ;   in Loop: Header=BB4_5364 Depth=3
	v_and_b32_e32 v1, 0x7fffffff, v0
	v_mov_b32_e32 v2, v61
	v_cmp_gt_u64_e32 vcc, s[78:79], v[1:2]
	v_and_b32_sdwa v50, v0, s81 dst_sel:DWORD dst_unused:UNUSED_PAD src0_sel:BYTE_3 src1_sel:DWORD
                                        ; implicit-def: $vgpr39
	s_and_saveexec_b64 s[28:29], vcc
	s_xor_b64 s[34:35], exec, s[28:29]
	s_cbranch_execz .LBB4_5895
; %bb.5886:                             ;   in Loop: Header=BB4_5364 Depth=3
	v_mov_b32_e32 v39, 0
	v_cmp_ne_u32_e32 vcc, 0, v0
	s_and_saveexec_b64 s[36:37], vcc
	s_cbranch_execz .LBB4_5894
; %bb.5887:                             ;   in Loop: Header=BB4_5364 Depth=3
	v_bfe_u32 v39, v0, 23, 8
	v_cmp_gt_u32_e64 s[28:29], s47, v39
	v_sub_u32_e32 v0, 0x71, v39
	v_cmp_eq_u32_e32 vcc, 0, v39
	v_cndmask_b32_e64 v0, 0, v0, s[28:29]
	v_mov_b32_e32 v2, 0x70
	v_cndmask_b32_e32 v51, v0, v2, vcc
	v_add_u32_e32 v2, 21, v51
	v_or_b32_e32 v1, 0x800000, v60
	v_lshlrev_b64 v[52:53], v2, -1
	v_cndmask_b32_e32 v0, v1, v60, vcc
	v_mov_b32_e32 v1, v61
	v_add_u32_e32 v2, 20, v51
	v_bfi_b32 v52, v52, 0, v0
	v_lshlrev_b64 v[54:55], v2, 1
	v_lshrrev_b64 v[0:1], v51, v[0:1]
	v_bfi_b32 v53, v53, 0, 0
	v_cmp_eq_u64_e64 s[28:29], v[52:53], v[54:55]
	v_mov_b32_e32 v2, v1
	v_mov_b32_e32 v1, v0
	s_and_saveexec_b64 s[38:39], s[28:29]
; %bb.5888:                             ;   in Loop: Header=BB4_5364 Depth=3
	v_bfe_u32 v1, v0, 21, 1
	v_add_co_u32_e64 v1, s[28:29], v0, v1
	v_add_co_u32_e64 v1, s[28:29], -1, v1
; %bb.5889:                             ;   in Loop: Header=BB4_5364 Depth=3
	s_or_b64 exec, exec, s[38:39]
	v_add_u32_e32 v2, 0xffffff81, v39
	v_mov_b32_e32 v39, 0xffffff82
	v_cndmask_b32_e32 v2, v2, v39, vcc
	v_lshrrev_b32_e32 v39, 23, v0
	v_add3_u32 v51, v51, v2, v39
	v_add_u32_e32 v39, 14, v51
	v_and_b32_e32 v1, 0x1fffff, v1
	v_add_u32_e32 v60, v1, v0
	v_cmp_ne_u32_e32 vcc, 0, v39
                                        ; implicit-def: $vgpr0_vgpr1
                                        ; implicit-def: $vgpr2
	s_and_saveexec_b64 s[28:29], vcc
	s_xor_b64 s[28:29], exec, s[28:29]
; %bb.5890:                             ;   in Loop: Header=BB4_5364 Depth=3
	v_cmp_lt_u64_e32 vcc, s[88:89], v[60:61]
	v_add_u32_e32 v0, 15, v51
	v_cndmask_b32_e32 v2, v39, v0, vcc
	v_cndmask_b32_e64 v0, 0, 1, vcc
	v_lshrrev_b64 v[0:1], v0, v[60:61]
; %bb.5891:                             ;   in Loop: Header=BB4_5364 Depth=3
	s_andn2_saveexec_b64 s[28:29], s[28:29]
; %bb.5892:                             ;   in Loop: Header=BB4_5364 Depth=3
	v_mov_b32_e32 v0, v60
	v_mov_b32_e32 v1, v61
	v_bfe_u32 v2, v60, 23, 1
; %bb.5893:                             ;   in Loop: Header=BB4_5364 Depth=3
	s_or_b64 exec, exec, s[28:29]
	v_lshrrev_b64 v[0:1], 21, v[0:1]
	v_cmp_gt_i32_e32 vcc, 32, v2
	v_cndmask_b32_e32 v1, 0, v1, vcc
	v_cndmask_b32_e32 v0, 3, v0, vcc
	v_cmp_eq_u64_e64 s[28:29], 0, v[0:1]
	v_min_i32_e32 v1, 31, v2
	v_lshlrev_b32_e32 v1, 2, v1
	v_cmp_eq_u32_e32 vcc, 0, v2
	v_and_b32_e32 v1, 0xfc, v1
	v_and_or_b32 v0, v0, 3, v1
	s_and_b64 s[28:29], vcc, s[28:29]
	v_cndmask_b32_e64 v0, v0, 0, s[28:29]
	v_or_b32_e32 v39, v0, v50
.LBB4_5894:                             ;   in Loop: Header=BB4_5364 Depth=3
	s_or_b64 exec, exec, s[36:37]
                                        ; implicit-def: $vgpr50
.LBB4_5895:                             ;   in Loop: Header=BB4_5364 Depth=3
	s_andn2_saveexec_b64 s[28:29], s[34:35]
; %bb.5896:                             ;   in Loop: Header=BB4_5364 Depth=3
	v_or_b32_e32 v39, 0x7b, v50
; %bb.5897:                             ;   in Loop: Header=BB4_5364 Depth=3
	s_or_b64 exec, exec, s[28:29]
                                        ; implicit-def: $vgpr0
.LBB4_5898:                             ;   in Loop: Header=BB4_5364 Depth=3
	s_andn2_saveexec_b64 s[28:29], s[30:31]
	s_cbranch_execz .LBB4_5904
; %bb.5899:                             ;   in Loop: Header=BB4_5364 Depth=3
	v_cmp_ne_u64_e32 vcc, 0, v[60:61]
                                        ; implicit-def: $vgpr39
	s_and_saveexec_b64 s[30:31], vcc
	s_xor_b64 vcc, exec, s[30:31]
; %bb.5900:                             ;   in Loop: Header=BB4_5364 Depth=3
	v_or_b32_sdwa v39, v0, s44 dst_sel:DWORD dst_unused:UNUSED_PAD src0_sel:BYTE_3 src1_sel:DWORD
                                        ; implicit-def: $vgpr0
; %bb.5901:                             ;   in Loop: Header=BB4_5364 Depth=3
	s_andn2_saveexec_b64 s[30:31], vcc
; %bb.5902:                             ;   in Loop: Header=BB4_5364 Depth=3
	v_cmp_lt_i32_e32 vcc, -1, v0
	v_bfrev_b32_e32 v0, 0.5
	v_mov_b32_e32 v1, 0x7c
	v_cndmask_b32_e32 v39, v0, v1, vcc
; %bb.5903:                             ;   in Loop: Header=BB4_5364 Depth=3
	s_or_b64 exec, exec, s[30:31]
.LBB4_5904:                             ;   in Loop: Header=BB4_5364 Depth=3
	s_or_b64 exec, exec, s[28:29]
	v_cmp_lt_u64_e32 vcc, s[56:57], v[22:23]
	v_mov_b32_e32 v1, 0
	v_mov_b32_e32 v2, 0
	s_and_saveexec_b64 s[28:29], vcc
	s_cbranch_execz .LBB4_5912
; %bb.5905:                             ;   in Loop: Header=BB4_5364 Depth=3
	v_lshrrev_b32_e32 v0, 24, v23
	v_cmp_ne_u32_e32 vcc, s81, v0
	v_bfrev_b32_e32 v2, 1
	s_and_saveexec_b64 s[30:31], vcc
	s_cbranch_execz .LBB4_5911
; %bb.5906:                             ;   in Loop: Header=BB4_5364 Depth=3
	v_and_b32_e32 v2, 0x7c000000, v23
	v_bfe_u32 v50, v23, 24, 2
	v_cmp_ne_u32_e32 vcc, s82, v2
                                        ; implicit-def: $vgpr2
	s_and_saveexec_b64 s[34:35], vcc
	s_xor_b64 s[34:35], exec, s[34:35]
	s_cbranch_execz .LBB4_5908
; %bb.5907:                             ;   in Loop: Header=BB4_5364 Depth=3
	v_ffbh_u32_e32 v22, v50
	v_min_u32_e32 v22, 32, v22
	v_subrev_u32_e32 v51, 29, v22
	v_lshlrev_b64 v[51:52], v51, v[0:1]
	v_bfe_u32 v2, v23, 26, 5
	v_sub_u32_e32 v0, 30, v22
	v_and_b32_e32 v22, 3, v51
	v_cmp_eq_u32_e32 vcc, 0, v2
	v_cndmask_b32_e32 v0, v2, v0, vcc
	v_cndmask_b32_e32 v2, v50, v22, vcc
	v_and_b32_e32 v22, 0x80000000, v23
	v_lshl_add_u32 v0, v0, 23, v22
	v_lshl_or_b32 v0, v2, 21, v0
	v_add_u32_e32 v2, 0x38000000, v0
                                        ; implicit-def: $vgpr50
                                        ; implicit-def: $vgpr22_vgpr23
.LBB4_5908:                             ;   in Loop: Header=BB4_5364 Depth=3
	s_andn2_saveexec_b64 s[34:35], s[34:35]
; %bb.5909:                             ;   in Loop: Header=BB4_5364 Depth=3
	v_cmp_lt_i64_e32 vcc, -1, v[22:23]
	v_mov_b32_e32 v0, 0xff800000
	v_cndmask_b32_e32 v0, v0, v47, vcc
	v_cmp_eq_u32_e32 vcc, 0, v50
	v_mov_b32_e32 v2, 0x7f800001
	v_cndmask_b32_e32 v2, v2, v0, vcc
; %bb.5910:                             ;   in Loop: Header=BB4_5364 Depth=3
	s_or_b64 exec, exec, s[34:35]
.LBB4_5911:                             ;   in Loop: Header=BB4_5364 Depth=3
	s_or_b64 exec, exec, s[30:31]
.LBB4_5912:                             ;   in Loop: Header=BB4_5364 Depth=3
	s_or_b64 exec, exec, s[28:29]
	v_cmp_lt_u64_e32 vcc, s[56:57], v[18:19]
	s_and_saveexec_b64 s[28:29], vcc
	s_cbranch_execz .LBB4_5920
; %bb.5913:                             ;   in Loop: Header=BB4_5364 Depth=3
	v_lshrrev_b32_e32 v0, 24, v19
	v_cmp_ne_u32_e32 vcc, s81, v0
	v_bfrev_b32_e32 v1, 1
	s_and_saveexec_b64 s[30:31], vcc
	s_cbranch_execz .LBB4_5919
; %bb.5914:                             ;   in Loop: Header=BB4_5364 Depth=3
	v_and_b32_e32 v1, 0x7c000000, v19
	v_bfe_u32 v22, v19, 24, 2
	v_cmp_ne_u32_e32 vcc, s82, v1
                                        ; implicit-def: $vgpr1
	s_and_saveexec_b64 s[34:35], vcc
	s_xor_b64 s[34:35], exec, s[34:35]
	s_cbranch_execz .LBB4_5916
; %bb.5915:                             ;   in Loop: Header=BB4_5364 Depth=3
	v_ffbh_u32_e32 v1, v22
	v_min_u32_e32 v23, 32, v1
	v_subrev_u32_e32 v1, 29, v23
	v_bfe_u32 v18, v19, 26, 5
	v_lshlrev_b64 v[0:1], v1, v[0:1]
	v_sub_u32_e32 v1, 30, v23
	v_cmp_eq_u32_e32 vcc, 0, v18
	v_and_b32_e32 v0, 3, v0
	v_cndmask_b32_e32 v1, v18, v1, vcc
	v_and_b32_e32 v18, 0x80000000, v19
	v_cndmask_b32_e32 v0, v22, v0, vcc
	v_lshl_add_u32 v1, v1, 23, v18
	v_lshl_or_b32 v0, v0, 21, v1
	v_add_u32_e32 v1, 0x38000000, v0
                                        ; implicit-def: $vgpr22
                                        ; implicit-def: $vgpr18_vgpr19
.LBB4_5916:                             ;   in Loop: Header=BB4_5364 Depth=3
	s_andn2_saveexec_b64 s[34:35], s[34:35]
; %bb.5917:                             ;   in Loop: Header=BB4_5364 Depth=3
	v_cmp_lt_i64_e32 vcc, -1, v[18:19]
	v_mov_b32_e32 v0, 0xff800000
	v_cndmask_b32_e32 v0, v0, v47, vcc
	v_cmp_eq_u32_e32 vcc, 0, v22
	v_mov_b32_e32 v1, 0x7f800001
	v_cndmask_b32_e32 v1, v1, v0, vcc
; %bb.5918:                             ;   in Loop: Header=BB4_5364 Depth=3
	s_or_b64 exec, exec, s[34:35]
.LBB4_5919:                             ;   in Loop: Header=BB4_5364 Depth=3
	s_or_b64 exec, exec, s[30:31]
.LBB4_5920:                             ;   in Loop: Header=BB4_5364 Depth=3
	s_or_b64 exec, exec, s[28:29]
	v_mul_f32_e32 v0, v2, v1
	v_and_b32_e32 v1, 0x7f800000, v0
	v_mov_b32_e32 v2, v61
	v_cmp_ne_u64_e32 vcc, s[62:63], v[1:2]
	v_and_b32_e32 v60, 0x7fffff, v0
                                        ; implicit-def: $vgpr18
	s_and_saveexec_b64 s[28:29], vcc
	s_xor_b64 s[30:31], exec, s[28:29]
	s_cbranch_execz .LBB4_5934
; %bb.5921:                             ;   in Loop: Header=BB4_5364 Depth=3
	v_and_b32_e32 v1, 0x7fffffff, v0
	v_mov_b32_e32 v2, v61
	v_cmp_gt_u64_e32 vcc, s[78:79], v[1:2]
	v_and_b32_sdwa v19, v0, s81 dst_sel:DWORD dst_unused:UNUSED_PAD src0_sel:BYTE_3 src1_sel:DWORD
                                        ; implicit-def: $vgpr18
	s_and_saveexec_b64 s[28:29], vcc
	s_xor_b64 s[34:35], exec, s[28:29]
	s_cbranch_execz .LBB4_5931
; %bb.5922:                             ;   in Loop: Header=BB4_5364 Depth=3
	v_mov_b32_e32 v18, 0
	v_cmp_ne_u32_e32 vcc, 0, v0
	s_and_saveexec_b64 s[36:37], vcc
	s_cbranch_execz .LBB4_5930
; %bb.5923:                             ;   in Loop: Header=BB4_5364 Depth=3
	v_bfe_u32 v18, v0, 23, 8
	v_cmp_gt_u32_e64 s[28:29], s47, v18
	v_sub_u32_e32 v0, 0x71, v18
	v_cmp_eq_u32_e32 vcc, 0, v18
	v_cndmask_b32_e64 v0, 0, v0, s[28:29]
	v_mov_b32_e32 v2, 0x70
	v_cndmask_b32_e32 v22, v0, v2, vcc
	v_add_u32_e32 v2, 21, v22
	v_or_b32_e32 v1, 0x800000, v60
	v_lshlrev_b64 v[50:51], v2, -1
	v_cndmask_b32_e32 v0, v1, v60, vcc
	v_mov_b32_e32 v1, v61
	v_add_u32_e32 v2, 20, v22
	v_bfi_b32 v50, v50, 0, v0
	v_lshlrev_b64 v[52:53], v2, 1
	v_lshrrev_b64 v[0:1], v22, v[0:1]
	v_bfi_b32 v51, v51, 0, 0
	v_cmp_eq_u64_e64 s[28:29], v[50:51], v[52:53]
	v_mov_b32_e32 v2, v1
	v_mov_b32_e32 v1, v0
	s_and_saveexec_b64 s[38:39], s[28:29]
; %bb.5924:                             ;   in Loop: Header=BB4_5364 Depth=3
	v_bfe_u32 v1, v0, 21, 1
	v_add_co_u32_e64 v1, s[28:29], v0, v1
	v_add_co_u32_e64 v1, s[28:29], -1, v1
; %bb.5925:                             ;   in Loop: Header=BB4_5364 Depth=3
	s_or_b64 exec, exec, s[38:39]
	v_add_u32_e32 v2, 0xffffff81, v18
	v_mov_b32_e32 v18, 0xffffff82
	v_cndmask_b32_e32 v2, v2, v18, vcc
	v_lshrrev_b32_e32 v18, 23, v0
	v_add3_u32 v22, v22, v2, v18
	v_add_u32_e32 v18, 14, v22
	v_and_b32_e32 v1, 0x1fffff, v1
	v_add_u32_e32 v60, v1, v0
	v_cmp_ne_u32_e32 vcc, 0, v18
                                        ; implicit-def: $vgpr0_vgpr1
                                        ; implicit-def: $vgpr2
	s_and_saveexec_b64 s[28:29], vcc
	s_xor_b64 s[28:29], exec, s[28:29]
; %bb.5926:                             ;   in Loop: Header=BB4_5364 Depth=3
	v_cmp_lt_u64_e32 vcc, s[88:89], v[60:61]
	v_add_u32_e32 v0, 15, v22
	v_cndmask_b32_e32 v2, v18, v0, vcc
	v_cndmask_b32_e64 v0, 0, 1, vcc
	v_lshrrev_b64 v[0:1], v0, v[60:61]
; %bb.5927:                             ;   in Loop: Header=BB4_5364 Depth=3
	s_andn2_saveexec_b64 s[28:29], s[28:29]
; %bb.5928:                             ;   in Loop: Header=BB4_5364 Depth=3
	v_mov_b32_e32 v0, v60
	v_mov_b32_e32 v1, v61
	v_bfe_u32 v2, v60, 23, 1
; %bb.5929:                             ;   in Loop: Header=BB4_5364 Depth=3
	s_or_b64 exec, exec, s[28:29]
	v_lshrrev_b64 v[0:1], 21, v[0:1]
	v_cmp_gt_i32_e32 vcc, 32, v2
	v_cndmask_b32_e32 v1, 0, v1, vcc
	v_cndmask_b32_e32 v0, 3, v0, vcc
	v_cmp_eq_u64_e64 s[28:29], 0, v[0:1]
	v_min_i32_e32 v1, 31, v2
	v_lshlrev_b32_e32 v1, 2, v1
	v_cmp_eq_u32_e32 vcc, 0, v2
	v_and_b32_e32 v1, 0xfc, v1
	v_and_or_b32 v0, v0, 3, v1
	s_and_b64 s[28:29], vcc, s[28:29]
	v_cndmask_b32_e64 v0, v0, 0, s[28:29]
	v_or_b32_e32 v18, v0, v19
.LBB4_5930:                             ;   in Loop: Header=BB4_5364 Depth=3
	s_or_b64 exec, exec, s[36:37]
                                        ; implicit-def: $vgpr19
.LBB4_5931:                             ;   in Loop: Header=BB4_5364 Depth=3
	s_andn2_saveexec_b64 s[28:29], s[34:35]
; %bb.5932:                             ;   in Loop: Header=BB4_5364 Depth=3
	v_or_b32_e32 v18, 0x7b, v19
; %bb.5933:                             ;   in Loop: Header=BB4_5364 Depth=3
	s_or_b64 exec, exec, s[28:29]
                                        ; implicit-def: $vgpr0
.LBB4_5934:                             ;   in Loop: Header=BB4_5364 Depth=3
	s_andn2_saveexec_b64 s[28:29], s[30:31]
	s_cbranch_execz .LBB4_5940
; %bb.5935:                             ;   in Loop: Header=BB4_5364 Depth=3
	v_cmp_ne_u64_e32 vcc, 0, v[60:61]
                                        ; implicit-def: $vgpr18
	s_and_saveexec_b64 s[30:31], vcc
	s_xor_b64 vcc, exec, s[30:31]
; %bb.5936:                             ;   in Loop: Header=BB4_5364 Depth=3
	v_or_b32_sdwa v18, v0, s44 dst_sel:DWORD dst_unused:UNUSED_PAD src0_sel:BYTE_3 src1_sel:DWORD
                                        ; implicit-def: $vgpr0
; %bb.5937:                             ;   in Loop: Header=BB4_5364 Depth=3
	s_andn2_saveexec_b64 s[30:31], vcc
; %bb.5938:                             ;   in Loop: Header=BB4_5364 Depth=3
	v_cmp_lt_i32_e32 vcc, -1, v0
	v_bfrev_b32_e32 v0, 0.5
	v_mov_b32_e32 v1, 0x7c
	v_cndmask_b32_e32 v18, v0, v1, vcc
; %bb.5939:                             ;   in Loop: Header=BB4_5364 Depth=3
	s_or_b64 exec, exec, s[30:31]
.LBB4_5940:                             ;   in Loop: Header=BB4_5364 Depth=3
	s_or_b64 exec, exec, s[28:29]
	v_cmp_ne_u16_sdwa vcc, v12, v61 src0_sel:BYTE_0 src1_sel:DWORD
	v_mov_b32_e32 v0, 0
	v_mov_b32_e32 v1, 0
	s_and_saveexec_b64 s[28:29], vcc
	s_cbranch_execz .LBB4_5948
; %bb.5941:                             ;   in Loop: Header=BB4_5364 Depth=3
	v_cmp_ne_u16_sdwa vcc, sext(v12), s70 src0_sel:BYTE_0 src1_sel:DWORD
	v_bfrev_b32_e32 v1, 1
	s_and_saveexec_b64 s[30:31], vcc
	s_cbranch_execz .LBB4_5947
; %bb.5942:                             ;   in Loop: Header=BB4_5364 Depth=3
	v_and_b32_e32 v1, 0x7c, v12
	v_and_b32_e32 v2, 3, v12
	v_cmp_ne_u32_e32 vcc, s71, v1
                                        ; implicit-def: $vgpr1
	s_and_saveexec_b64 s[34:35], vcc
	s_xor_b64 s[34:35], exec, s[34:35]
	s_cbranch_execz .LBB4_5944
; %bb.5943:                             ;   in Loop: Header=BB4_5364 Depth=3
	v_ffbh_u32_e32 v19, v2
	v_min_u32_e32 v19, 32, v19
	v_bfe_u32 v1, v12, 2, 5
	v_subrev_u32_e32 v22, 29, v19
	v_lshlrev_b64 v[22:23], v22, v[12:13]
	v_sub_u32_e32 v19, 30, v19
	v_cmp_eq_u32_e32 vcc, 0, v1
	v_cndmask_b32_e32 v1, v1, v19, vcc
	v_lshlrev_b32_e32 v19, 24, v12
	v_and_b32_e32 v22, 3, v22
	v_and_b32_e32 v19, 0x80000000, v19
	v_cndmask_b32_e32 v2, v2, v22, vcc
	v_lshl_add_u32 v1, v1, 23, v19
	v_lshl_or_b32 v1, v2, 21, v1
	v_add_u32_e32 v1, 0x38000000, v1
                                        ; implicit-def: $vgpr2
.LBB4_5944:                             ;   in Loop: Header=BB4_5364 Depth=3
	s_andn2_saveexec_b64 s[34:35], s[34:35]
; %bb.5945:                             ;   in Loop: Header=BB4_5364 Depth=3
	v_mov_b32_e32 v1, -1
	v_cmp_gt_i16_sdwa vcc, sext(v12), v1 src0_sel:BYTE_0 src1_sel:DWORD
	v_mov_b32_e32 v1, 0xff800000
	v_cndmask_b32_e32 v1, v1, v47, vcc
	v_cmp_eq_u32_e32 vcc, 0, v2
	v_mov_b32_e32 v2, 0x7f800001
	v_cndmask_b32_e32 v1, v2, v1, vcc
; %bb.5946:                             ;   in Loop: Header=BB4_5364 Depth=3
	s_or_b64 exec, exec, s[34:35]
.LBB4_5947:                             ;   in Loop: Header=BB4_5364 Depth=3
	s_or_b64 exec, exec, s[30:31]
.LBB4_5948:                             ;   in Loop: Header=BB4_5364 Depth=3
	s_or_b64 exec, exec, s[28:29]
	s_waitcnt vmcnt(0)
	v_cmp_ne_u16_sdwa vcc, v8, v61 src0_sel:BYTE_0 src1_sel:DWORD
	s_and_saveexec_b64 s[28:29], vcc
	s_cbranch_execz .LBB4_5956
; %bb.5949:                             ;   in Loop: Header=BB4_5364 Depth=3
	v_cmp_ne_u16_sdwa vcc, sext(v8), s70 src0_sel:BYTE_0 src1_sel:DWORD
	v_bfrev_b32_e32 v0, 1
	s_and_saveexec_b64 s[30:31], vcc
	s_cbranch_execz .LBB4_5955
; %bb.5950:                             ;   in Loop: Header=BB4_5364 Depth=3
	v_and_b32_e32 v0, 0x7c, v8
	v_and_b32_e32 v2, 3, v8
	v_cmp_ne_u32_e32 vcc, s71, v0
                                        ; implicit-def: $vgpr0
	s_and_saveexec_b64 s[34:35], vcc
	s_xor_b64 s[34:35], exec, s[34:35]
	s_cbranch_execz .LBB4_5952
; %bb.5951:                             ;   in Loop: Header=BB4_5364 Depth=3
	v_ffbh_u32_e32 v19, v2
	v_min_u32_e32 v19, 32, v19
	v_bfe_u32 v0, v8, 2, 5
	v_subrev_u32_e32 v22, 29, v19
	v_lshlrev_b64 v[22:23], v22, v[8:9]
	v_sub_u32_e32 v19, 30, v19
	v_cmp_eq_u32_e32 vcc, 0, v0
	v_cndmask_b32_e32 v0, v0, v19, vcc
	v_lshlrev_b32_e32 v19, 24, v8
	v_and_b32_e32 v22, 3, v22
	v_and_b32_e32 v19, 0x80000000, v19
	v_cndmask_b32_e32 v2, v2, v22, vcc
	v_lshl_add_u32 v0, v0, 23, v19
	v_lshl_or_b32 v0, v2, 21, v0
	v_add_u32_e32 v0, 0x38000000, v0
                                        ; implicit-def: $vgpr2
.LBB4_5952:                             ;   in Loop: Header=BB4_5364 Depth=3
	s_andn2_saveexec_b64 s[34:35], s[34:35]
; %bb.5953:                             ;   in Loop: Header=BB4_5364 Depth=3
	v_mov_b32_e32 v0, -1
	v_cmp_gt_i16_sdwa vcc, sext(v8), v0 src0_sel:BYTE_0 src1_sel:DWORD
	v_mov_b32_e32 v0, 0xff800000
	v_cndmask_b32_e32 v0, v0, v47, vcc
	v_cmp_eq_u32_e32 vcc, 0, v2
	v_mov_b32_e32 v2, 0x7f800001
	v_cndmask_b32_e32 v0, v2, v0, vcc
; %bb.5954:                             ;   in Loop: Header=BB4_5364 Depth=3
	s_or_b64 exec, exec, s[34:35]
.LBB4_5955:                             ;   in Loop: Header=BB4_5364 Depth=3
	s_or_b64 exec, exec, s[30:31]
.LBB4_5956:                             ;   in Loop: Header=BB4_5364 Depth=3
	s_or_b64 exec, exec, s[28:29]
	v_mul_f32_e32 v0, v1, v0
	v_and_b32_e32 v1, 0x7f800000, v0
	v_mov_b32_e32 v2, v61
	v_cmp_ne_u64_e32 vcc, s[62:63], v[1:2]
	v_and_b32_e32 v60, 0x7fffff, v0
                                        ; implicit-def: $vgpr19
	s_and_saveexec_b64 s[28:29], vcc
	s_xor_b64 s[30:31], exec, s[28:29]
	s_cbranch_execz .LBB4_5970
; %bb.5957:                             ;   in Loop: Header=BB4_5364 Depth=3
	v_and_b32_e32 v1, 0x7fffffff, v0
	v_mov_b32_e32 v2, v61
	v_cmp_gt_u64_e32 vcc, s[78:79], v[1:2]
	v_and_b32_sdwa v22, v0, s81 dst_sel:DWORD dst_unused:UNUSED_PAD src0_sel:BYTE_3 src1_sel:DWORD
                                        ; implicit-def: $vgpr19
	s_and_saveexec_b64 s[28:29], vcc
	s_xor_b64 s[34:35], exec, s[28:29]
	s_cbranch_execz .LBB4_5967
; %bb.5958:                             ;   in Loop: Header=BB4_5364 Depth=3
	v_mov_b32_e32 v19, 0
	v_cmp_ne_u32_e32 vcc, 0, v0
	s_and_saveexec_b64 s[36:37], vcc
	s_cbranch_execz .LBB4_5966
; %bb.5959:                             ;   in Loop: Header=BB4_5364 Depth=3
	v_bfe_u32 v19, v0, 23, 8
	v_cmp_gt_u32_e64 s[28:29], s47, v19
	v_sub_u32_e32 v0, 0x71, v19
	v_cmp_eq_u32_e32 vcc, 0, v19
	v_cndmask_b32_e64 v0, 0, v0, s[28:29]
	v_mov_b32_e32 v2, 0x70
	v_cndmask_b32_e32 v23, v0, v2, vcc
	v_add_u32_e32 v2, 21, v23
	v_or_b32_e32 v1, 0x800000, v60
	v_lshlrev_b64 v[50:51], v2, -1
	v_cndmask_b32_e32 v0, v1, v60, vcc
	v_mov_b32_e32 v1, v61
	v_add_u32_e32 v2, 20, v23
	v_bfi_b32 v50, v50, 0, v0
	v_lshlrev_b64 v[52:53], v2, 1
	v_lshrrev_b64 v[0:1], v23, v[0:1]
	v_bfi_b32 v51, v51, 0, 0
	v_cmp_eq_u64_e64 s[28:29], v[50:51], v[52:53]
	v_mov_b32_e32 v2, v1
	v_mov_b32_e32 v1, v0
	s_and_saveexec_b64 s[38:39], s[28:29]
; %bb.5960:                             ;   in Loop: Header=BB4_5364 Depth=3
	v_bfe_u32 v1, v0, 21, 1
	v_add_co_u32_e64 v1, s[28:29], v0, v1
	v_add_co_u32_e64 v1, s[28:29], -1, v1
; %bb.5961:                             ;   in Loop: Header=BB4_5364 Depth=3
	s_or_b64 exec, exec, s[38:39]
	v_add_u32_e32 v2, 0xffffff81, v19
	v_mov_b32_e32 v19, 0xffffff82
	v_cndmask_b32_e32 v2, v2, v19, vcc
	v_lshrrev_b32_e32 v19, 23, v0
	v_add3_u32 v23, v23, v2, v19
	v_add_u32_e32 v19, 14, v23
	v_and_b32_e32 v1, 0x1fffff, v1
	v_add_u32_e32 v60, v1, v0
	v_cmp_ne_u32_e32 vcc, 0, v19
                                        ; implicit-def: $vgpr0_vgpr1
                                        ; implicit-def: $vgpr2
	s_and_saveexec_b64 s[28:29], vcc
	s_xor_b64 s[28:29], exec, s[28:29]
; %bb.5962:                             ;   in Loop: Header=BB4_5364 Depth=3
	v_cmp_lt_u64_e32 vcc, s[88:89], v[60:61]
	v_add_u32_e32 v0, 15, v23
	v_cndmask_b32_e32 v2, v19, v0, vcc
	v_cndmask_b32_e64 v0, 0, 1, vcc
	v_lshrrev_b64 v[0:1], v0, v[60:61]
; %bb.5963:                             ;   in Loop: Header=BB4_5364 Depth=3
	s_andn2_saveexec_b64 s[28:29], s[28:29]
; %bb.5964:                             ;   in Loop: Header=BB4_5364 Depth=3
	v_mov_b32_e32 v0, v60
	v_mov_b32_e32 v1, v61
	v_bfe_u32 v2, v60, 23, 1
; %bb.5965:                             ;   in Loop: Header=BB4_5364 Depth=3
	s_or_b64 exec, exec, s[28:29]
	v_lshrrev_b64 v[0:1], 21, v[0:1]
	v_cmp_gt_i32_e32 vcc, 32, v2
	v_cndmask_b32_e32 v1, 0, v1, vcc
	v_cndmask_b32_e32 v0, 3, v0, vcc
	v_cmp_eq_u64_e64 s[28:29], 0, v[0:1]
	v_min_i32_e32 v1, 31, v2
	v_lshlrev_b32_e32 v1, 2, v1
	v_cmp_eq_u32_e32 vcc, 0, v2
	v_and_b32_e32 v1, 0xfc, v1
	v_and_or_b32 v0, v0, 3, v1
	s_and_b64 s[28:29], vcc, s[28:29]
	v_cndmask_b32_e64 v0, v0, 0, s[28:29]
	v_or_b32_e32 v19, v0, v22
.LBB4_5966:                             ;   in Loop: Header=BB4_5364 Depth=3
	s_or_b64 exec, exec, s[36:37]
                                        ; implicit-def: $vgpr22
.LBB4_5967:                             ;   in Loop: Header=BB4_5364 Depth=3
	s_andn2_saveexec_b64 s[28:29], s[34:35]
; %bb.5968:                             ;   in Loop: Header=BB4_5364 Depth=3
	v_or_b32_e32 v19, 0x7b, v22
; %bb.5969:                             ;   in Loop: Header=BB4_5364 Depth=3
	s_or_b64 exec, exec, s[28:29]
                                        ; implicit-def: $vgpr0
.LBB4_5970:                             ;   in Loop: Header=BB4_5364 Depth=3
	s_andn2_saveexec_b64 s[28:29], s[30:31]
	s_cbranch_execz .LBB4_5976
; %bb.5971:                             ;   in Loop: Header=BB4_5364 Depth=3
	v_cmp_ne_u64_e32 vcc, 0, v[60:61]
                                        ; implicit-def: $vgpr19
	s_and_saveexec_b64 s[30:31], vcc
	s_xor_b64 vcc, exec, s[30:31]
; %bb.5972:                             ;   in Loop: Header=BB4_5364 Depth=3
	v_or_b32_sdwa v19, v0, s44 dst_sel:DWORD dst_unused:UNUSED_PAD src0_sel:BYTE_3 src1_sel:DWORD
                                        ; implicit-def: $vgpr0
; %bb.5973:                             ;   in Loop: Header=BB4_5364 Depth=3
	s_andn2_saveexec_b64 s[30:31], vcc
; %bb.5974:                             ;   in Loop: Header=BB4_5364 Depth=3
	v_cmp_lt_i32_e32 vcc, -1, v0
	v_bfrev_b32_e32 v0, 0.5
	v_mov_b32_e32 v1, 0x7c
	v_cndmask_b32_e32 v19, v0, v1, vcc
; %bb.5975:                             ;   in Loop: Header=BB4_5364 Depth=3
	s_or_b64 exec, exec, s[30:31]
.LBB4_5976:                             ;   in Loop: Header=BB4_5364 Depth=3
	s_or_b64 exec, exec, s[28:29]
	v_lshrrev_b16_e32 v0, 8, v12
	v_cmp_ne_u16_e32 vcc, 0, v0
	v_mov_b32_e32 v2, 0
	v_mov_b32_e32 v22, 0
	s_and_saveexec_b64 s[28:29], vcc
	s_cbranch_execz .LBB4_5984
; %bb.5977:                             ;   in Loop: Header=BB4_5364 Depth=3
	v_cmp_ne_u16_e32 vcc, s81, v0
	v_bfrev_b32_e32 v22, 1
	s_and_saveexec_b64 s[30:31], vcc
	s_cbranch_execz .LBB4_5983
; %bb.5978:                             ;   in Loop: Header=BB4_5364 Depth=3
	v_and_b32_e32 v1, 0x7c, v0
	v_and_b32_e32 v23, 3, v0
	v_cmp_ne_u32_e32 vcc, s71, v1
                                        ; implicit-def: $vgpr22
	s_and_saveexec_b64 s[34:35], vcc
	s_xor_b64 s[34:35], exec, s[34:35]
	s_cbranch_execz .LBB4_5980
; %bb.5979:                             ;   in Loop: Header=BB4_5364 Depth=3
	v_ffbh_u32_e32 v50, v23
	v_min_u32_e32 v50, 32, v50
	v_mov_b32_e32 v1, v61
	v_subrev_u32_e32 v51, 29, v50
	v_bfe_u32 v22, v0, 2, 5
	v_lshlrev_b64 v[0:1], v51, v[0:1]
	v_sub_u32_e32 v1, 30, v50
	v_cmp_eq_u32_e32 vcc, 0, v22
	v_cndmask_b32_e32 v1, v22, v1, vcc
	v_lshlrev_b32_e32 v22, 16, v12
	v_and_b32_e32 v0, 3, v0
	v_and_b32_e32 v22, 0x80000000, v22
	v_cndmask_b32_e32 v0, v23, v0, vcc
	v_lshl_add_u32 v1, v1, 23, v22
	v_lshl_or_b32 v0, v0, 21, v1
	v_add_u32_e32 v22, 0x38000000, v0
                                        ; implicit-def: $vgpr23
.LBB4_5980:                             ;   in Loop: Header=BB4_5364 Depth=3
	s_andn2_saveexec_b64 s[34:35], s[34:35]
; %bb.5981:                             ;   in Loop: Header=BB4_5364 Depth=3
	v_cmp_lt_i16_e32 vcc, -1, v12
	v_mov_b32_e32 v0, 0xff800000
	v_cndmask_b32_e32 v0, v0, v47, vcc
	v_cmp_eq_u32_e32 vcc, 0, v23
	v_mov_b32_e32 v1, 0x7f800001
	v_cndmask_b32_e32 v22, v1, v0, vcc
; %bb.5982:                             ;   in Loop: Header=BB4_5364 Depth=3
	s_or_b64 exec, exec, s[34:35]
.LBB4_5983:                             ;   in Loop: Header=BB4_5364 Depth=3
	s_or_b64 exec, exec, s[30:31]
.LBB4_5984:                             ;   in Loop: Header=BB4_5364 Depth=3
	s_or_b64 exec, exec, s[28:29]
	v_lshrrev_b16_e32 v0, 8, v8
	v_cmp_ne_u16_e32 vcc, 0, v0
	s_and_saveexec_b64 s[28:29], vcc
	s_cbranch_execz .LBB4_5992
; %bb.5985:                             ;   in Loop: Header=BB4_5364 Depth=3
	v_cmp_ne_u16_e32 vcc, s81, v0
	v_bfrev_b32_e32 v2, 1
	s_and_saveexec_b64 s[30:31], vcc
	s_cbranch_execz .LBB4_5991
; %bb.5986:                             ;   in Loop: Header=BB4_5364 Depth=3
	v_and_b32_e32 v1, 0x7c, v0
	v_and_b32_e32 v23, 3, v0
	v_cmp_ne_u32_e32 vcc, s71, v1
                                        ; implicit-def: $vgpr2
	s_and_saveexec_b64 s[34:35], vcc
	s_xor_b64 s[34:35], exec, s[34:35]
	s_cbranch_execz .LBB4_5988
; %bb.5987:                             ;   in Loop: Header=BB4_5364 Depth=3
	v_ffbh_u32_e32 v50, v23
	v_min_u32_e32 v50, 32, v50
	v_mov_b32_e32 v1, v61
	v_subrev_u32_e32 v51, 29, v50
	v_bfe_u32 v2, v0, 2, 5
	v_lshlrev_b64 v[0:1], v51, v[0:1]
	v_sub_u32_e32 v1, 30, v50
	v_cmp_eq_u32_e32 vcc, 0, v2
	v_cndmask_b32_e32 v1, v2, v1, vcc
	v_lshlrev_b32_e32 v2, 16, v8
	v_and_b32_e32 v0, 3, v0
	v_and_b32_e32 v2, 0x80000000, v2
	v_cndmask_b32_e32 v0, v23, v0, vcc
	v_lshl_add_u32 v1, v1, 23, v2
	v_lshl_or_b32 v0, v0, 21, v1
	v_add_u32_e32 v2, 0x38000000, v0
                                        ; implicit-def: $vgpr23
.LBB4_5988:                             ;   in Loop: Header=BB4_5364 Depth=3
	s_andn2_saveexec_b64 s[34:35], s[34:35]
; %bb.5989:                             ;   in Loop: Header=BB4_5364 Depth=3
	v_cmp_lt_i16_e32 vcc, -1, v8
	v_mov_b32_e32 v0, 0xff800000
	v_cndmask_b32_e32 v0, v0, v47, vcc
	v_cmp_eq_u32_e32 vcc, 0, v23
	v_mov_b32_e32 v1, 0x7f800001
	v_cndmask_b32_e32 v2, v1, v0, vcc
; %bb.5990:                             ;   in Loop: Header=BB4_5364 Depth=3
	s_or_b64 exec, exec, s[34:35]
.LBB4_5991:                             ;   in Loop: Header=BB4_5364 Depth=3
	s_or_b64 exec, exec, s[30:31]
.LBB4_5992:                             ;   in Loop: Header=BB4_5364 Depth=3
	s_or_b64 exec, exec, s[28:29]
	v_mul_f32_e32 v0, v22, v2
	v_and_b32_e32 v1, 0x7f800000, v0
	v_mov_b32_e32 v2, v61
	v_cmp_ne_u64_e32 vcc, s[62:63], v[1:2]
	v_and_b32_e32 v60, 0x7fffff, v0
                                        ; implicit-def: $vgpr22
	s_and_saveexec_b64 s[28:29], vcc
	s_xor_b64 s[30:31], exec, s[28:29]
	s_cbranch_execz .LBB4_6006
; %bb.5993:                             ;   in Loop: Header=BB4_5364 Depth=3
	v_and_b32_e32 v1, 0x7fffffff, v0
	v_mov_b32_e32 v2, v61
	v_cmp_gt_u64_e32 vcc, s[78:79], v[1:2]
	v_and_b32_sdwa v23, v0, s81 dst_sel:DWORD dst_unused:UNUSED_PAD src0_sel:BYTE_3 src1_sel:DWORD
                                        ; implicit-def: $vgpr22
	s_and_saveexec_b64 s[28:29], vcc
	s_xor_b64 s[34:35], exec, s[28:29]
	s_cbranch_execz .LBB4_6003
; %bb.5994:                             ;   in Loop: Header=BB4_5364 Depth=3
	v_mov_b32_e32 v22, 0
	v_cmp_ne_u32_e32 vcc, 0, v0
	s_and_saveexec_b64 s[36:37], vcc
	s_cbranch_execz .LBB4_6002
; %bb.5995:                             ;   in Loop: Header=BB4_5364 Depth=3
	v_bfe_u32 v22, v0, 23, 8
	v_cmp_gt_u32_e64 s[28:29], s47, v22
	v_sub_u32_e32 v0, 0x71, v22
	v_cmp_eq_u32_e32 vcc, 0, v22
	v_cndmask_b32_e64 v0, 0, v0, s[28:29]
	v_mov_b32_e32 v2, 0x70
	v_cndmask_b32_e32 v50, v0, v2, vcc
	v_add_u32_e32 v2, 21, v50
	v_or_b32_e32 v1, 0x800000, v60
	v_lshlrev_b64 v[51:52], v2, -1
	v_cndmask_b32_e32 v0, v1, v60, vcc
	v_mov_b32_e32 v1, v61
	v_add_u32_e32 v2, 20, v50
	v_bfi_b32 v51, v51, 0, v0
	v_lshlrev_b64 v[53:54], v2, 1
	v_lshrrev_b64 v[0:1], v50, v[0:1]
	v_bfi_b32 v52, v52, 0, 0
	v_cmp_eq_u64_e64 s[28:29], v[51:52], v[53:54]
	v_mov_b32_e32 v2, v1
	v_mov_b32_e32 v1, v0
	s_and_saveexec_b64 s[38:39], s[28:29]
; %bb.5996:                             ;   in Loop: Header=BB4_5364 Depth=3
	v_bfe_u32 v1, v0, 21, 1
	v_add_co_u32_e64 v1, s[28:29], v0, v1
	v_add_co_u32_e64 v1, s[28:29], -1, v1
; %bb.5997:                             ;   in Loop: Header=BB4_5364 Depth=3
	s_or_b64 exec, exec, s[38:39]
	v_add_u32_e32 v2, 0xffffff81, v22
	v_mov_b32_e32 v22, 0xffffff82
	v_cndmask_b32_e32 v2, v2, v22, vcc
	v_lshrrev_b32_e32 v22, 23, v0
	v_add3_u32 v50, v50, v2, v22
	v_add_u32_e32 v22, 14, v50
	v_and_b32_e32 v1, 0x1fffff, v1
	v_add_u32_e32 v60, v1, v0
	v_cmp_ne_u32_e32 vcc, 0, v22
                                        ; implicit-def: $vgpr0_vgpr1
                                        ; implicit-def: $vgpr2
	s_and_saveexec_b64 s[28:29], vcc
	s_xor_b64 s[28:29], exec, s[28:29]
; %bb.5998:                             ;   in Loop: Header=BB4_5364 Depth=3
	v_cmp_lt_u64_e32 vcc, s[88:89], v[60:61]
	v_add_u32_e32 v0, 15, v50
	v_cndmask_b32_e32 v2, v22, v0, vcc
	v_cndmask_b32_e64 v0, 0, 1, vcc
	v_lshrrev_b64 v[0:1], v0, v[60:61]
; %bb.5999:                             ;   in Loop: Header=BB4_5364 Depth=3
	s_andn2_saveexec_b64 s[28:29], s[28:29]
; %bb.6000:                             ;   in Loop: Header=BB4_5364 Depth=3
	v_mov_b32_e32 v0, v60
	v_mov_b32_e32 v1, v61
	v_bfe_u32 v2, v60, 23, 1
; %bb.6001:                             ;   in Loop: Header=BB4_5364 Depth=3
	s_or_b64 exec, exec, s[28:29]
	v_lshrrev_b64 v[0:1], 21, v[0:1]
	v_cmp_gt_i32_e32 vcc, 32, v2
	v_cndmask_b32_e32 v1, 0, v1, vcc
	v_cndmask_b32_e32 v0, 3, v0, vcc
	v_cmp_eq_u64_e64 s[28:29], 0, v[0:1]
	v_min_i32_e32 v1, 31, v2
	v_lshlrev_b32_e32 v1, 2, v1
	v_cmp_eq_u32_e32 vcc, 0, v2
	v_and_b32_e32 v1, 0xfc, v1
	v_and_or_b32 v0, v0, 3, v1
	s_and_b64 s[28:29], vcc, s[28:29]
	v_cndmask_b32_e64 v0, v0, 0, s[28:29]
	v_or_b32_e32 v22, v0, v23
.LBB4_6002:                             ;   in Loop: Header=BB4_5364 Depth=3
	s_or_b64 exec, exec, s[36:37]
                                        ; implicit-def: $vgpr23
.LBB4_6003:                             ;   in Loop: Header=BB4_5364 Depth=3
	s_andn2_saveexec_b64 s[28:29], s[34:35]
; %bb.6004:                             ;   in Loop: Header=BB4_5364 Depth=3
	v_or_b32_e32 v22, 0x7b, v23
; %bb.6005:                             ;   in Loop: Header=BB4_5364 Depth=3
	s_or_b64 exec, exec, s[28:29]
                                        ; implicit-def: $vgpr0
.LBB4_6006:                             ;   in Loop: Header=BB4_5364 Depth=3
	s_andn2_saveexec_b64 s[28:29], s[30:31]
	s_cbranch_execz .LBB4_6012
; %bb.6007:                             ;   in Loop: Header=BB4_5364 Depth=3
	v_cmp_ne_u64_e32 vcc, 0, v[60:61]
                                        ; implicit-def: $vgpr22
	s_and_saveexec_b64 s[30:31], vcc
	s_xor_b64 vcc, exec, s[30:31]
; %bb.6008:                             ;   in Loop: Header=BB4_5364 Depth=3
	v_or_b32_sdwa v22, v0, s44 dst_sel:DWORD dst_unused:UNUSED_PAD src0_sel:BYTE_3 src1_sel:DWORD
                                        ; implicit-def: $vgpr0
; %bb.6009:                             ;   in Loop: Header=BB4_5364 Depth=3
	s_andn2_saveexec_b64 s[30:31], vcc
; %bb.6010:                             ;   in Loop: Header=BB4_5364 Depth=3
	v_cmp_lt_i32_e32 vcc, -1, v0
	v_bfrev_b32_e32 v0, 0.5
	v_mov_b32_e32 v1, 0x7c
	v_cndmask_b32_e32 v22, v0, v1, vcc
; %bb.6011:                             ;   in Loop: Header=BB4_5364 Depth=3
	s_or_b64 exec, exec, s[30:31]
.LBB4_6012:                             ;   in Loop: Header=BB4_5364 Depth=3
	s_or_b64 exec, exec, s[28:29]
	v_lshrrev_b32_e32 v0, 16, v12
	v_cmp_ne_u16_sdwa vcc, v0, v61 src0_sel:BYTE_0 src1_sel:DWORD
	v_mov_b32_e32 v1, 0
	v_mov_b32_e32 v2, 0
	s_and_saveexec_b64 s[28:29], vcc
	s_cbranch_execz .LBB4_6020
; %bb.6013:                             ;   in Loop: Header=BB4_5364 Depth=3
	v_cmp_ne_u16_sdwa vcc, v0, s81 src0_sel:BYTE_0 src1_sel:DWORD
	v_bfrev_b32_e32 v2, 1
	s_and_saveexec_b64 s[30:31], vcc
	s_cbranch_execz .LBB4_6019
; %bb.6014:                             ;   in Loop: Header=BB4_5364 Depth=3
	v_and_b32_e32 v2, 0x7c0000, v12
	v_bfe_u32 v23, v12, 16, 2
	v_cmp_ne_u32_e32 vcc, s45, v2
                                        ; implicit-def: $vgpr2
	s_and_saveexec_b64 s[34:35], vcc
	s_xor_b64 s[34:35], exec, s[34:35]
	s_cbranch_execz .LBB4_6016
; %bb.6015:                             ;   in Loop: Header=BB4_5364 Depth=3
	v_ffbh_u32_e32 v50, v23
	v_min_u32_e32 v52, 32, v50
	v_subrev_u32_e32 v50, 29, v52
	v_lshlrev_b64 v[50:51], v50, v[0:1]
	v_bfe_u32 v2, v12, 18, 5
	v_sub_u32_e32 v0, 30, v52
	v_and_b32_e32 v50, 3, v50
	v_cmp_eq_u32_e32 vcc, 0, v2
	v_cndmask_b32_e32 v0, v2, v0, vcc
	v_cndmask_b32_e32 v2, v23, v50, vcc
	v_lshlrev_b32_e32 v23, 8, v12
	v_and_b32_e32 v23, 0x80000000, v23
	v_lshl_add_u32 v0, v0, 23, v23
	v_lshl_or_b32 v0, v2, 21, v0
	v_add_u32_e32 v2, 0x38000000, v0
                                        ; implicit-def: $vgpr23
                                        ; implicit-def: $vgpr0
.LBB4_6016:                             ;   in Loop: Header=BB4_5364 Depth=3
	s_andn2_saveexec_b64 s[34:35], s[34:35]
; %bb.6017:                             ;   in Loop: Header=BB4_5364 Depth=3
	v_mov_b32_e32 v2, -1
	v_cmp_gt_i16_sdwa vcc, sext(v0), v2 src0_sel:BYTE_0 src1_sel:DWORD
	v_mov_b32_e32 v0, 0xff800000
	v_cndmask_b32_e32 v0, v0, v47, vcc
	v_cmp_eq_u32_e32 vcc, 0, v23
	v_mov_b32_e32 v2, 0x7f800001
	v_cndmask_b32_e32 v2, v2, v0, vcc
; %bb.6018:                             ;   in Loop: Header=BB4_5364 Depth=3
	s_or_b64 exec, exec, s[34:35]
.LBB4_6019:                             ;   in Loop: Header=BB4_5364 Depth=3
	s_or_b64 exec, exec, s[30:31]
.LBB4_6020:                             ;   in Loop: Header=BB4_5364 Depth=3
	s_or_b64 exec, exec, s[28:29]
	v_lshrrev_b32_e32 v0, 16, v8
	v_cmp_ne_u16_sdwa vcc, v0, v61 src0_sel:BYTE_0 src1_sel:DWORD
	s_and_saveexec_b64 s[28:29], vcc
	s_cbranch_execz .LBB4_6028
; %bb.6021:                             ;   in Loop: Header=BB4_5364 Depth=3
	v_cmp_ne_u16_sdwa vcc, v0, s81 src0_sel:BYTE_0 src1_sel:DWORD
	v_bfrev_b32_e32 v1, 1
	s_and_saveexec_b64 s[30:31], vcc
	s_cbranch_execz .LBB4_6027
; %bb.6022:                             ;   in Loop: Header=BB4_5364 Depth=3
	v_and_b32_e32 v1, 0x7c0000, v8
	v_bfe_u32 v23, v8, 16, 2
	v_cmp_ne_u32_e32 vcc, s45, v1
                                        ; implicit-def: $vgpr1
	s_and_saveexec_b64 s[34:35], vcc
	s_xor_b64 s[34:35], exec, s[34:35]
	s_cbranch_execz .LBB4_6024
; %bb.6023:                             ;   in Loop: Header=BB4_5364 Depth=3
	v_ffbh_u32_e32 v1, v23
	v_min_u32_e32 v51, 32, v1
	v_subrev_u32_e32 v1, 29, v51
	v_lshlrev_b64 v[0:1], v1, v[0:1]
	v_bfe_u32 v50, v8, 18, 5
	v_and_b32_e32 v0, 3, v0
	v_cmp_eq_u32_e32 vcc, 0, v50
	v_sub_u32_e32 v1, 30, v51
	v_cndmask_b32_e32 v0, v23, v0, vcc
	v_lshlrev_b32_e32 v23, 8, v8
	v_cndmask_b32_e32 v1, v50, v1, vcc
	v_and_b32_e32 v23, 0x80000000, v23
	v_lshl_add_u32 v1, v1, 23, v23
	v_lshl_or_b32 v0, v0, 21, v1
	v_add_u32_e32 v1, 0x38000000, v0
                                        ; implicit-def: $vgpr23
                                        ; implicit-def: $vgpr0
.LBB4_6024:                             ;   in Loop: Header=BB4_5364 Depth=3
	s_andn2_saveexec_b64 s[34:35], s[34:35]
; %bb.6025:                             ;   in Loop: Header=BB4_5364 Depth=3
	v_mov_b32_e32 v1, -1
	v_cmp_gt_i16_sdwa vcc, sext(v0), v1 src0_sel:BYTE_0 src1_sel:DWORD
	v_mov_b32_e32 v0, 0xff800000
	v_cndmask_b32_e32 v0, v0, v47, vcc
	v_cmp_eq_u32_e32 vcc, 0, v23
	v_mov_b32_e32 v1, 0x7f800001
	v_cndmask_b32_e32 v1, v1, v0, vcc
; %bb.6026:                             ;   in Loop: Header=BB4_5364 Depth=3
	s_or_b64 exec, exec, s[34:35]
.LBB4_6027:                             ;   in Loop: Header=BB4_5364 Depth=3
	s_or_b64 exec, exec, s[30:31]
.LBB4_6028:                             ;   in Loop: Header=BB4_5364 Depth=3
	s_or_b64 exec, exec, s[28:29]
	v_mul_f32_e32 v0, v2, v1
	v_and_b32_e32 v1, 0x7f800000, v0
	v_mov_b32_e32 v2, v61
	v_cmp_ne_u64_e32 vcc, s[62:63], v[1:2]
	v_and_b32_e32 v60, 0x7fffff, v0
                                        ; implicit-def: $vgpr23
	s_and_saveexec_b64 s[28:29], vcc
	s_xor_b64 s[30:31], exec, s[28:29]
	s_cbranch_execz .LBB4_6042
; %bb.6029:                             ;   in Loop: Header=BB4_5364 Depth=3
	v_and_b32_e32 v1, 0x7fffffff, v0
	v_mov_b32_e32 v2, v61
	v_cmp_gt_u64_e32 vcc, s[78:79], v[1:2]
	v_and_b32_sdwa v50, v0, s81 dst_sel:DWORD dst_unused:UNUSED_PAD src0_sel:BYTE_3 src1_sel:DWORD
                                        ; implicit-def: $vgpr23
	s_and_saveexec_b64 s[28:29], vcc
	s_xor_b64 s[34:35], exec, s[28:29]
	s_cbranch_execz .LBB4_6039
; %bb.6030:                             ;   in Loop: Header=BB4_5364 Depth=3
	v_mov_b32_e32 v23, 0
	v_cmp_ne_u32_e32 vcc, 0, v0
	s_and_saveexec_b64 s[36:37], vcc
	s_cbranch_execz .LBB4_6038
; %bb.6031:                             ;   in Loop: Header=BB4_5364 Depth=3
	v_bfe_u32 v23, v0, 23, 8
	v_cmp_gt_u32_e64 s[28:29], s47, v23
	v_sub_u32_e32 v0, 0x71, v23
	v_cmp_eq_u32_e32 vcc, 0, v23
	v_cndmask_b32_e64 v0, 0, v0, s[28:29]
	v_mov_b32_e32 v2, 0x70
	v_cndmask_b32_e32 v51, v0, v2, vcc
	v_add_u32_e32 v2, 21, v51
	v_or_b32_e32 v1, 0x800000, v60
	v_lshlrev_b64 v[52:53], v2, -1
	v_cndmask_b32_e32 v0, v1, v60, vcc
	v_mov_b32_e32 v1, v61
	v_add_u32_e32 v2, 20, v51
	v_bfi_b32 v52, v52, 0, v0
	v_lshlrev_b64 v[54:55], v2, 1
	v_lshrrev_b64 v[0:1], v51, v[0:1]
	v_bfi_b32 v53, v53, 0, 0
	v_cmp_eq_u64_e64 s[28:29], v[52:53], v[54:55]
	v_mov_b32_e32 v2, v1
	v_mov_b32_e32 v1, v0
	s_and_saveexec_b64 s[38:39], s[28:29]
; %bb.6032:                             ;   in Loop: Header=BB4_5364 Depth=3
	v_bfe_u32 v1, v0, 21, 1
	v_add_co_u32_e64 v1, s[28:29], v0, v1
	v_add_co_u32_e64 v1, s[28:29], -1, v1
; %bb.6033:                             ;   in Loop: Header=BB4_5364 Depth=3
	s_or_b64 exec, exec, s[38:39]
	v_add_u32_e32 v2, 0xffffff81, v23
	v_mov_b32_e32 v23, 0xffffff82
	v_cndmask_b32_e32 v2, v2, v23, vcc
	v_lshrrev_b32_e32 v23, 23, v0
	v_add3_u32 v51, v51, v2, v23
	v_add_u32_e32 v23, 14, v51
	v_and_b32_e32 v1, 0x1fffff, v1
	v_add_u32_e32 v60, v1, v0
	v_cmp_ne_u32_e32 vcc, 0, v23
                                        ; implicit-def: $vgpr0_vgpr1
                                        ; implicit-def: $vgpr2
	s_and_saveexec_b64 s[28:29], vcc
	s_xor_b64 s[28:29], exec, s[28:29]
; %bb.6034:                             ;   in Loop: Header=BB4_5364 Depth=3
	v_cmp_lt_u64_e32 vcc, s[88:89], v[60:61]
	v_add_u32_e32 v0, 15, v51
	v_cndmask_b32_e32 v2, v23, v0, vcc
	v_cndmask_b32_e64 v0, 0, 1, vcc
	v_lshrrev_b64 v[0:1], v0, v[60:61]
; %bb.6035:                             ;   in Loop: Header=BB4_5364 Depth=3
	s_andn2_saveexec_b64 s[28:29], s[28:29]
; %bb.6036:                             ;   in Loop: Header=BB4_5364 Depth=3
	v_mov_b32_e32 v0, v60
	v_mov_b32_e32 v1, v61
	v_bfe_u32 v2, v60, 23, 1
; %bb.6037:                             ;   in Loop: Header=BB4_5364 Depth=3
	s_or_b64 exec, exec, s[28:29]
	v_lshrrev_b64 v[0:1], 21, v[0:1]
	v_cmp_gt_i32_e32 vcc, 32, v2
	v_cndmask_b32_e32 v1, 0, v1, vcc
	v_cndmask_b32_e32 v0, 3, v0, vcc
	v_cmp_eq_u64_e64 s[28:29], 0, v[0:1]
	v_min_i32_e32 v1, 31, v2
	v_lshlrev_b32_e32 v1, 2, v1
	v_cmp_eq_u32_e32 vcc, 0, v2
	v_and_b32_e32 v1, 0xfc, v1
	v_and_or_b32 v0, v0, 3, v1
	s_and_b64 s[28:29], vcc, s[28:29]
	v_cndmask_b32_e64 v0, v0, 0, s[28:29]
	v_or_b32_e32 v23, v0, v50
.LBB4_6038:                             ;   in Loop: Header=BB4_5364 Depth=3
	s_or_b64 exec, exec, s[36:37]
                                        ; implicit-def: $vgpr50
.LBB4_6039:                             ;   in Loop: Header=BB4_5364 Depth=3
	s_andn2_saveexec_b64 s[28:29], s[34:35]
; %bb.6040:                             ;   in Loop: Header=BB4_5364 Depth=3
	v_or_b32_e32 v23, 0x7b, v50
; %bb.6041:                             ;   in Loop: Header=BB4_5364 Depth=3
	s_or_b64 exec, exec, s[28:29]
                                        ; implicit-def: $vgpr0
.LBB4_6042:                             ;   in Loop: Header=BB4_5364 Depth=3
	s_andn2_saveexec_b64 s[28:29], s[30:31]
	s_cbranch_execz .LBB4_6048
; %bb.6043:                             ;   in Loop: Header=BB4_5364 Depth=3
	v_cmp_ne_u64_e32 vcc, 0, v[60:61]
                                        ; implicit-def: $vgpr23
	s_and_saveexec_b64 s[30:31], vcc
	s_xor_b64 vcc, exec, s[30:31]
; %bb.6044:                             ;   in Loop: Header=BB4_5364 Depth=3
	v_or_b32_sdwa v23, v0, s44 dst_sel:DWORD dst_unused:UNUSED_PAD src0_sel:BYTE_3 src1_sel:DWORD
                                        ; implicit-def: $vgpr0
; %bb.6045:                             ;   in Loop: Header=BB4_5364 Depth=3
	s_andn2_saveexec_b64 s[30:31], vcc
; %bb.6046:                             ;   in Loop: Header=BB4_5364 Depth=3
	v_cmp_lt_i32_e32 vcc, -1, v0
	v_bfrev_b32_e32 v0, 0.5
	v_mov_b32_e32 v1, 0x7c
	v_cndmask_b32_e32 v23, v0, v1, vcc
; %bb.6047:                             ;   in Loop: Header=BB4_5364 Depth=3
	s_or_b64 exec, exec, s[30:31]
.LBB4_6048:                             ;   in Loop: Header=BB4_5364 Depth=3
	s_or_b64 exec, exec, s[28:29]
	v_cmp_lt_u32_e32 vcc, s57, v12
	v_mov_b32_e32 v1, 0
	v_mov_b32_e32 v2, 0
	s_and_saveexec_b64 s[28:29], vcc
	s_cbranch_execz .LBB4_6056
; %bb.6049:                             ;   in Loop: Header=BB4_5364 Depth=3
	v_lshrrev_b32_e32 v0, 24, v12
	v_cmp_ne_u32_e32 vcc, s81, v0
	v_bfrev_b32_e32 v2, 1
	s_and_saveexec_b64 s[30:31], vcc
	s_cbranch_execz .LBB4_6055
; %bb.6050:                             ;   in Loop: Header=BB4_5364 Depth=3
	v_and_b32_e32 v2, 0x7c000000, v12
	v_bfe_u32 v50, v12, 24, 2
	v_cmp_ne_u32_e32 vcc, s82, v2
                                        ; implicit-def: $vgpr2
	s_and_saveexec_b64 s[34:35], vcc
	s_xor_b64 s[34:35], exec, s[34:35]
	s_cbranch_execz .LBB4_6052
; %bb.6051:                             ;   in Loop: Header=BB4_5364 Depth=3
	v_ffbh_u32_e32 v51, v50
	v_min_u32_e32 v53, 32, v51
	v_subrev_u32_e32 v51, 29, v53
	v_lshlrev_b64 v[51:52], v51, v[0:1]
	v_bfe_u32 v2, v12, 26, 5
	v_sub_u32_e32 v0, 30, v53
	v_and_b32_e32 v51, 3, v51
	v_cmp_eq_u32_e32 vcc, 0, v2
	v_cndmask_b32_e32 v0, v2, v0, vcc
	v_cndmask_b32_e32 v2, v50, v51, vcc
	v_and_b32_e32 v50, 0x80000000, v12
	v_lshl_add_u32 v0, v0, 23, v50
	v_lshl_or_b32 v0, v2, 21, v0
	v_add_u32_e32 v2, 0x38000000, v0
                                        ; implicit-def: $vgpr50
.LBB4_6052:                             ;   in Loop: Header=BB4_5364 Depth=3
	s_andn2_saveexec_b64 s[34:35], s[34:35]
; %bb.6053:                             ;   in Loop: Header=BB4_5364 Depth=3
	v_cmp_lt_i32_e32 vcc, -1, v12
	v_mov_b32_e32 v0, 0xff800000
	v_cndmask_b32_e32 v0, v0, v47, vcc
	v_cmp_eq_u32_e32 vcc, 0, v50
	v_mov_b32_e32 v2, 0x7f800001
	v_cndmask_b32_e32 v2, v2, v0, vcc
; %bb.6054:                             ;   in Loop: Header=BB4_5364 Depth=3
	s_or_b64 exec, exec, s[34:35]
.LBB4_6055:                             ;   in Loop: Header=BB4_5364 Depth=3
	s_or_b64 exec, exec, s[30:31]
.LBB4_6056:                             ;   in Loop: Header=BB4_5364 Depth=3
	s_or_b64 exec, exec, s[28:29]
	v_cmp_lt_u32_e32 vcc, s57, v8
	s_and_saveexec_b64 s[28:29], vcc
	s_cbranch_execz .LBB4_6064
; %bb.6057:                             ;   in Loop: Header=BB4_5364 Depth=3
	v_lshrrev_b32_e32 v0, 24, v8
	v_cmp_ne_u32_e32 vcc, s81, v0
	v_bfrev_b32_e32 v1, 1
	s_and_saveexec_b64 s[30:31], vcc
	s_cbranch_execz .LBB4_6063
; %bb.6058:                             ;   in Loop: Header=BB4_5364 Depth=3
	v_and_b32_e32 v1, 0x7c000000, v8
	v_bfe_u32 v50, v8, 24, 2
	v_cmp_ne_u32_e32 vcc, s82, v1
                                        ; implicit-def: $vgpr1
	s_and_saveexec_b64 s[34:35], vcc
	s_xor_b64 s[34:35], exec, s[34:35]
	s_cbranch_execz .LBB4_6060
; %bb.6059:                             ;   in Loop: Header=BB4_5364 Depth=3
	v_ffbh_u32_e32 v1, v50
	v_min_u32_e32 v52, 32, v1
	v_subrev_u32_e32 v1, 29, v52
	v_lshlrev_b64 v[0:1], v1, v[0:1]
	v_bfe_u32 v51, v8, 26, 5
	v_sub_u32_e32 v1, 30, v52
	v_and_b32_e32 v0, 3, v0
	v_cmp_eq_u32_e32 vcc, 0, v51
	v_cndmask_b32_e32 v1, v51, v1, vcc
	v_cndmask_b32_e32 v0, v50, v0, vcc
	v_and_b32_e32 v50, 0x80000000, v8
	v_lshl_add_u32 v1, v1, 23, v50
	v_lshl_or_b32 v0, v0, 21, v1
	v_add_u32_e32 v1, 0x38000000, v0
                                        ; implicit-def: $vgpr50
.LBB4_6060:                             ;   in Loop: Header=BB4_5364 Depth=3
	s_andn2_saveexec_b64 s[34:35], s[34:35]
; %bb.6061:                             ;   in Loop: Header=BB4_5364 Depth=3
	v_cmp_lt_i32_e32 vcc, -1, v8
	v_mov_b32_e32 v0, 0xff800000
	v_cndmask_b32_e32 v0, v0, v47, vcc
	v_cmp_eq_u32_e32 vcc, 0, v50
	v_mov_b32_e32 v1, 0x7f800001
	v_cndmask_b32_e32 v1, v1, v0, vcc
; %bb.6062:                             ;   in Loop: Header=BB4_5364 Depth=3
	s_or_b64 exec, exec, s[34:35]
.LBB4_6063:                             ;   in Loop: Header=BB4_5364 Depth=3
	s_or_b64 exec, exec, s[30:31]
.LBB4_6064:                             ;   in Loop: Header=BB4_5364 Depth=3
	s_or_b64 exec, exec, s[28:29]
	v_mul_f32_e32 v0, v2, v1
	v_and_b32_e32 v1, 0x7f800000, v0
	v_mov_b32_e32 v2, v61
	v_cmp_ne_u64_e32 vcc, s[62:63], v[1:2]
	v_and_b32_e32 v60, 0x7fffff, v0
                                        ; implicit-def: $vgpr50
	s_and_saveexec_b64 s[28:29], vcc
	s_xor_b64 s[30:31], exec, s[28:29]
	s_cbranch_execz .LBB4_6078
; %bb.6065:                             ;   in Loop: Header=BB4_5364 Depth=3
	v_and_b32_e32 v1, 0x7fffffff, v0
	v_mov_b32_e32 v2, v61
	v_cmp_gt_u64_e32 vcc, s[78:79], v[1:2]
	v_and_b32_sdwa v51, v0, s81 dst_sel:DWORD dst_unused:UNUSED_PAD src0_sel:BYTE_3 src1_sel:DWORD
                                        ; implicit-def: $vgpr50
	s_and_saveexec_b64 s[28:29], vcc
	s_xor_b64 s[34:35], exec, s[28:29]
	s_cbranch_execz .LBB4_6075
; %bb.6066:                             ;   in Loop: Header=BB4_5364 Depth=3
	v_mov_b32_e32 v50, 0
	v_cmp_ne_u32_e32 vcc, 0, v0
	s_and_saveexec_b64 s[36:37], vcc
	s_cbranch_execz .LBB4_6074
; %bb.6067:                             ;   in Loop: Header=BB4_5364 Depth=3
	v_bfe_u32 v50, v0, 23, 8
	v_cmp_gt_u32_e64 s[28:29], s47, v50
	v_sub_u32_e32 v0, 0x71, v50
	v_cmp_eq_u32_e32 vcc, 0, v50
	v_cndmask_b32_e64 v0, 0, v0, s[28:29]
	v_mov_b32_e32 v2, 0x70
	v_cndmask_b32_e32 v52, v0, v2, vcc
	v_add_u32_e32 v2, 21, v52
	v_or_b32_e32 v1, 0x800000, v60
	v_lshlrev_b64 v[53:54], v2, -1
	v_cndmask_b32_e32 v0, v1, v60, vcc
	v_mov_b32_e32 v1, v61
	v_add_u32_e32 v2, 20, v52
	v_bfi_b32 v53, v53, 0, v0
	v_lshlrev_b64 v[42:43], v2, 1
	v_lshrrev_b64 v[0:1], v52, v[0:1]
	v_bfi_b32 v54, v54, 0, 0
	v_cmp_eq_u64_e64 s[28:29], v[53:54], v[42:43]
	v_mov_b32_e32 v2, v1
	v_mov_b32_e32 v1, v0
	s_and_saveexec_b64 s[38:39], s[28:29]
; %bb.6068:                             ;   in Loop: Header=BB4_5364 Depth=3
	v_bfe_u32 v1, v0, 21, 1
	v_add_co_u32_e64 v1, s[28:29], v0, v1
	v_add_co_u32_e64 v1, s[28:29], -1, v1
; %bb.6069:                             ;   in Loop: Header=BB4_5364 Depth=3
	s_or_b64 exec, exec, s[38:39]
	v_add_u32_e32 v2, 0xffffff81, v50
	v_mov_b32_e32 v50, 0xffffff82
	v_cndmask_b32_e32 v2, v2, v50, vcc
	v_lshrrev_b32_e32 v50, 23, v0
	v_add3_u32 v52, v52, v2, v50
	v_add_u32_e32 v50, 14, v52
	v_and_b32_e32 v1, 0x1fffff, v1
	v_add_u32_e32 v60, v1, v0
	v_cmp_ne_u32_e32 vcc, 0, v50
                                        ; implicit-def: $vgpr0_vgpr1
                                        ; implicit-def: $vgpr2
	s_and_saveexec_b64 s[28:29], vcc
	s_xor_b64 s[28:29], exec, s[28:29]
; %bb.6070:                             ;   in Loop: Header=BB4_5364 Depth=3
	v_cmp_lt_u64_e32 vcc, s[88:89], v[60:61]
	v_add_u32_e32 v0, 15, v52
	v_cndmask_b32_e32 v2, v50, v0, vcc
	v_cndmask_b32_e64 v0, 0, 1, vcc
	v_lshrrev_b64 v[0:1], v0, v[60:61]
; %bb.6071:                             ;   in Loop: Header=BB4_5364 Depth=3
	s_andn2_saveexec_b64 s[28:29], s[28:29]
; %bb.6072:                             ;   in Loop: Header=BB4_5364 Depth=3
	v_mov_b32_e32 v0, v60
	v_mov_b32_e32 v1, v61
	v_bfe_u32 v2, v60, 23, 1
; %bb.6073:                             ;   in Loop: Header=BB4_5364 Depth=3
	s_or_b64 exec, exec, s[28:29]
	v_lshrrev_b64 v[0:1], 21, v[0:1]
	v_cmp_gt_i32_e32 vcc, 32, v2
	v_cndmask_b32_e32 v1, 0, v1, vcc
	v_cndmask_b32_e32 v0, 3, v0, vcc
	v_cmp_eq_u64_e64 s[28:29], 0, v[0:1]
	v_min_i32_e32 v1, 31, v2
	v_lshlrev_b32_e32 v1, 2, v1
	v_cmp_eq_u32_e32 vcc, 0, v2
	v_and_b32_e32 v1, 0xfc, v1
	v_and_or_b32 v0, v0, 3, v1
	s_and_b64 s[28:29], vcc, s[28:29]
	v_cndmask_b32_e64 v0, v0, 0, s[28:29]
	v_or_b32_e32 v50, v0, v51
.LBB4_6074:                             ;   in Loop: Header=BB4_5364 Depth=3
	s_or_b64 exec, exec, s[36:37]
                                        ; implicit-def: $vgpr51
.LBB4_6075:                             ;   in Loop: Header=BB4_5364 Depth=3
	s_andn2_saveexec_b64 s[28:29], s[34:35]
; %bb.6076:                             ;   in Loop: Header=BB4_5364 Depth=3
	v_or_b32_e32 v50, 0x7b, v51
; %bb.6077:                             ;   in Loop: Header=BB4_5364 Depth=3
	s_or_b64 exec, exec, s[28:29]
                                        ; implicit-def: $vgpr0
.LBB4_6078:                             ;   in Loop: Header=BB4_5364 Depth=3
	s_andn2_saveexec_b64 s[28:29], s[30:31]
	s_cbranch_execz .LBB4_6084
; %bb.6079:                             ;   in Loop: Header=BB4_5364 Depth=3
	v_cmp_ne_u64_e32 vcc, 0, v[60:61]
                                        ; implicit-def: $vgpr50
	s_and_saveexec_b64 s[30:31], vcc
	s_xor_b64 vcc, exec, s[30:31]
; %bb.6080:                             ;   in Loop: Header=BB4_5364 Depth=3
	v_or_b32_sdwa v50, v0, s44 dst_sel:DWORD dst_unused:UNUSED_PAD src0_sel:BYTE_3 src1_sel:DWORD
                                        ; implicit-def: $vgpr0
; %bb.6081:                             ;   in Loop: Header=BB4_5364 Depth=3
	s_andn2_saveexec_b64 s[30:31], vcc
; %bb.6082:                             ;   in Loop: Header=BB4_5364 Depth=3
	v_cmp_lt_i32_e32 vcc, -1, v0
	v_bfrev_b32_e32 v0, 0.5
	v_mov_b32_e32 v1, 0x7c
	v_cndmask_b32_e32 v50, v0, v1, vcc
; %bb.6083:                             ;   in Loop: Header=BB4_5364 Depth=3
	s_or_b64 exec, exec, s[30:31]
.LBB4_6084:                             ;   in Loop: Header=BB4_5364 Depth=3
	s_or_b64 exec, exec, s[28:29]
	v_mov_b32_e32 v60, v13
	v_cmp_ne_u16_sdwa vcc, v13, v61 src0_sel:BYTE_0 src1_sel:DWORD
	v_mov_b32_e32 v1, 0
	v_mov_b32_e32 v0, 0
	s_and_saveexec_b64 s[28:29], vcc
	s_cbranch_execz .LBB4_6092
; %bb.6085:                             ;   in Loop: Header=BB4_5364 Depth=3
	v_cmp_ne_u16_sdwa vcc, v13, s81 src0_sel:BYTE_0 src1_sel:DWORD
	v_bfrev_b32_e32 v0, 1
	s_and_saveexec_b64 s[30:31], vcc
	s_cbranch_execz .LBB4_6091
; %bb.6086:                             ;   in Loop: Header=BB4_5364 Depth=3
	v_and_b32_e32 v0, 0x7c, v13
	v_and_b32_e32 v2, 3, v13
	v_cmp_ne_u32_e32 vcc, s71, v0
                                        ; implicit-def: $vgpr0
	s_and_saveexec_b64 s[34:35], vcc
	s_xor_b64 s[34:35], exec, s[34:35]
	s_cbranch_execz .LBB4_6088
; %bb.6087:                             ;   in Loop: Header=BB4_5364 Depth=3
	v_ffbh_u32_e32 v51, v2
	v_min_u32_e32 v53, 32, v51
	v_subrev_u32_e32 v51, 29, v53
	v_lshlrev_b64 v[51:52], v51, v[60:61]
	v_bfe_u32 v0, v13, 2, 5
	v_and_b32_e32 v51, 3, v51
	v_cmp_eq_u32_e32 vcc, 0, v0
	v_sub_u32_e32 v52, 30, v53
	v_cndmask_b32_e32 v2, v2, v51, vcc
	v_lshlrev_b32_e32 v51, 24, v13
	v_cndmask_b32_e32 v0, v0, v52, vcc
	v_and_b32_e32 v51, 0x80000000, v51
	v_lshl_add_u32 v0, v0, 23, v51
	v_lshl_or_b32 v0, v2, 21, v0
	v_add_u32_e32 v0, 0x38000000, v0
                                        ; implicit-def: $vgpr2
.LBB4_6088:                             ;   in Loop: Header=BB4_5364 Depth=3
	s_andn2_saveexec_b64 s[34:35], s[34:35]
; %bb.6089:                             ;   in Loop: Header=BB4_5364 Depth=3
	v_mov_b32_e32 v0, -1
	v_cmp_gt_i16_sdwa vcc, sext(v13), v0 src0_sel:BYTE_0 src1_sel:DWORD
	v_mov_b32_e32 v0, 0xff800000
	v_cndmask_b32_e32 v0, v0, v47, vcc
	v_cmp_eq_u32_e32 vcc, 0, v2
	v_mov_b32_e32 v2, 0x7f800001
	v_cndmask_b32_e32 v0, v2, v0, vcc
; %bb.6090:                             ;   in Loop: Header=BB4_5364 Depth=3
	s_or_b64 exec, exec, s[34:35]
.LBB4_6091:                             ;   in Loop: Header=BB4_5364 Depth=3
	s_or_b64 exec, exec, s[30:31]
.LBB4_6092:                             ;   in Loop: Header=BB4_5364 Depth=3
	s_or_b64 exec, exec, s[28:29]
	v_cmp_ne_u16_sdwa vcc, v9, v61 src0_sel:BYTE_0 src1_sel:DWORD
	s_and_saveexec_b64 s[28:29], vcc
	s_cbranch_execz .LBB4_6100
; %bb.6093:                             ;   in Loop: Header=BB4_5364 Depth=3
	v_cmp_ne_u16_sdwa vcc, v9, s81 src0_sel:BYTE_0 src1_sel:DWORD
	v_bfrev_b32_e32 v1, 1
	s_and_saveexec_b64 s[30:31], vcc
	s_cbranch_execz .LBB4_6099
; %bb.6094:                             ;   in Loop: Header=BB4_5364 Depth=3
	v_and_b32_e32 v1, 0x7c, v9
	v_and_b32_e32 v2, 3, v9
	v_cmp_ne_u32_e32 vcc, s71, v1
                                        ; implicit-def: $vgpr1
	s_and_saveexec_b64 s[34:35], vcc
	s_xor_b64 s[34:35], exec, s[34:35]
	s_cbranch_execz .LBB4_6096
; %bb.6095:                             ;   in Loop: Header=BB4_5364 Depth=3
	v_ffbh_u32_e32 v53, v2
	v_min_u32_e32 v53, 32, v53
	v_mov_b32_e32 v51, v9
	v_mov_b32_e32 v52, v61
	v_subrev_u32_e32 v54, 29, v53
	v_lshlrev_b64 v[51:52], v54, v[51:52]
	v_bfe_u32 v1, v9, 2, 5
	v_and_b32_e32 v51, 3, v51
	v_cmp_eq_u32_e32 vcc, 0, v1
	v_sub_u32_e32 v52, 30, v53
	v_cndmask_b32_e32 v2, v2, v51, vcc
	v_lshlrev_b32_e32 v51, 24, v9
	v_cndmask_b32_e32 v1, v1, v52, vcc
	v_and_b32_e32 v51, 0x80000000, v51
	v_lshl_add_u32 v1, v1, 23, v51
	v_lshl_or_b32 v1, v2, 21, v1
	v_add_u32_e32 v1, 0x38000000, v1
                                        ; implicit-def: $vgpr2
.LBB4_6096:                             ;   in Loop: Header=BB4_5364 Depth=3
	s_andn2_saveexec_b64 s[34:35], s[34:35]
; %bb.6097:                             ;   in Loop: Header=BB4_5364 Depth=3
	v_mov_b32_e32 v1, -1
	v_cmp_gt_i16_sdwa vcc, sext(v9), v1 src0_sel:BYTE_0 src1_sel:DWORD
	v_mov_b32_e32 v1, 0xff800000
	v_cndmask_b32_e32 v1, v1, v47, vcc
	v_cmp_eq_u32_e32 vcc, 0, v2
	v_mov_b32_e32 v2, 0x7f800001
	v_cndmask_b32_e32 v1, v2, v1, vcc
; %bb.6098:                             ;   in Loop: Header=BB4_5364 Depth=3
	s_or_b64 exec, exec, s[34:35]
.LBB4_6099:                             ;   in Loop: Header=BB4_5364 Depth=3
	s_or_b64 exec, exec, s[30:31]
.LBB4_6100:                             ;   in Loop: Header=BB4_5364 Depth=3
	s_or_b64 exec, exec, s[28:29]
	v_mul_f32_e32 v2, v0, v1
	v_and_b32_e32 v51, 0x7f800000, v2
	v_mov_b32_e32 v52, v61
	v_cmp_ne_u64_e32 vcc, s[62:63], v[51:52]
	v_and_b32_e32 v0, 0x7fffff, v2
	v_mov_b32_e32 v1, v61
                                        ; implicit-def: $vgpr51
	s_and_saveexec_b64 s[28:29], vcc
	s_xor_b64 s[30:31], exec, s[28:29]
	s_cbranch_execz .LBB4_6114
; %bb.6101:                             ;   in Loop: Header=BB4_5364 Depth=3
	v_and_b32_e32 v51, 0x7fffffff, v2
	v_mov_b32_e32 v52, v61
	v_cmp_gt_u64_e32 vcc, s[78:79], v[51:52]
	v_and_b32_sdwa v52, v2, s81 dst_sel:DWORD dst_unused:UNUSED_PAD src0_sel:BYTE_3 src1_sel:DWORD
                                        ; implicit-def: $vgpr51
	s_and_saveexec_b64 s[28:29], vcc
	s_xor_b64 s[34:35], exec, s[28:29]
	s_cbranch_execz .LBB4_6111
; %bb.6102:                             ;   in Loop: Header=BB4_5364 Depth=3
	v_mov_b32_e32 v51, 0
	v_cmp_ne_u32_e32 vcc, 0, v2
	s_and_saveexec_b64 s[36:37], vcc
	s_cbranch_execz .LBB4_6110
; %bb.6103:                             ;   in Loop: Header=BB4_5364 Depth=3
	v_bfe_u32 v51, v2, 23, 8
	v_cmp_gt_u32_e64 s[28:29], s47, v51
	v_sub_u32_e32 v2, 0x71, v51
	v_cmp_eq_u32_e32 vcc, 0, v51
	v_cndmask_b32_e64 v2, 0, v2, s[28:29]
	v_mov_b32_e32 v53, 0x70
	v_cndmask_b32_e32 v53, v2, v53, vcc
	v_or_b32_e32 v54, 0x800000, v0
	v_add_u32_e32 v2, 21, v53
	v_cndmask_b32_e32 v0, v54, v0, vcc
	v_lshlrev_b64 v[54:55], v2, -1
	v_add_u32_e32 v2, 20, v53
	v_bfi_b32 v54, v54, 0, v0
	v_lshlrev_b64 v[42:43], v2, 1
	v_lshrrev_b64 v[0:1], v53, v[0:1]
	v_bfi_b32 v55, v55, 0, 0
	v_cmp_eq_u64_e64 s[28:29], v[54:55], v[42:43]
	v_mov_b32_e32 v2, v1
	v_mov_b32_e32 v1, v0
	s_and_saveexec_b64 s[38:39], s[28:29]
; %bb.6104:                             ;   in Loop: Header=BB4_5364 Depth=3
	v_bfe_u32 v1, v0, 21, 1
	v_add_co_u32_e64 v1, s[28:29], v0, v1
	v_add_co_u32_e64 v1, s[28:29], -1, v1
; %bb.6105:                             ;   in Loop: Header=BB4_5364 Depth=3
	s_or_b64 exec, exec, s[38:39]
	v_add_u32_e32 v2, 0xffffff81, v51
	v_mov_b32_e32 v51, 0xffffff82
	v_cndmask_b32_e32 v2, v2, v51, vcc
	v_lshrrev_b32_e32 v51, 23, v0
	v_add3_u32 v53, v53, v2, v51
	v_add_u32_e32 v51, 14, v53
	v_and_b32_e32 v1, 0x1fffff, v1
	v_add_u32_e32 v0, v1, v0
	v_mov_b32_e32 v1, v61
	v_cmp_ne_u32_e32 vcc, 0, v51
                                        ; implicit-def: $vgpr2
	s_and_saveexec_b64 s[28:29], vcc
	s_xor_b64 s[28:29], exec, s[28:29]
; %bb.6106:                             ;   in Loop: Header=BB4_5364 Depth=3
	v_cmp_lt_u64_e32 vcc, s[88:89], v[0:1]
	v_add_u32_e32 v2, 15, v53
	v_cndmask_b32_e32 v2, v51, v2, vcc
	v_cndmask_b32_e64 v51, 0, 1, vcc
	v_lshrrev_b64 v[0:1], v51, v[0:1]
; %bb.6107:                             ;   in Loop: Header=BB4_5364 Depth=3
	s_andn2_saveexec_b64 s[28:29], s[28:29]
; %bb.6108:                             ;   in Loop: Header=BB4_5364 Depth=3
	v_bfe_u32 v2, v0, 23, 1
; %bb.6109:                             ;   in Loop: Header=BB4_5364 Depth=3
	s_or_b64 exec, exec, s[28:29]
	v_lshrrev_b64 v[0:1], 21, v[0:1]
	v_cmp_gt_i32_e32 vcc, 32, v2
	v_cndmask_b32_e32 v1, 0, v1, vcc
	v_cndmask_b32_e32 v0, 3, v0, vcc
	v_cmp_eq_u64_e64 s[28:29], 0, v[0:1]
	v_min_i32_e32 v1, 31, v2
	v_lshlrev_b32_e32 v1, 2, v1
	v_cmp_eq_u32_e32 vcc, 0, v2
	v_and_b32_e32 v1, 0xfc, v1
	v_and_or_b32 v0, v0, 3, v1
	s_and_b64 s[28:29], vcc, s[28:29]
	v_cndmask_b32_e64 v0, v0, 0, s[28:29]
	v_or_b32_e32 v51, v0, v52
.LBB4_6110:                             ;   in Loop: Header=BB4_5364 Depth=3
	s_or_b64 exec, exec, s[36:37]
                                        ; implicit-def: $vgpr52
.LBB4_6111:                             ;   in Loop: Header=BB4_5364 Depth=3
	s_andn2_saveexec_b64 s[28:29], s[34:35]
; %bb.6112:                             ;   in Loop: Header=BB4_5364 Depth=3
	v_or_b32_e32 v51, 0x7b, v52
; %bb.6113:                             ;   in Loop: Header=BB4_5364 Depth=3
	s_or_b64 exec, exec, s[28:29]
                                        ; implicit-def: $vgpr2
                                        ; implicit-def: $vgpr0_vgpr1
.LBB4_6114:                             ;   in Loop: Header=BB4_5364 Depth=3
	s_andn2_saveexec_b64 s[28:29], s[30:31]
	s_cbranch_execz .LBB4_6120
; %bb.6115:                             ;   in Loop: Header=BB4_5364 Depth=3
	v_cmp_ne_u64_e32 vcc, 0, v[0:1]
                                        ; implicit-def: $vgpr51
	s_and_saveexec_b64 s[30:31], vcc
	s_xor_b64 vcc, exec, s[30:31]
; %bb.6116:                             ;   in Loop: Header=BB4_5364 Depth=3
	v_or_b32_sdwa v51, v2, s44 dst_sel:DWORD dst_unused:UNUSED_PAD src0_sel:BYTE_3 src1_sel:DWORD
                                        ; implicit-def: $vgpr2
; %bb.6117:                             ;   in Loop: Header=BB4_5364 Depth=3
	s_andn2_saveexec_b64 s[30:31], vcc
; %bb.6118:                             ;   in Loop: Header=BB4_5364 Depth=3
	v_cmp_lt_i32_e32 vcc, -1, v2
	v_bfrev_b32_e32 v0, 0.5
	v_mov_b32_e32 v1, 0x7c
	v_cndmask_b32_e32 v51, v0, v1, vcc
; %bb.6119:                             ;   in Loop: Header=BB4_5364 Depth=3
	s_or_b64 exec, exec, s[30:31]
.LBB4_6120:                             ;   in Loop: Header=BB4_5364 Depth=3
	s_or_b64 exec, exec, s[28:29]
	v_lshrrev_b16_e32 v0, 8, v60
	v_cmp_ne_u16_e32 vcc, 0, v0
	v_mov_b32_e32 v2, 0
	v_mov_b32_e32 v52, 0
	s_and_saveexec_b64 s[28:29], vcc
	s_cbranch_execz .LBB4_6128
; %bb.6121:                             ;   in Loop: Header=BB4_5364 Depth=3
	v_cmp_ne_u16_e32 vcc, s81, v0
	v_bfrev_b32_e32 v52, 1
	s_and_saveexec_b64 s[30:31], vcc
	s_cbranch_execz .LBB4_6127
; %bb.6122:                             ;   in Loop: Header=BB4_5364 Depth=3
	v_and_b32_e32 v1, 0x7c, v0
	v_and_b32_e32 v53, 3, v0
	v_cmp_ne_u32_e32 vcc, s71, v1
                                        ; implicit-def: $vgpr52
	s_and_saveexec_b64 s[34:35], vcc
	s_xor_b64 s[34:35], exec, s[34:35]
	s_cbranch_execz .LBB4_6124
; %bb.6123:                             ;   in Loop: Header=BB4_5364 Depth=3
	v_ffbh_u32_e32 v54, v53
	v_min_u32_e32 v54, 32, v54
	v_mov_b32_e32 v1, v61
	v_subrev_u32_e32 v55, 29, v54
	v_bfe_u32 v52, v0, 2, 5
	v_lshlrev_b64 v[0:1], v55, v[0:1]
	v_sub_u32_e32 v1, 30, v54
	v_cmp_eq_u32_e32 vcc, 0, v52
	v_cndmask_b32_e32 v1, v52, v1, vcc
	v_lshlrev_b32_e32 v52, 16, v60
	v_and_b32_e32 v0, 3, v0
	v_and_b32_e32 v52, 0x80000000, v52
	v_cndmask_b32_e32 v0, v53, v0, vcc
	v_lshl_add_u32 v1, v1, 23, v52
	v_lshl_or_b32 v0, v0, 21, v1
	v_add_u32_e32 v52, 0x38000000, v0
                                        ; implicit-def: $vgpr53
.LBB4_6124:                             ;   in Loop: Header=BB4_5364 Depth=3
	s_andn2_saveexec_b64 s[34:35], s[34:35]
; %bb.6125:                             ;   in Loop: Header=BB4_5364 Depth=3
	v_cmp_lt_i16_e32 vcc, -1, v60
	v_mov_b32_e32 v0, 0xff800000
	v_cndmask_b32_e32 v0, v0, v47, vcc
	v_cmp_eq_u32_e32 vcc, 0, v53
	v_mov_b32_e32 v1, 0x7f800001
	v_cndmask_b32_e32 v52, v1, v0, vcc
; %bb.6126:                             ;   in Loop: Header=BB4_5364 Depth=3
	s_or_b64 exec, exec, s[34:35]
.LBB4_6127:                             ;   in Loop: Header=BB4_5364 Depth=3
	s_or_b64 exec, exec, s[30:31]
.LBB4_6128:                             ;   in Loop: Header=BB4_5364 Depth=3
	s_or_b64 exec, exec, s[28:29]
	v_lshrrev_b16_e32 v0, 8, v9
	v_cmp_ne_u16_e32 vcc, 0, v0
	s_and_saveexec_b64 s[28:29], vcc
	s_cbranch_execz .LBB4_6136
; %bb.6129:                             ;   in Loop: Header=BB4_5364 Depth=3
	v_cmp_ne_u16_e32 vcc, s81, v0
	v_bfrev_b32_e32 v2, 1
	s_and_saveexec_b64 s[30:31], vcc
	s_cbranch_execz .LBB4_6135
; %bb.6130:                             ;   in Loop: Header=BB4_5364 Depth=3
	v_and_b32_e32 v1, 0x7c, v0
	v_and_b32_e32 v53, 3, v0
	v_cmp_ne_u32_e32 vcc, s71, v1
                                        ; implicit-def: $vgpr2
	s_and_saveexec_b64 s[34:35], vcc
	s_xor_b64 s[34:35], exec, s[34:35]
	s_cbranch_execz .LBB4_6132
; %bb.6131:                             ;   in Loop: Header=BB4_5364 Depth=3
	v_ffbh_u32_e32 v54, v53
	v_min_u32_e32 v54, 32, v54
	v_mov_b32_e32 v1, v61
	v_subrev_u32_e32 v55, 29, v54
	v_bfe_u32 v2, v0, 2, 5
	v_lshlrev_b64 v[0:1], v55, v[0:1]
	v_sub_u32_e32 v1, 30, v54
	v_cmp_eq_u32_e32 vcc, 0, v2
	v_cndmask_b32_e32 v1, v2, v1, vcc
	v_lshlrev_b32_e32 v2, 16, v9
	v_and_b32_e32 v0, 3, v0
	v_and_b32_e32 v2, 0x80000000, v2
	v_cndmask_b32_e32 v0, v53, v0, vcc
	v_lshl_add_u32 v1, v1, 23, v2
	v_lshl_or_b32 v0, v0, 21, v1
	v_add_u32_e32 v2, 0x38000000, v0
                                        ; implicit-def: $vgpr53
.LBB4_6132:                             ;   in Loop: Header=BB4_5364 Depth=3
	s_andn2_saveexec_b64 s[34:35], s[34:35]
; %bb.6133:                             ;   in Loop: Header=BB4_5364 Depth=3
	v_cmp_lt_i16_e32 vcc, -1, v9
	v_mov_b32_e32 v0, 0xff800000
	v_cndmask_b32_e32 v0, v0, v47, vcc
	v_cmp_eq_u32_e32 vcc, 0, v53
	v_mov_b32_e32 v1, 0x7f800001
	v_cndmask_b32_e32 v2, v1, v0, vcc
; %bb.6134:                             ;   in Loop: Header=BB4_5364 Depth=3
	s_or_b64 exec, exec, s[34:35]
.LBB4_6135:                             ;   in Loop: Header=BB4_5364 Depth=3
	s_or_b64 exec, exec, s[30:31]
.LBB4_6136:                             ;   in Loop: Header=BB4_5364 Depth=3
	s_or_b64 exec, exec, s[28:29]
	v_mul_f32_e32 v0, v52, v2
	v_and_b32_e32 v1, 0x7f800000, v0
	v_mov_b32_e32 v2, v61
	v_cmp_ne_u64_e32 vcc, s[62:63], v[1:2]
	v_and_b32_e32 v60, 0x7fffff, v0
                                        ; implicit-def: $vgpr52
	s_and_saveexec_b64 s[28:29], vcc
	s_xor_b64 s[30:31], exec, s[28:29]
	s_cbranch_execz .LBB4_6150
; %bb.6137:                             ;   in Loop: Header=BB4_5364 Depth=3
	v_and_b32_e32 v1, 0x7fffffff, v0
	v_mov_b32_e32 v2, v61
	v_cmp_gt_u64_e32 vcc, s[78:79], v[1:2]
	v_and_b32_sdwa v53, v0, s81 dst_sel:DWORD dst_unused:UNUSED_PAD src0_sel:BYTE_3 src1_sel:DWORD
                                        ; implicit-def: $vgpr52
	s_and_saveexec_b64 s[28:29], vcc
	s_xor_b64 s[34:35], exec, s[28:29]
	s_cbranch_execz .LBB4_6147
; %bb.6138:                             ;   in Loop: Header=BB4_5364 Depth=3
	v_mov_b32_e32 v52, 0
	v_cmp_ne_u32_e32 vcc, 0, v0
	s_and_saveexec_b64 s[36:37], vcc
	s_cbranch_execz .LBB4_6146
; %bb.6139:                             ;   in Loop: Header=BB4_5364 Depth=3
	v_bfe_u32 v52, v0, 23, 8
	v_cmp_gt_u32_e64 s[28:29], s47, v52
	v_sub_u32_e32 v0, 0x71, v52
	v_cmp_eq_u32_e32 vcc, 0, v52
	v_cndmask_b32_e64 v0, 0, v0, s[28:29]
	v_mov_b32_e32 v2, 0x70
	v_cndmask_b32_e32 v54, v0, v2, vcc
	v_add_u32_e32 v2, 21, v54
	v_or_b32_e32 v1, 0x800000, v60
	v_lshlrev_b64 v[42:43], v2, -1
	v_cndmask_b32_e32 v0, v1, v60, vcc
	v_mov_b32_e32 v1, v61
	v_add_u32_e32 v2, 20, v54
	v_bfi_b32 v42, v42, 0, v0
	v_lshlrev_b64 v[55:56], v2, 1
	v_lshrrev_b64 v[0:1], v54, v[0:1]
	v_bfi_b32 v43, v43, 0, 0
	v_cmp_eq_u64_e64 s[28:29], v[42:43], v[55:56]
	v_mov_b32_e32 v2, v1
	v_mov_b32_e32 v1, v0
	s_and_saveexec_b64 s[38:39], s[28:29]
; %bb.6140:                             ;   in Loop: Header=BB4_5364 Depth=3
	v_bfe_u32 v1, v0, 21, 1
	v_add_co_u32_e64 v1, s[28:29], v0, v1
	v_add_co_u32_e64 v1, s[28:29], -1, v1
; %bb.6141:                             ;   in Loop: Header=BB4_5364 Depth=3
	s_or_b64 exec, exec, s[38:39]
	v_add_u32_e32 v2, 0xffffff81, v52
	v_mov_b32_e32 v52, 0xffffff82
	v_cndmask_b32_e32 v2, v2, v52, vcc
	v_lshrrev_b32_e32 v52, 23, v0
	v_add3_u32 v54, v54, v2, v52
	v_add_u32_e32 v52, 14, v54
	v_and_b32_e32 v1, 0x1fffff, v1
	v_add_u32_e32 v60, v1, v0
	v_cmp_ne_u32_e32 vcc, 0, v52
                                        ; implicit-def: $vgpr0_vgpr1
                                        ; implicit-def: $vgpr2
	s_and_saveexec_b64 s[28:29], vcc
	s_xor_b64 s[28:29], exec, s[28:29]
; %bb.6142:                             ;   in Loop: Header=BB4_5364 Depth=3
	v_cmp_lt_u64_e32 vcc, s[88:89], v[60:61]
	v_add_u32_e32 v0, 15, v54
	v_cndmask_b32_e32 v2, v52, v0, vcc
	v_cndmask_b32_e64 v0, 0, 1, vcc
	v_lshrrev_b64 v[0:1], v0, v[60:61]
; %bb.6143:                             ;   in Loop: Header=BB4_5364 Depth=3
	s_andn2_saveexec_b64 s[28:29], s[28:29]
; %bb.6144:                             ;   in Loop: Header=BB4_5364 Depth=3
	v_mov_b32_e32 v0, v60
	v_mov_b32_e32 v1, v61
	v_bfe_u32 v2, v60, 23, 1
; %bb.6145:                             ;   in Loop: Header=BB4_5364 Depth=3
	s_or_b64 exec, exec, s[28:29]
	v_lshrrev_b64 v[0:1], 21, v[0:1]
	v_cmp_gt_i32_e32 vcc, 32, v2
	v_cndmask_b32_e32 v1, 0, v1, vcc
	v_cndmask_b32_e32 v0, 3, v0, vcc
	v_cmp_eq_u64_e64 s[28:29], 0, v[0:1]
	v_min_i32_e32 v1, 31, v2
	v_lshlrev_b32_e32 v1, 2, v1
	v_cmp_eq_u32_e32 vcc, 0, v2
	v_and_b32_e32 v1, 0xfc, v1
	v_and_or_b32 v0, v0, 3, v1
	s_and_b64 s[28:29], vcc, s[28:29]
	v_cndmask_b32_e64 v0, v0, 0, s[28:29]
	v_or_b32_e32 v52, v0, v53
.LBB4_6146:                             ;   in Loop: Header=BB4_5364 Depth=3
	s_or_b64 exec, exec, s[36:37]
                                        ; implicit-def: $vgpr53
.LBB4_6147:                             ;   in Loop: Header=BB4_5364 Depth=3
	s_andn2_saveexec_b64 s[28:29], s[34:35]
; %bb.6148:                             ;   in Loop: Header=BB4_5364 Depth=3
	v_or_b32_e32 v52, 0x7b, v53
; %bb.6149:                             ;   in Loop: Header=BB4_5364 Depth=3
	s_or_b64 exec, exec, s[28:29]
                                        ; implicit-def: $vgpr0
.LBB4_6150:                             ;   in Loop: Header=BB4_5364 Depth=3
	s_andn2_saveexec_b64 s[28:29], s[30:31]
	s_cbranch_execz .LBB4_6156
; %bb.6151:                             ;   in Loop: Header=BB4_5364 Depth=3
	v_cmp_ne_u64_e32 vcc, 0, v[60:61]
                                        ; implicit-def: $vgpr52
	s_and_saveexec_b64 s[30:31], vcc
	s_xor_b64 vcc, exec, s[30:31]
; %bb.6152:                             ;   in Loop: Header=BB4_5364 Depth=3
	v_or_b32_sdwa v52, v0, s44 dst_sel:DWORD dst_unused:UNUSED_PAD src0_sel:BYTE_3 src1_sel:DWORD
                                        ; implicit-def: $vgpr0
; %bb.6153:                             ;   in Loop: Header=BB4_5364 Depth=3
	s_andn2_saveexec_b64 s[30:31], vcc
; %bb.6154:                             ;   in Loop: Header=BB4_5364 Depth=3
	v_cmp_lt_i32_e32 vcc, -1, v0
	v_bfrev_b32_e32 v0, 0.5
	v_mov_b32_e32 v1, 0x7c
	v_cndmask_b32_e32 v52, v0, v1, vcc
; %bb.6155:                             ;   in Loop: Header=BB4_5364 Depth=3
	s_or_b64 exec, exec, s[30:31]
.LBB4_6156:                             ;   in Loop: Header=BB4_5364 Depth=3
	s_or_b64 exec, exec, s[28:29]
	v_lshrrev_b32_e32 v0, 16, v13
	v_cmp_ne_u16_sdwa vcc, v0, v61 src0_sel:BYTE_0 src1_sel:DWORD
	v_mov_b32_e32 v1, 0
	v_mov_b32_e32 v2, 0
	s_and_saveexec_b64 s[28:29], vcc
	s_cbranch_execz .LBB4_6164
; %bb.6157:                             ;   in Loop: Header=BB4_5364 Depth=3
	v_cmp_ne_u16_sdwa vcc, v0, s81 src0_sel:BYTE_0 src1_sel:DWORD
	v_bfrev_b32_e32 v2, 1
	s_and_saveexec_b64 s[30:31], vcc
	s_cbranch_execz .LBB4_6163
; %bb.6158:                             ;   in Loop: Header=BB4_5364 Depth=3
	v_and_b32_e32 v2, 0x7c0000, v13
	v_bfe_u32 v53, v13, 16, 2
	v_cmp_ne_u32_e32 vcc, s45, v2
                                        ; implicit-def: $vgpr2
	s_and_saveexec_b64 s[34:35], vcc
	s_xor_b64 s[34:35], exec, s[34:35]
	s_cbranch_execz .LBB4_6160
; %bb.6159:                             ;   in Loop: Header=BB4_5364 Depth=3
	v_ffbh_u32_e32 v54, v53
	v_min_u32_e32 v42, 32, v54
	v_subrev_u32_e32 v54, 29, v42
	v_lshlrev_b64 v[54:55], v54, v[0:1]
	v_bfe_u32 v2, v13, 18, 5
	v_sub_u32_e32 v0, 30, v42
	v_and_b32_e32 v54, 3, v54
	v_cmp_eq_u32_e32 vcc, 0, v2
	v_cndmask_b32_e32 v0, v2, v0, vcc
	v_cndmask_b32_e32 v2, v53, v54, vcc
	v_lshlrev_b32_e32 v53, 8, v13
	v_and_b32_e32 v53, 0x80000000, v53
	v_lshl_add_u32 v0, v0, 23, v53
	v_lshl_or_b32 v0, v2, 21, v0
	v_add_u32_e32 v2, 0x38000000, v0
                                        ; implicit-def: $vgpr53
                                        ; implicit-def: $vgpr0
.LBB4_6160:                             ;   in Loop: Header=BB4_5364 Depth=3
	s_andn2_saveexec_b64 s[34:35], s[34:35]
; %bb.6161:                             ;   in Loop: Header=BB4_5364 Depth=3
	v_mov_b32_e32 v2, -1
	v_cmp_gt_i16_sdwa vcc, sext(v0), v2 src0_sel:BYTE_0 src1_sel:DWORD
	v_mov_b32_e32 v0, 0xff800000
	v_cndmask_b32_e32 v0, v0, v47, vcc
	v_cmp_eq_u32_e32 vcc, 0, v53
	v_mov_b32_e32 v2, 0x7f800001
	v_cndmask_b32_e32 v2, v2, v0, vcc
; %bb.6162:                             ;   in Loop: Header=BB4_5364 Depth=3
	s_or_b64 exec, exec, s[34:35]
.LBB4_6163:                             ;   in Loop: Header=BB4_5364 Depth=3
	s_or_b64 exec, exec, s[30:31]
.LBB4_6164:                             ;   in Loop: Header=BB4_5364 Depth=3
	s_or_b64 exec, exec, s[28:29]
	v_lshrrev_b32_e32 v0, 16, v9
	v_cmp_ne_u16_sdwa vcc, v0, v61 src0_sel:BYTE_0 src1_sel:DWORD
	s_and_saveexec_b64 s[28:29], vcc
	s_cbranch_execz .LBB4_6172
; %bb.6165:                             ;   in Loop: Header=BB4_5364 Depth=3
	v_cmp_ne_u16_sdwa vcc, v0, s81 src0_sel:BYTE_0 src1_sel:DWORD
	v_bfrev_b32_e32 v1, 1
	s_and_saveexec_b64 s[30:31], vcc
	s_cbranch_execz .LBB4_6171
; %bb.6166:                             ;   in Loop: Header=BB4_5364 Depth=3
	v_and_b32_e32 v1, 0x7c0000, v9
	v_bfe_u32 v53, v9, 16, 2
	v_cmp_ne_u32_e32 vcc, s45, v1
                                        ; implicit-def: $vgpr1
	s_and_saveexec_b64 s[34:35], vcc
	s_xor_b64 s[34:35], exec, s[34:35]
	s_cbranch_execz .LBB4_6168
; %bb.6167:                             ;   in Loop: Header=BB4_5364 Depth=3
	v_ffbh_u32_e32 v1, v53
	v_min_u32_e32 v55, 32, v1
	v_subrev_u32_e32 v1, 29, v55
	v_lshlrev_b64 v[0:1], v1, v[0:1]
	v_bfe_u32 v54, v9, 18, 5
	v_and_b32_e32 v0, 3, v0
	v_cmp_eq_u32_e32 vcc, 0, v54
	v_sub_u32_e32 v1, 30, v55
	v_cndmask_b32_e32 v0, v53, v0, vcc
	v_lshlrev_b32_e32 v53, 8, v9
	v_cndmask_b32_e32 v1, v54, v1, vcc
	v_and_b32_e32 v53, 0x80000000, v53
	v_lshl_add_u32 v1, v1, 23, v53
	v_lshl_or_b32 v0, v0, 21, v1
	v_add_u32_e32 v1, 0x38000000, v0
                                        ; implicit-def: $vgpr53
                                        ; implicit-def: $vgpr0
.LBB4_6168:                             ;   in Loop: Header=BB4_5364 Depth=3
	s_andn2_saveexec_b64 s[34:35], s[34:35]
; %bb.6169:                             ;   in Loop: Header=BB4_5364 Depth=3
	v_mov_b32_e32 v1, -1
	v_cmp_gt_i16_sdwa vcc, sext(v0), v1 src0_sel:BYTE_0 src1_sel:DWORD
	v_mov_b32_e32 v0, 0xff800000
	v_cndmask_b32_e32 v0, v0, v47, vcc
	v_cmp_eq_u32_e32 vcc, 0, v53
	v_mov_b32_e32 v1, 0x7f800001
	v_cndmask_b32_e32 v1, v1, v0, vcc
; %bb.6170:                             ;   in Loop: Header=BB4_5364 Depth=3
	s_or_b64 exec, exec, s[34:35]
.LBB4_6171:                             ;   in Loop: Header=BB4_5364 Depth=3
	s_or_b64 exec, exec, s[30:31]
.LBB4_6172:                             ;   in Loop: Header=BB4_5364 Depth=3
	s_or_b64 exec, exec, s[28:29]
	v_mul_f32_e32 v0, v2, v1
	v_and_b32_e32 v1, 0x7f800000, v0
	v_mov_b32_e32 v2, v61
	v_cmp_ne_u64_e32 vcc, s[62:63], v[1:2]
	v_and_b32_e32 v60, 0x7fffff, v0
                                        ; implicit-def: $vgpr53
	s_and_saveexec_b64 s[28:29], vcc
	s_xor_b64 s[30:31], exec, s[28:29]
	s_cbranch_execz .LBB4_6186
; %bb.6173:                             ;   in Loop: Header=BB4_5364 Depth=3
	v_and_b32_e32 v1, 0x7fffffff, v0
	v_mov_b32_e32 v2, v61
	v_cmp_gt_u64_e32 vcc, s[78:79], v[1:2]
	v_and_b32_sdwa v54, v0, s81 dst_sel:DWORD dst_unused:UNUSED_PAD src0_sel:BYTE_3 src1_sel:DWORD
                                        ; implicit-def: $vgpr53
	s_and_saveexec_b64 s[28:29], vcc
	s_xor_b64 s[34:35], exec, s[28:29]
	s_cbranch_execz .LBB4_6183
; %bb.6174:                             ;   in Loop: Header=BB4_5364 Depth=3
	v_mov_b32_e32 v53, 0
	v_cmp_ne_u32_e32 vcc, 0, v0
	s_and_saveexec_b64 s[36:37], vcc
	s_cbranch_execz .LBB4_6182
; %bb.6175:                             ;   in Loop: Header=BB4_5364 Depth=3
	v_bfe_u32 v53, v0, 23, 8
	v_cmp_gt_u32_e64 s[28:29], s47, v53
	v_sub_u32_e32 v0, 0x71, v53
	v_cmp_eq_u32_e32 vcc, 0, v53
	v_cndmask_b32_e64 v0, 0, v0, s[28:29]
	v_mov_b32_e32 v2, 0x70
	v_cndmask_b32_e32 v55, v0, v2, vcc
	v_add_u32_e32 v2, 21, v55
	v_or_b32_e32 v1, 0x800000, v60
	v_lshlrev_b64 v[42:43], v2, -1
	v_cndmask_b32_e32 v0, v1, v60, vcc
	v_mov_b32_e32 v1, v61
	v_add_u32_e32 v2, 20, v55
	v_bfi_b32 v42, v42, 0, v0
	v_lshlrev_b64 v[56:57], v2, 1
	v_lshrrev_b64 v[0:1], v55, v[0:1]
	v_bfi_b32 v43, v43, 0, 0
	v_cmp_eq_u64_e64 s[28:29], v[42:43], v[56:57]
	v_mov_b32_e32 v2, v1
	v_mov_b32_e32 v1, v0
	s_and_saveexec_b64 s[38:39], s[28:29]
; %bb.6176:                             ;   in Loop: Header=BB4_5364 Depth=3
	v_bfe_u32 v1, v0, 21, 1
	v_add_co_u32_e64 v1, s[28:29], v0, v1
	v_add_co_u32_e64 v1, s[28:29], -1, v1
; %bb.6177:                             ;   in Loop: Header=BB4_5364 Depth=3
	s_or_b64 exec, exec, s[38:39]
	v_add_u32_e32 v2, 0xffffff81, v53
	v_mov_b32_e32 v53, 0xffffff82
	v_cndmask_b32_e32 v2, v2, v53, vcc
	v_lshrrev_b32_e32 v53, 23, v0
	v_add3_u32 v55, v55, v2, v53
	v_add_u32_e32 v53, 14, v55
	v_and_b32_e32 v1, 0x1fffff, v1
	v_add_u32_e32 v60, v1, v0
	v_cmp_ne_u32_e32 vcc, 0, v53
                                        ; implicit-def: $vgpr0_vgpr1
                                        ; implicit-def: $vgpr2
	s_and_saveexec_b64 s[28:29], vcc
	s_xor_b64 s[28:29], exec, s[28:29]
; %bb.6178:                             ;   in Loop: Header=BB4_5364 Depth=3
	v_cmp_lt_u64_e32 vcc, s[88:89], v[60:61]
	v_add_u32_e32 v0, 15, v55
	v_cndmask_b32_e32 v2, v53, v0, vcc
	v_cndmask_b32_e64 v0, 0, 1, vcc
	v_lshrrev_b64 v[0:1], v0, v[60:61]
; %bb.6179:                             ;   in Loop: Header=BB4_5364 Depth=3
	s_andn2_saveexec_b64 s[28:29], s[28:29]
; %bb.6180:                             ;   in Loop: Header=BB4_5364 Depth=3
	v_mov_b32_e32 v0, v60
	v_mov_b32_e32 v1, v61
	v_bfe_u32 v2, v60, 23, 1
; %bb.6181:                             ;   in Loop: Header=BB4_5364 Depth=3
	s_or_b64 exec, exec, s[28:29]
	v_lshrrev_b64 v[0:1], 21, v[0:1]
	v_cmp_gt_i32_e32 vcc, 32, v2
	v_cndmask_b32_e32 v1, 0, v1, vcc
	v_cndmask_b32_e32 v0, 3, v0, vcc
	v_cmp_eq_u64_e64 s[28:29], 0, v[0:1]
	v_min_i32_e32 v1, 31, v2
	v_lshlrev_b32_e32 v1, 2, v1
	v_cmp_eq_u32_e32 vcc, 0, v2
	v_and_b32_e32 v1, 0xfc, v1
	v_and_or_b32 v0, v0, 3, v1
	s_and_b64 s[28:29], vcc, s[28:29]
	v_cndmask_b32_e64 v0, v0, 0, s[28:29]
	v_or_b32_e32 v53, v0, v54
.LBB4_6182:                             ;   in Loop: Header=BB4_5364 Depth=3
	s_or_b64 exec, exec, s[36:37]
                                        ; implicit-def: $vgpr54
.LBB4_6183:                             ;   in Loop: Header=BB4_5364 Depth=3
	s_andn2_saveexec_b64 s[28:29], s[34:35]
; %bb.6184:                             ;   in Loop: Header=BB4_5364 Depth=3
	v_or_b32_e32 v53, 0x7b, v54
; %bb.6185:                             ;   in Loop: Header=BB4_5364 Depth=3
	s_or_b64 exec, exec, s[28:29]
                                        ; implicit-def: $vgpr0
.LBB4_6186:                             ;   in Loop: Header=BB4_5364 Depth=3
	s_andn2_saveexec_b64 s[28:29], s[30:31]
	s_cbranch_execz .LBB4_6192
; %bb.6187:                             ;   in Loop: Header=BB4_5364 Depth=3
	v_cmp_ne_u64_e32 vcc, 0, v[60:61]
                                        ; implicit-def: $vgpr53
	s_and_saveexec_b64 s[30:31], vcc
	s_xor_b64 vcc, exec, s[30:31]
; %bb.6188:                             ;   in Loop: Header=BB4_5364 Depth=3
	v_or_b32_sdwa v53, v0, s44 dst_sel:DWORD dst_unused:UNUSED_PAD src0_sel:BYTE_3 src1_sel:DWORD
                                        ; implicit-def: $vgpr0
; %bb.6189:                             ;   in Loop: Header=BB4_5364 Depth=3
	s_andn2_saveexec_b64 s[30:31], vcc
; %bb.6190:                             ;   in Loop: Header=BB4_5364 Depth=3
	v_cmp_lt_i32_e32 vcc, -1, v0
	v_bfrev_b32_e32 v0, 0.5
	v_mov_b32_e32 v1, 0x7c
	v_cndmask_b32_e32 v53, v0, v1, vcc
; %bb.6191:                             ;   in Loop: Header=BB4_5364 Depth=3
	s_or_b64 exec, exec, s[30:31]
.LBB4_6192:                             ;   in Loop: Header=BB4_5364 Depth=3
	s_or_b64 exec, exec, s[28:29]
	v_cmp_lt_u64_e32 vcc, s[56:57], v[12:13]
	v_mov_b32_e32 v1, 0
	v_mov_b32_e32 v2, 0
	s_and_saveexec_b64 s[28:29], vcc
	s_cbranch_execz .LBB4_6200
; %bb.6193:                             ;   in Loop: Header=BB4_5364 Depth=3
	v_lshrrev_b32_e32 v0, 24, v13
	v_cmp_ne_u32_e32 vcc, s81, v0
	v_bfrev_b32_e32 v2, 1
	s_and_saveexec_b64 s[30:31], vcc
	s_cbranch_execz .LBB4_6199
; %bb.6194:                             ;   in Loop: Header=BB4_5364 Depth=3
	v_and_b32_e32 v2, 0x7c000000, v13
	v_bfe_u32 v54, v13, 24, 2
	v_cmp_ne_u32_e32 vcc, s82, v2
                                        ; implicit-def: $vgpr2
	s_and_saveexec_b64 s[34:35], vcc
	s_xor_b64 s[34:35], exec, s[34:35]
	s_cbranch_execz .LBB4_6196
; %bb.6195:                             ;   in Loop: Header=BB4_5364 Depth=3
	v_ffbh_u32_e32 v55, v54
	v_min_u32_e32 v55, 32, v55
	v_subrev_u32_e32 v42, 29, v55
	v_lshlrev_b64 v[42:43], v42, v[0:1]
	v_bfe_u32 v2, v13, 26, 5
	v_sub_u32_e32 v0, 30, v55
	v_and_b32_e32 v55, 3, v42
	v_cmp_eq_u32_e32 vcc, 0, v2
	v_cndmask_b32_e32 v0, v2, v0, vcc
	v_cndmask_b32_e32 v2, v54, v55, vcc
	v_and_b32_e32 v54, 0x80000000, v13
	v_lshl_add_u32 v0, v0, 23, v54
	v_lshl_or_b32 v0, v2, 21, v0
	v_add_u32_e32 v2, 0x38000000, v0
                                        ; implicit-def: $vgpr54
.LBB4_6196:                             ;   in Loop: Header=BB4_5364 Depth=3
	s_andn2_saveexec_b64 s[34:35], s[34:35]
; %bb.6197:                             ;   in Loop: Header=BB4_5364 Depth=3
	v_cmp_lt_i64_e32 vcc, -1, v[12:13]
	v_mov_b32_e32 v0, 0xff800000
	v_cndmask_b32_e32 v0, v0, v47, vcc
	v_cmp_eq_u32_e32 vcc, 0, v54
	v_mov_b32_e32 v2, 0x7f800001
	v_cndmask_b32_e32 v2, v2, v0, vcc
; %bb.6198:                             ;   in Loop: Header=BB4_5364 Depth=3
	s_or_b64 exec, exec, s[34:35]
.LBB4_6199:                             ;   in Loop: Header=BB4_5364 Depth=3
	s_or_b64 exec, exec, s[30:31]
.LBB4_6200:                             ;   in Loop: Header=BB4_5364 Depth=3
	s_or_b64 exec, exec, s[28:29]
	v_cmp_lt_u64_e32 vcc, s[56:57], v[8:9]
	s_and_saveexec_b64 s[28:29], vcc
	s_cbranch_execz .LBB4_6208
; %bb.6201:                             ;   in Loop: Header=BB4_5364 Depth=3
	v_lshrrev_b32_e32 v0, 24, v9
	v_cmp_ne_u32_e32 vcc, s81, v0
	v_bfrev_b32_e32 v1, 1
	s_and_saveexec_b64 s[30:31], vcc
	s_cbranch_execz .LBB4_6207
; %bb.6202:                             ;   in Loop: Header=BB4_5364 Depth=3
	v_and_b32_e32 v1, 0x7c000000, v9
	v_bfe_u32 v12, v9, 24, 2
	v_cmp_ne_u32_e32 vcc, s82, v1
                                        ; implicit-def: $vgpr1
	s_and_saveexec_b64 s[34:35], vcc
	s_xor_b64 s[34:35], exec, s[34:35]
	s_cbranch_execz .LBB4_6204
; %bb.6203:                             ;   in Loop: Header=BB4_5364 Depth=3
	v_ffbh_u32_e32 v1, v12
	v_min_u32_e32 v54, 32, v1
	v_subrev_u32_e32 v1, 29, v54
	v_lshlrev_b64 v[0:1], v1, v[0:1]
	v_bfe_u32 v13, v9, 26, 5
	v_sub_u32_e32 v1, 30, v54
	v_and_b32_e32 v0, 3, v0
	v_cmp_eq_u32_e32 vcc, 0, v13
	v_cndmask_b32_e32 v1, v13, v1, vcc
	v_cndmask_b32_e32 v0, v12, v0, vcc
	v_and_b32_e32 v12, 0x80000000, v9
	v_lshl_add_u32 v1, v1, 23, v12
	v_lshl_or_b32 v0, v0, 21, v1
	v_add_u32_e32 v1, 0x38000000, v0
                                        ; implicit-def: $vgpr12
.LBB4_6204:                             ;   in Loop: Header=BB4_5364 Depth=3
	s_andn2_saveexec_b64 s[34:35], s[34:35]
; %bb.6205:                             ;   in Loop: Header=BB4_5364 Depth=3
	v_cmp_lt_i64_e32 vcc, -1, v[8:9]
	v_mov_b32_e32 v0, 0xff800000
	v_cndmask_b32_e32 v0, v0, v47, vcc
	v_cmp_eq_u32_e32 vcc, 0, v12
	v_mov_b32_e32 v1, 0x7f800001
	v_cndmask_b32_e32 v1, v1, v0, vcc
; %bb.6206:                             ;   in Loop: Header=BB4_5364 Depth=3
	s_or_b64 exec, exec, s[34:35]
.LBB4_6207:                             ;   in Loop: Header=BB4_5364 Depth=3
	s_or_b64 exec, exec, s[30:31]
.LBB4_6208:                             ;   in Loop: Header=BB4_5364 Depth=3
	s_or_b64 exec, exec, s[28:29]
	v_mul_f32_e32 v0, v2, v1
	v_and_b32_e32 v1, 0x7f800000, v0
	v_mov_b32_e32 v2, v61
	v_cmp_ne_u64_e32 vcc, s[62:63], v[1:2]
	v_and_b32_e32 v60, 0x7fffff, v0
                                        ; implicit-def: $vgpr8
	s_and_saveexec_b64 s[28:29], vcc
	s_xor_b64 s[30:31], exec, s[28:29]
	s_cbranch_execz .LBB4_6222
; %bb.6209:                             ;   in Loop: Header=BB4_5364 Depth=3
	v_and_b32_e32 v1, 0x7fffffff, v0
	v_mov_b32_e32 v2, v61
	v_cmp_gt_u64_e32 vcc, s[78:79], v[1:2]
	v_and_b32_sdwa v9, v0, s81 dst_sel:DWORD dst_unused:UNUSED_PAD src0_sel:BYTE_3 src1_sel:DWORD
                                        ; implicit-def: $vgpr8
	s_and_saveexec_b64 s[28:29], vcc
	s_xor_b64 s[34:35], exec, s[28:29]
	s_cbranch_execz .LBB4_6219
; %bb.6210:                             ;   in Loop: Header=BB4_5364 Depth=3
	v_mov_b32_e32 v8, 0
	v_cmp_ne_u32_e32 vcc, 0, v0
	s_and_saveexec_b64 s[36:37], vcc
	s_cbranch_execz .LBB4_6218
; %bb.6211:                             ;   in Loop: Header=BB4_5364 Depth=3
	v_bfe_u32 v8, v0, 23, 8
	v_cmp_gt_u32_e64 s[28:29], s47, v8
	v_sub_u32_e32 v0, 0x71, v8
	v_cmp_eq_u32_e32 vcc, 0, v8
	v_cndmask_b32_e64 v0, 0, v0, s[28:29]
	v_mov_b32_e32 v2, 0x70
	v_cndmask_b32_e32 v12, v0, v2, vcc
	v_add_u32_e32 v2, 21, v12
	v_or_b32_e32 v1, 0x800000, v60
	v_lshlrev_b64 v[54:55], v2, -1
	v_cndmask_b32_e32 v0, v1, v60, vcc
	v_mov_b32_e32 v1, v61
	v_add_u32_e32 v2, 20, v12
	v_bfi_b32 v54, v54, 0, v0
	v_lshlrev_b64 v[42:43], v2, 1
	v_lshrrev_b64 v[0:1], v12, v[0:1]
	v_bfi_b32 v55, v55, 0, 0
	v_cmp_eq_u64_e64 s[28:29], v[54:55], v[42:43]
	v_mov_b32_e32 v2, v1
	v_mov_b32_e32 v1, v0
	s_and_saveexec_b64 s[38:39], s[28:29]
; %bb.6212:                             ;   in Loop: Header=BB4_5364 Depth=3
	v_bfe_u32 v1, v0, 21, 1
	v_add_co_u32_e64 v1, s[28:29], v0, v1
	v_add_co_u32_e64 v1, s[28:29], -1, v1
; %bb.6213:                             ;   in Loop: Header=BB4_5364 Depth=3
	s_or_b64 exec, exec, s[38:39]
	v_add_u32_e32 v2, 0xffffff81, v8
	v_mov_b32_e32 v8, 0xffffff82
	v_cndmask_b32_e32 v2, v2, v8, vcc
	v_lshrrev_b32_e32 v8, 23, v0
	v_add3_u32 v12, v12, v2, v8
	v_add_u32_e32 v8, 14, v12
	v_and_b32_e32 v1, 0x1fffff, v1
	v_add_u32_e32 v60, v1, v0
	v_cmp_ne_u32_e32 vcc, 0, v8
                                        ; implicit-def: $vgpr0_vgpr1
                                        ; implicit-def: $vgpr2
	s_and_saveexec_b64 s[28:29], vcc
	s_xor_b64 s[28:29], exec, s[28:29]
; %bb.6214:                             ;   in Loop: Header=BB4_5364 Depth=3
	v_cmp_lt_u64_e32 vcc, s[88:89], v[60:61]
	v_add_u32_e32 v0, 15, v12
	v_cndmask_b32_e32 v2, v8, v0, vcc
	v_cndmask_b32_e64 v0, 0, 1, vcc
	v_lshrrev_b64 v[0:1], v0, v[60:61]
; %bb.6215:                             ;   in Loop: Header=BB4_5364 Depth=3
	s_andn2_saveexec_b64 s[28:29], s[28:29]
; %bb.6216:                             ;   in Loop: Header=BB4_5364 Depth=3
	v_mov_b32_e32 v0, v60
	v_mov_b32_e32 v1, v61
	v_bfe_u32 v2, v60, 23, 1
; %bb.6217:                             ;   in Loop: Header=BB4_5364 Depth=3
	s_or_b64 exec, exec, s[28:29]
	v_lshrrev_b64 v[0:1], 21, v[0:1]
	v_cmp_gt_i32_e32 vcc, 32, v2
	v_cndmask_b32_e32 v1, 0, v1, vcc
	v_cndmask_b32_e32 v0, 3, v0, vcc
	v_cmp_eq_u64_e64 s[28:29], 0, v[0:1]
	v_min_i32_e32 v1, 31, v2
	v_lshlrev_b32_e32 v1, 2, v1
	v_cmp_eq_u32_e32 vcc, 0, v2
	v_and_b32_e32 v1, 0xfc, v1
	v_and_or_b32 v0, v0, 3, v1
	s_and_b64 s[28:29], vcc, s[28:29]
	v_cndmask_b32_e64 v0, v0, 0, s[28:29]
	v_or_b32_e32 v8, v0, v9
.LBB4_6218:                             ;   in Loop: Header=BB4_5364 Depth=3
	s_or_b64 exec, exec, s[36:37]
                                        ; implicit-def: $vgpr9
.LBB4_6219:                             ;   in Loop: Header=BB4_5364 Depth=3
	s_andn2_saveexec_b64 s[28:29], s[34:35]
; %bb.6220:                             ;   in Loop: Header=BB4_5364 Depth=3
	v_or_b32_e32 v8, 0x7b, v9
; %bb.6221:                             ;   in Loop: Header=BB4_5364 Depth=3
	s_or_b64 exec, exec, s[28:29]
                                        ; implicit-def: $vgpr0
.LBB4_6222:                             ;   in Loop: Header=BB4_5364 Depth=3
	s_andn2_saveexec_b64 s[28:29], s[30:31]
	s_cbranch_execz .LBB4_6228
; %bb.6223:                             ;   in Loop: Header=BB4_5364 Depth=3
	v_cmp_ne_u64_e32 vcc, 0, v[60:61]
                                        ; implicit-def: $vgpr8
	s_and_saveexec_b64 s[30:31], vcc
	s_xor_b64 vcc, exec, s[30:31]
; %bb.6224:                             ;   in Loop: Header=BB4_5364 Depth=3
	v_or_b32_sdwa v8, v0, s44 dst_sel:DWORD dst_unused:UNUSED_PAD src0_sel:BYTE_3 src1_sel:DWORD
                                        ; implicit-def: $vgpr0
; %bb.6225:                             ;   in Loop: Header=BB4_5364 Depth=3
	s_andn2_saveexec_b64 s[30:31], vcc
; %bb.6226:                             ;   in Loop: Header=BB4_5364 Depth=3
	v_cmp_lt_i32_e32 vcc, -1, v0
	v_bfrev_b32_e32 v0, 0.5
	v_mov_b32_e32 v1, 0x7c
	v_cndmask_b32_e32 v8, v0, v1, vcc
; %bb.6227:                             ;   in Loop: Header=BB4_5364 Depth=3
	s_or_b64 exec, exec, s[30:31]
.LBB4_6228:                             ;   in Loop: Header=BB4_5364 Depth=3
	s_or_b64 exec, exec, s[28:29]
	v_cmp_ne_u16_sdwa vcc, v14, v61 src0_sel:BYTE_0 src1_sel:DWORD
	v_mov_b32_e32 v0, 0
	v_mov_b32_e32 v1, 0
	s_and_saveexec_b64 s[28:29], vcc
	s_cbranch_execz .LBB4_6236
; %bb.6229:                             ;   in Loop: Header=BB4_5364 Depth=3
	v_cmp_ne_u16_sdwa vcc, sext(v14), s70 src0_sel:BYTE_0 src1_sel:DWORD
	v_bfrev_b32_e32 v1, 1
	s_and_saveexec_b64 s[30:31], vcc
	s_cbranch_execz .LBB4_6235
; %bb.6230:                             ;   in Loop: Header=BB4_5364 Depth=3
	v_and_b32_e32 v1, 0x7c, v14
	v_and_b32_e32 v2, 3, v14
	v_cmp_ne_u32_e32 vcc, s71, v1
                                        ; implicit-def: $vgpr1
	s_and_saveexec_b64 s[34:35], vcc
	s_xor_b64 s[34:35], exec, s[34:35]
	s_cbranch_execz .LBB4_6232
; %bb.6231:                             ;   in Loop: Header=BB4_5364 Depth=3
	v_ffbh_u32_e32 v9, v2
	v_min_u32_e32 v9, 32, v9
	v_bfe_u32 v1, v14, 2, 5
	v_subrev_u32_e32 v12, 29, v9
	v_lshlrev_b64 v[12:13], v12, v[14:15]
	v_sub_u32_e32 v9, 30, v9
	v_cmp_eq_u32_e32 vcc, 0, v1
	v_cndmask_b32_e32 v1, v1, v9, vcc
	v_lshlrev_b32_e32 v9, 24, v14
	v_and_b32_e32 v12, 3, v12
	v_and_b32_e32 v9, 0x80000000, v9
	v_cndmask_b32_e32 v2, v2, v12, vcc
	v_lshl_add_u32 v1, v1, 23, v9
	v_lshl_or_b32 v1, v2, 21, v1
	v_add_u32_e32 v1, 0x38000000, v1
                                        ; implicit-def: $vgpr2
.LBB4_6232:                             ;   in Loop: Header=BB4_5364 Depth=3
	s_andn2_saveexec_b64 s[34:35], s[34:35]
; %bb.6233:                             ;   in Loop: Header=BB4_5364 Depth=3
	v_mov_b32_e32 v1, -1
	v_cmp_gt_i16_sdwa vcc, sext(v14), v1 src0_sel:BYTE_0 src1_sel:DWORD
	v_mov_b32_e32 v1, 0xff800000
	v_cndmask_b32_e32 v1, v1, v47, vcc
	v_cmp_eq_u32_e32 vcc, 0, v2
	v_mov_b32_e32 v2, 0x7f800001
	v_cndmask_b32_e32 v1, v2, v1, vcc
; %bb.6234:                             ;   in Loop: Header=BB4_5364 Depth=3
	s_or_b64 exec, exec, s[34:35]
.LBB4_6235:                             ;   in Loop: Header=BB4_5364 Depth=3
	s_or_b64 exec, exec, s[30:31]
.LBB4_6236:                             ;   in Loop: Header=BB4_5364 Depth=3
	s_or_b64 exec, exec, s[28:29]
	v_cmp_ne_u16_sdwa vcc, v10, v61 src0_sel:BYTE_0 src1_sel:DWORD
	s_and_saveexec_b64 s[28:29], vcc
	s_cbranch_execz .LBB4_6244
; %bb.6237:                             ;   in Loop: Header=BB4_5364 Depth=3
	v_cmp_ne_u16_sdwa vcc, sext(v10), s70 src0_sel:BYTE_0 src1_sel:DWORD
	v_bfrev_b32_e32 v0, 1
	s_and_saveexec_b64 s[30:31], vcc
	s_cbranch_execz .LBB4_6243
; %bb.6238:                             ;   in Loop: Header=BB4_5364 Depth=3
	v_and_b32_e32 v0, 0x7c, v10
	v_and_b32_e32 v2, 3, v10
	v_cmp_ne_u32_e32 vcc, s71, v0
                                        ; implicit-def: $vgpr0
	s_and_saveexec_b64 s[34:35], vcc
	s_xor_b64 s[34:35], exec, s[34:35]
	s_cbranch_execz .LBB4_6240
; %bb.6239:                             ;   in Loop: Header=BB4_5364 Depth=3
	v_ffbh_u32_e32 v9, v2
	v_min_u32_e32 v9, 32, v9
	v_bfe_u32 v0, v10, 2, 5
	v_subrev_u32_e32 v12, 29, v9
	v_lshlrev_b64 v[12:13], v12, v[10:11]
	v_sub_u32_e32 v9, 30, v9
	v_cmp_eq_u32_e32 vcc, 0, v0
	v_cndmask_b32_e32 v0, v0, v9, vcc
	v_lshlrev_b32_e32 v9, 24, v10
	v_and_b32_e32 v12, 3, v12
	v_and_b32_e32 v9, 0x80000000, v9
	v_cndmask_b32_e32 v2, v2, v12, vcc
	v_lshl_add_u32 v0, v0, 23, v9
	v_lshl_or_b32 v0, v2, 21, v0
	v_add_u32_e32 v0, 0x38000000, v0
                                        ; implicit-def: $vgpr2
.LBB4_6240:                             ;   in Loop: Header=BB4_5364 Depth=3
	s_andn2_saveexec_b64 s[34:35], s[34:35]
; %bb.6241:                             ;   in Loop: Header=BB4_5364 Depth=3
	v_mov_b32_e32 v0, -1
	v_cmp_gt_i16_sdwa vcc, sext(v10), v0 src0_sel:BYTE_0 src1_sel:DWORD
	v_mov_b32_e32 v0, 0xff800000
	v_cndmask_b32_e32 v0, v0, v47, vcc
	v_cmp_eq_u32_e32 vcc, 0, v2
	v_mov_b32_e32 v2, 0x7f800001
	v_cndmask_b32_e32 v0, v2, v0, vcc
; %bb.6242:                             ;   in Loop: Header=BB4_5364 Depth=3
	s_or_b64 exec, exec, s[34:35]
.LBB4_6243:                             ;   in Loop: Header=BB4_5364 Depth=3
	s_or_b64 exec, exec, s[30:31]
.LBB4_6244:                             ;   in Loop: Header=BB4_5364 Depth=3
	s_or_b64 exec, exec, s[28:29]
	v_mul_f32_e32 v0, v1, v0
	v_and_b32_e32 v1, 0x7f800000, v0
	v_mov_b32_e32 v2, v61
	v_cmp_ne_u64_e32 vcc, s[62:63], v[1:2]
	v_and_b32_e32 v60, 0x7fffff, v0
                                        ; implicit-def: $vgpr9
	s_and_saveexec_b64 s[28:29], vcc
	s_xor_b64 s[30:31], exec, s[28:29]
	s_cbranch_execz .LBB4_6258
; %bb.6245:                             ;   in Loop: Header=BB4_5364 Depth=3
	v_and_b32_e32 v1, 0x7fffffff, v0
	v_mov_b32_e32 v2, v61
	v_cmp_gt_u64_e32 vcc, s[78:79], v[1:2]
	v_and_b32_sdwa v12, v0, s81 dst_sel:DWORD dst_unused:UNUSED_PAD src0_sel:BYTE_3 src1_sel:DWORD
                                        ; implicit-def: $vgpr9
	s_and_saveexec_b64 s[28:29], vcc
	s_xor_b64 s[34:35], exec, s[28:29]
	s_cbranch_execz .LBB4_6255
; %bb.6246:                             ;   in Loop: Header=BB4_5364 Depth=3
	v_mov_b32_e32 v9, 0
	v_cmp_ne_u32_e32 vcc, 0, v0
	s_and_saveexec_b64 s[36:37], vcc
	s_cbranch_execz .LBB4_6254
; %bb.6247:                             ;   in Loop: Header=BB4_5364 Depth=3
	v_bfe_u32 v9, v0, 23, 8
	v_cmp_gt_u32_e64 s[28:29], s47, v9
	v_sub_u32_e32 v0, 0x71, v9
	v_cmp_eq_u32_e32 vcc, 0, v9
	v_cndmask_b32_e64 v0, 0, v0, s[28:29]
	v_mov_b32_e32 v2, 0x70
	v_cndmask_b32_e32 v13, v0, v2, vcc
	v_add_u32_e32 v2, 21, v13
	v_or_b32_e32 v1, 0x800000, v60
	v_lshlrev_b64 v[54:55], v2, -1
	v_cndmask_b32_e32 v0, v1, v60, vcc
	v_mov_b32_e32 v1, v61
	v_add_u32_e32 v2, 20, v13
	v_bfi_b32 v54, v54, 0, v0
	v_lshlrev_b64 v[42:43], v2, 1
	v_lshrrev_b64 v[0:1], v13, v[0:1]
	v_bfi_b32 v55, v55, 0, 0
	v_cmp_eq_u64_e64 s[28:29], v[54:55], v[42:43]
	v_mov_b32_e32 v2, v1
	v_mov_b32_e32 v1, v0
	s_and_saveexec_b64 s[38:39], s[28:29]
; %bb.6248:                             ;   in Loop: Header=BB4_5364 Depth=3
	v_bfe_u32 v1, v0, 21, 1
	v_add_co_u32_e64 v1, s[28:29], v0, v1
	v_add_co_u32_e64 v1, s[28:29], -1, v1
; %bb.6249:                             ;   in Loop: Header=BB4_5364 Depth=3
	s_or_b64 exec, exec, s[38:39]
	v_add_u32_e32 v2, 0xffffff81, v9
	v_mov_b32_e32 v9, 0xffffff82
	v_cndmask_b32_e32 v2, v2, v9, vcc
	v_lshrrev_b32_e32 v9, 23, v0
	v_add3_u32 v13, v13, v2, v9
	v_add_u32_e32 v9, 14, v13
	v_and_b32_e32 v1, 0x1fffff, v1
	v_add_u32_e32 v60, v1, v0
	v_cmp_ne_u32_e32 vcc, 0, v9
                                        ; implicit-def: $vgpr0_vgpr1
                                        ; implicit-def: $vgpr2
	s_and_saveexec_b64 s[28:29], vcc
	s_xor_b64 s[28:29], exec, s[28:29]
; %bb.6250:                             ;   in Loop: Header=BB4_5364 Depth=3
	v_cmp_lt_u64_e32 vcc, s[88:89], v[60:61]
	v_add_u32_e32 v0, 15, v13
	v_cndmask_b32_e32 v2, v9, v0, vcc
	v_cndmask_b32_e64 v0, 0, 1, vcc
	v_lshrrev_b64 v[0:1], v0, v[60:61]
; %bb.6251:                             ;   in Loop: Header=BB4_5364 Depth=3
	s_andn2_saveexec_b64 s[28:29], s[28:29]
; %bb.6252:                             ;   in Loop: Header=BB4_5364 Depth=3
	v_mov_b32_e32 v0, v60
	v_mov_b32_e32 v1, v61
	v_bfe_u32 v2, v60, 23, 1
; %bb.6253:                             ;   in Loop: Header=BB4_5364 Depth=3
	s_or_b64 exec, exec, s[28:29]
	v_lshrrev_b64 v[0:1], 21, v[0:1]
	v_cmp_gt_i32_e32 vcc, 32, v2
	v_cndmask_b32_e32 v1, 0, v1, vcc
	v_cndmask_b32_e32 v0, 3, v0, vcc
	v_cmp_eq_u64_e64 s[28:29], 0, v[0:1]
	v_min_i32_e32 v1, 31, v2
	v_lshlrev_b32_e32 v1, 2, v1
	v_cmp_eq_u32_e32 vcc, 0, v2
	v_and_b32_e32 v1, 0xfc, v1
	v_and_or_b32 v0, v0, 3, v1
	s_and_b64 s[28:29], vcc, s[28:29]
	v_cndmask_b32_e64 v0, v0, 0, s[28:29]
	v_or_b32_e32 v9, v0, v12
.LBB4_6254:                             ;   in Loop: Header=BB4_5364 Depth=3
	s_or_b64 exec, exec, s[36:37]
                                        ; implicit-def: $vgpr12
.LBB4_6255:                             ;   in Loop: Header=BB4_5364 Depth=3
	s_andn2_saveexec_b64 s[28:29], s[34:35]
; %bb.6256:                             ;   in Loop: Header=BB4_5364 Depth=3
	v_or_b32_e32 v9, 0x7b, v12
; %bb.6257:                             ;   in Loop: Header=BB4_5364 Depth=3
	s_or_b64 exec, exec, s[28:29]
                                        ; implicit-def: $vgpr0
.LBB4_6258:                             ;   in Loop: Header=BB4_5364 Depth=3
	s_andn2_saveexec_b64 s[28:29], s[30:31]
	s_cbranch_execz .LBB4_6264
; %bb.6259:                             ;   in Loop: Header=BB4_5364 Depth=3
	v_cmp_ne_u64_e32 vcc, 0, v[60:61]
                                        ; implicit-def: $vgpr9
	s_and_saveexec_b64 s[30:31], vcc
	s_xor_b64 vcc, exec, s[30:31]
; %bb.6260:                             ;   in Loop: Header=BB4_5364 Depth=3
	v_or_b32_sdwa v9, v0, s44 dst_sel:DWORD dst_unused:UNUSED_PAD src0_sel:BYTE_3 src1_sel:DWORD
                                        ; implicit-def: $vgpr0
; %bb.6261:                             ;   in Loop: Header=BB4_5364 Depth=3
	s_andn2_saveexec_b64 s[30:31], vcc
; %bb.6262:                             ;   in Loop: Header=BB4_5364 Depth=3
	v_cmp_lt_i32_e32 vcc, -1, v0
	v_bfrev_b32_e32 v0, 0.5
	v_mov_b32_e32 v1, 0x7c
	v_cndmask_b32_e32 v9, v0, v1, vcc
; %bb.6263:                             ;   in Loop: Header=BB4_5364 Depth=3
	s_or_b64 exec, exec, s[30:31]
.LBB4_6264:                             ;   in Loop: Header=BB4_5364 Depth=3
	s_or_b64 exec, exec, s[28:29]
	v_lshrrev_b16_e32 v0, 8, v14
	v_cmp_ne_u16_e32 vcc, 0, v0
	v_mov_b32_e32 v2, 0
	v_mov_b32_e32 v12, 0
	s_and_saveexec_b64 s[28:29], vcc
	s_cbranch_execz .LBB4_6272
; %bb.6265:                             ;   in Loop: Header=BB4_5364 Depth=3
	v_cmp_ne_u16_e32 vcc, s81, v0
	v_bfrev_b32_e32 v12, 1
	s_and_saveexec_b64 s[30:31], vcc
	s_cbranch_execz .LBB4_6271
; %bb.6266:                             ;   in Loop: Header=BB4_5364 Depth=3
	v_and_b32_e32 v1, 0x7c, v0
	v_and_b32_e32 v13, 3, v0
	v_cmp_ne_u32_e32 vcc, s71, v1
                                        ; implicit-def: $vgpr12
	s_and_saveexec_b64 s[34:35], vcc
	s_xor_b64 s[34:35], exec, s[34:35]
	s_cbranch_execz .LBB4_6268
; %bb.6267:                             ;   in Loop: Header=BB4_5364 Depth=3
	v_ffbh_u32_e32 v54, v13
	v_min_u32_e32 v54, 32, v54
	v_mov_b32_e32 v1, v61
	v_subrev_u32_e32 v55, 29, v54
	v_bfe_u32 v12, v0, 2, 5
	v_lshlrev_b64 v[0:1], v55, v[0:1]
	v_sub_u32_e32 v1, 30, v54
	v_cmp_eq_u32_e32 vcc, 0, v12
	v_cndmask_b32_e32 v1, v12, v1, vcc
	v_lshlrev_b32_e32 v12, 16, v14
	v_and_b32_e32 v0, 3, v0
	v_and_b32_e32 v12, 0x80000000, v12
	v_cndmask_b32_e32 v0, v13, v0, vcc
	v_lshl_add_u32 v1, v1, 23, v12
	v_lshl_or_b32 v0, v0, 21, v1
	v_add_u32_e32 v12, 0x38000000, v0
                                        ; implicit-def: $vgpr13
.LBB4_6268:                             ;   in Loop: Header=BB4_5364 Depth=3
	s_andn2_saveexec_b64 s[34:35], s[34:35]
; %bb.6269:                             ;   in Loop: Header=BB4_5364 Depth=3
	v_cmp_lt_i16_e32 vcc, -1, v14
	v_mov_b32_e32 v0, 0xff800000
	v_cndmask_b32_e32 v0, v0, v47, vcc
	v_cmp_eq_u32_e32 vcc, 0, v13
	v_mov_b32_e32 v1, 0x7f800001
	v_cndmask_b32_e32 v12, v1, v0, vcc
; %bb.6270:                             ;   in Loop: Header=BB4_5364 Depth=3
	s_or_b64 exec, exec, s[34:35]
.LBB4_6271:                             ;   in Loop: Header=BB4_5364 Depth=3
	s_or_b64 exec, exec, s[30:31]
.LBB4_6272:                             ;   in Loop: Header=BB4_5364 Depth=3
	s_or_b64 exec, exec, s[28:29]
	v_lshrrev_b16_e32 v0, 8, v10
	v_cmp_ne_u16_e32 vcc, 0, v0
	s_and_saveexec_b64 s[28:29], vcc
	s_cbranch_execz .LBB4_6280
; %bb.6273:                             ;   in Loop: Header=BB4_5364 Depth=3
	v_cmp_ne_u16_e32 vcc, s81, v0
	v_bfrev_b32_e32 v2, 1
	s_and_saveexec_b64 s[30:31], vcc
	s_cbranch_execz .LBB4_6279
; %bb.6274:                             ;   in Loop: Header=BB4_5364 Depth=3
	v_and_b32_e32 v1, 0x7c, v0
	v_and_b32_e32 v13, 3, v0
	v_cmp_ne_u32_e32 vcc, s71, v1
                                        ; implicit-def: $vgpr2
	s_and_saveexec_b64 s[34:35], vcc
	s_xor_b64 s[34:35], exec, s[34:35]
	s_cbranch_execz .LBB4_6276
; %bb.6275:                             ;   in Loop: Header=BB4_5364 Depth=3
	v_ffbh_u32_e32 v54, v13
	v_min_u32_e32 v54, 32, v54
	v_mov_b32_e32 v1, v61
	v_subrev_u32_e32 v55, 29, v54
	v_bfe_u32 v2, v0, 2, 5
	v_lshlrev_b64 v[0:1], v55, v[0:1]
	v_sub_u32_e32 v1, 30, v54
	v_cmp_eq_u32_e32 vcc, 0, v2
	v_cndmask_b32_e32 v1, v2, v1, vcc
	v_lshlrev_b32_e32 v2, 16, v10
	v_and_b32_e32 v0, 3, v0
	v_and_b32_e32 v2, 0x80000000, v2
	v_cndmask_b32_e32 v0, v13, v0, vcc
	v_lshl_add_u32 v1, v1, 23, v2
	v_lshl_or_b32 v0, v0, 21, v1
	v_add_u32_e32 v2, 0x38000000, v0
                                        ; implicit-def: $vgpr13
.LBB4_6276:                             ;   in Loop: Header=BB4_5364 Depth=3
	s_andn2_saveexec_b64 s[34:35], s[34:35]
; %bb.6277:                             ;   in Loop: Header=BB4_5364 Depth=3
	v_cmp_lt_i16_e32 vcc, -1, v10
	v_mov_b32_e32 v0, 0xff800000
	v_cndmask_b32_e32 v0, v0, v47, vcc
	v_cmp_eq_u32_e32 vcc, 0, v13
	v_mov_b32_e32 v1, 0x7f800001
	v_cndmask_b32_e32 v2, v1, v0, vcc
; %bb.6278:                             ;   in Loop: Header=BB4_5364 Depth=3
	s_or_b64 exec, exec, s[34:35]
.LBB4_6279:                             ;   in Loop: Header=BB4_5364 Depth=3
	s_or_b64 exec, exec, s[30:31]
.LBB4_6280:                             ;   in Loop: Header=BB4_5364 Depth=3
	s_or_b64 exec, exec, s[28:29]
	v_mul_f32_e32 v0, v12, v2
	v_and_b32_e32 v1, 0x7f800000, v0
	v_mov_b32_e32 v2, v61
	v_cmp_ne_u64_e32 vcc, s[62:63], v[1:2]
	v_and_b32_e32 v60, 0x7fffff, v0
                                        ; implicit-def: $vgpr12
	s_and_saveexec_b64 s[28:29], vcc
	s_xor_b64 s[30:31], exec, s[28:29]
	s_cbranch_execz .LBB4_6294
; %bb.6281:                             ;   in Loop: Header=BB4_5364 Depth=3
	v_and_b32_e32 v1, 0x7fffffff, v0
	v_mov_b32_e32 v2, v61
	v_cmp_gt_u64_e32 vcc, s[78:79], v[1:2]
	v_and_b32_sdwa v13, v0, s81 dst_sel:DWORD dst_unused:UNUSED_PAD src0_sel:BYTE_3 src1_sel:DWORD
                                        ; implicit-def: $vgpr12
	s_and_saveexec_b64 s[28:29], vcc
	s_xor_b64 s[34:35], exec, s[28:29]
	s_cbranch_execz .LBB4_6291
; %bb.6282:                             ;   in Loop: Header=BB4_5364 Depth=3
	v_mov_b32_e32 v12, 0
	v_cmp_ne_u32_e32 vcc, 0, v0
	s_and_saveexec_b64 s[36:37], vcc
	s_cbranch_execz .LBB4_6290
; %bb.6283:                             ;   in Loop: Header=BB4_5364 Depth=3
	v_bfe_u32 v12, v0, 23, 8
	v_cmp_gt_u32_e64 s[28:29], s47, v12
	v_sub_u32_e32 v0, 0x71, v12
	v_cmp_eq_u32_e32 vcc, 0, v12
	v_cndmask_b32_e64 v0, 0, v0, s[28:29]
	v_mov_b32_e32 v2, 0x70
	v_cndmask_b32_e32 v54, v0, v2, vcc
	v_add_u32_e32 v2, 21, v54
	v_or_b32_e32 v1, 0x800000, v60
	v_lshlrev_b64 v[42:43], v2, -1
	v_cndmask_b32_e32 v0, v1, v60, vcc
	v_mov_b32_e32 v1, v61
	v_add_u32_e32 v2, 20, v54
	v_bfi_b32 v42, v42, 0, v0
	v_lshlrev_b64 v[55:56], v2, 1
	v_lshrrev_b64 v[0:1], v54, v[0:1]
	v_bfi_b32 v43, v43, 0, 0
	v_cmp_eq_u64_e64 s[28:29], v[42:43], v[55:56]
	v_mov_b32_e32 v2, v1
	v_mov_b32_e32 v1, v0
	s_and_saveexec_b64 s[38:39], s[28:29]
; %bb.6284:                             ;   in Loop: Header=BB4_5364 Depth=3
	v_bfe_u32 v1, v0, 21, 1
	v_add_co_u32_e64 v1, s[28:29], v0, v1
	v_add_co_u32_e64 v1, s[28:29], -1, v1
; %bb.6285:                             ;   in Loop: Header=BB4_5364 Depth=3
	s_or_b64 exec, exec, s[38:39]
	v_add_u32_e32 v2, 0xffffff81, v12
	v_mov_b32_e32 v12, 0xffffff82
	v_cndmask_b32_e32 v2, v2, v12, vcc
	v_lshrrev_b32_e32 v12, 23, v0
	v_add3_u32 v54, v54, v2, v12
	v_add_u32_e32 v12, 14, v54
	v_and_b32_e32 v1, 0x1fffff, v1
	v_add_u32_e32 v60, v1, v0
	v_cmp_ne_u32_e32 vcc, 0, v12
                                        ; implicit-def: $vgpr0_vgpr1
                                        ; implicit-def: $vgpr2
	s_and_saveexec_b64 s[28:29], vcc
	s_xor_b64 s[28:29], exec, s[28:29]
; %bb.6286:                             ;   in Loop: Header=BB4_5364 Depth=3
	v_cmp_lt_u64_e32 vcc, s[88:89], v[60:61]
	v_add_u32_e32 v0, 15, v54
	v_cndmask_b32_e32 v2, v12, v0, vcc
	v_cndmask_b32_e64 v0, 0, 1, vcc
	v_lshrrev_b64 v[0:1], v0, v[60:61]
; %bb.6287:                             ;   in Loop: Header=BB4_5364 Depth=3
	s_andn2_saveexec_b64 s[28:29], s[28:29]
; %bb.6288:                             ;   in Loop: Header=BB4_5364 Depth=3
	v_mov_b32_e32 v0, v60
	v_mov_b32_e32 v1, v61
	v_bfe_u32 v2, v60, 23, 1
; %bb.6289:                             ;   in Loop: Header=BB4_5364 Depth=3
	s_or_b64 exec, exec, s[28:29]
	v_lshrrev_b64 v[0:1], 21, v[0:1]
	v_cmp_gt_i32_e32 vcc, 32, v2
	v_cndmask_b32_e32 v1, 0, v1, vcc
	v_cndmask_b32_e32 v0, 3, v0, vcc
	v_cmp_eq_u64_e64 s[28:29], 0, v[0:1]
	v_min_i32_e32 v1, 31, v2
	v_lshlrev_b32_e32 v1, 2, v1
	v_cmp_eq_u32_e32 vcc, 0, v2
	v_and_b32_e32 v1, 0xfc, v1
	v_and_or_b32 v0, v0, 3, v1
	s_and_b64 s[28:29], vcc, s[28:29]
	v_cndmask_b32_e64 v0, v0, 0, s[28:29]
	v_or_b32_e32 v12, v0, v13
.LBB4_6290:                             ;   in Loop: Header=BB4_5364 Depth=3
	s_or_b64 exec, exec, s[36:37]
                                        ; implicit-def: $vgpr13
.LBB4_6291:                             ;   in Loop: Header=BB4_5364 Depth=3
	s_andn2_saveexec_b64 s[28:29], s[34:35]
; %bb.6292:                             ;   in Loop: Header=BB4_5364 Depth=3
	v_or_b32_e32 v12, 0x7b, v13
; %bb.6293:                             ;   in Loop: Header=BB4_5364 Depth=3
	s_or_b64 exec, exec, s[28:29]
                                        ; implicit-def: $vgpr0
.LBB4_6294:                             ;   in Loop: Header=BB4_5364 Depth=3
	s_andn2_saveexec_b64 s[28:29], s[30:31]
	s_cbranch_execz .LBB4_6300
; %bb.6295:                             ;   in Loop: Header=BB4_5364 Depth=3
	v_cmp_ne_u64_e32 vcc, 0, v[60:61]
                                        ; implicit-def: $vgpr12
	s_and_saveexec_b64 s[30:31], vcc
	s_xor_b64 vcc, exec, s[30:31]
; %bb.6296:                             ;   in Loop: Header=BB4_5364 Depth=3
	v_or_b32_sdwa v12, v0, s44 dst_sel:DWORD dst_unused:UNUSED_PAD src0_sel:BYTE_3 src1_sel:DWORD
                                        ; implicit-def: $vgpr0
; %bb.6297:                             ;   in Loop: Header=BB4_5364 Depth=3
	s_andn2_saveexec_b64 s[30:31], vcc
; %bb.6298:                             ;   in Loop: Header=BB4_5364 Depth=3
	v_cmp_lt_i32_e32 vcc, -1, v0
	v_bfrev_b32_e32 v0, 0.5
	v_mov_b32_e32 v1, 0x7c
	v_cndmask_b32_e32 v12, v0, v1, vcc
; %bb.6299:                             ;   in Loop: Header=BB4_5364 Depth=3
	s_or_b64 exec, exec, s[30:31]
.LBB4_6300:                             ;   in Loop: Header=BB4_5364 Depth=3
	s_or_b64 exec, exec, s[28:29]
	v_lshrrev_b32_e32 v0, 16, v14
	v_cmp_ne_u16_sdwa vcc, v0, v61 src0_sel:BYTE_0 src1_sel:DWORD
	v_mov_b32_e32 v1, 0
	v_mov_b32_e32 v2, 0
	s_and_saveexec_b64 s[28:29], vcc
	s_cbranch_execz .LBB4_6308
; %bb.6301:                             ;   in Loop: Header=BB4_5364 Depth=3
	v_cmp_ne_u16_sdwa vcc, v0, s81 src0_sel:BYTE_0 src1_sel:DWORD
	v_bfrev_b32_e32 v2, 1
	s_and_saveexec_b64 s[30:31], vcc
	s_cbranch_execz .LBB4_6307
; %bb.6302:                             ;   in Loop: Header=BB4_5364 Depth=3
	v_and_b32_e32 v2, 0x7c0000, v14
	v_bfe_u32 v13, v14, 16, 2
	v_cmp_ne_u32_e32 vcc, s45, v2
                                        ; implicit-def: $vgpr2
	s_and_saveexec_b64 s[34:35], vcc
	s_xor_b64 s[34:35], exec, s[34:35]
	s_cbranch_execz .LBB4_6304
; %bb.6303:                             ;   in Loop: Header=BB4_5364 Depth=3
	v_ffbh_u32_e32 v54, v13
	v_min_u32_e32 v42, 32, v54
	v_subrev_u32_e32 v54, 29, v42
	v_lshlrev_b64 v[54:55], v54, v[0:1]
	v_bfe_u32 v2, v14, 18, 5
	v_sub_u32_e32 v0, 30, v42
	v_and_b32_e32 v54, 3, v54
	v_cmp_eq_u32_e32 vcc, 0, v2
	v_cndmask_b32_e32 v0, v2, v0, vcc
	v_cndmask_b32_e32 v2, v13, v54, vcc
	v_lshlrev_b32_e32 v13, 8, v14
	v_and_b32_e32 v13, 0x80000000, v13
	v_lshl_add_u32 v0, v0, 23, v13
	v_lshl_or_b32 v0, v2, 21, v0
	v_add_u32_e32 v2, 0x38000000, v0
                                        ; implicit-def: $vgpr13
                                        ; implicit-def: $vgpr0
.LBB4_6304:                             ;   in Loop: Header=BB4_5364 Depth=3
	s_andn2_saveexec_b64 s[34:35], s[34:35]
; %bb.6305:                             ;   in Loop: Header=BB4_5364 Depth=3
	v_mov_b32_e32 v2, -1
	v_cmp_gt_i16_sdwa vcc, sext(v0), v2 src0_sel:BYTE_0 src1_sel:DWORD
	v_mov_b32_e32 v0, 0xff800000
	v_cndmask_b32_e32 v0, v0, v47, vcc
	v_cmp_eq_u32_e32 vcc, 0, v13
	v_mov_b32_e32 v2, 0x7f800001
	v_cndmask_b32_e32 v2, v2, v0, vcc
; %bb.6306:                             ;   in Loop: Header=BB4_5364 Depth=3
	s_or_b64 exec, exec, s[34:35]
.LBB4_6307:                             ;   in Loop: Header=BB4_5364 Depth=3
	s_or_b64 exec, exec, s[30:31]
.LBB4_6308:                             ;   in Loop: Header=BB4_5364 Depth=3
	s_or_b64 exec, exec, s[28:29]
	v_lshrrev_b32_e32 v0, 16, v10
	v_cmp_ne_u16_sdwa vcc, v0, v61 src0_sel:BYTE_0 src1_sel:DWORD
	s_and_saveexec_b64 s[28:29], vcc
	s_cbranch_execz .LBB4_6316
; %bb.6309:                             ;   in Loop: Header=BB4_5364 Depth=3
	v_cmp_ne_u16_sdwa vcc, v0, s81 src0_sel:BYTE_0 src1_sel:DWORD
	v_bfrev_b32_e32 v1, 1
	s_and_saveexec_b64 s[30:31], vcc
	s_cbranch_execz .LBB4_6315
; %bb.6310:                             ;   in Loop: Header=BB4_5364 Depth=3
	v_and_b32_e32 v1, 0x7c0000, v10
	v_bfe_u32 v13, v10, 16, 2
	v_cmp_ne_u32_e32 vcc, s45, v1
                                        ; implicit-def: $vgpr1
	s_and_saveexec_b64 s[34:35], vcc
	s_xor_b64 s[34:35], exec, s[34:35]
	s_cbranch_execz .LBB4_6312
; %bb.6311:                             ;   in Loop: Header=BB4_5364 Depth=3
	v_ffbh_u32_e32 v1, v13
	v_min_u32_e32 v55, 32, v1
	v_subrev_u32_e32 v1, 29, v55
	v_lshlrev_b64 v[0:1], v1, v[0:1]
	v_bfe_u32 v54, v10, 18, 5
	v_and_b32_e32 v0, 3, v0
	v_cmp_eq_u32_e32 vcc, 0, v54
	v_sub_u32_e32 v1, 30, v55
	v_cndmask_b32_e32 v0, v13, v0, vcc
	v_lshlrev_b32_e32 v13, 8, v10
	v_cndmask_b32_e32 v1, v54, v1, vcc
	v_and_b32_e32 v13, 0x80000000, v13
	v_lshl_add_u32 v1, v1, 23, v13
	v_lshl_or_b32 v0, v0, 21, v1
	v_add_u32_e32 v1, 0x38000000, v0
                                        ; implicit-def: $vgpr13
                                        ; implicit-def: $vgpr0
.LBB4_6312:                             ;   in Loop: Header=BB4_5364 Depth=3
	s_andn2_saveexec_b64 s[34:35], s[34:35]
; %bb.6313:                             ;   in Loop: Header=BB4_5364 Depth=3
	v_mov_b32_e32 v1, -1
	v_cmp_gt_i16_sdwa vcc, sext(v0), v1 src0_sel:BYTE_0 src1_sel:DWORD
	v_mov_b32_e32 v0, 0xff800000
	v_cndmask_b32_e32 v0, v0, v47, vcc
	v_cmp_eq_u32_e32 vcc, 0, v13
	v_mov_b32_e32 v1, 0x7f800001
	v_cndmask_b32_e32 v1, v1, v0, vcc
; %bb.6314:                             ;   in Loop: Header=BB4_5364 Depth=3
	s_or_b64 exec, exec, s[34:35]
.LBB4_6315:                             ;   in Loop: Header=BB4_5364 Depth=3
	s_or_b64 exec, exec, s[30:31]
.LBB4_6316:                             ;   in Loop: Header=BB4_5364 Depth=3
	s_or_b64 exec, exec, s[28:29]
	v_mul_f32_e32 v0, v2, v1
	v_and_b32_e32 v1, 0x7f800000, v0
	v_mov_b32_e32 v2, v61
	v_cmp_ne_u64_e32 vcc, s[62:63], v[1:2]
	v_and_b32_e32 v60, 0x7fffff, v0
                                        ; implicit-def: $vgpr13
	s_and_saveexec_b64 s[28:29], vcc
	s_xor_b64 s[30:31], exec, s[28:29]
	s_cbranch_execz .LBB4_6330
; %bb.6317:                             ;   in Loop: Header=BB4_5364 Depth=3
	v_and_b32_e32 v1, 0x7fffffff, v0
	v_mov_b32_e32 v2, v61
	v_cmp_gt_u64_e32 vcc, s[78:79], v[1:2]
	v_and_b32_sdwa v54, v0, s81 dst_sel:DWORD dst_unused:UNUSED_PAD src0_sel:BYTE_3 src1_sel:DWORD
                                        ; implicit-def: $vgpr13
	s_and_saveexec_b64 s[28:29], vcc
	s_xor_b64 s[34:35], exec, s[28:29]
	s_cbranch_execz .LBB4_6327
; %bb.6318:                             ;   in Loop: Header=BB4_5364 Depth=3
	v_mov_b32_e32 v13, 0
	v_cmp_ne_u32_e32 vcc, 0, v0
	s_and_saveexec_b64 s[36:37], vcc
	s_cbranch_execz .LBB4_6326
; %bb.6319:                             ;   in Loop: Header=BB4_5364 Depth=3
	v_bfe_u32 v13, v0, 23, 8
	v_cmp_gt_u32_e64 s[28:29], s47, v13
	v_sub_u32_e32 v0, 0x71, v13
	v_cmp_eq_u32_e32 vcc, 0, v13
	v_cndmask_b32_e64 v0, 0, v0, s[28:29]
	v_mov_b32_e32 v2, 0x70
	v_cndmask_b32_e32 v55, v0, v2, vcc
	v_add_u32_e32 v2, 21, v55
	v_or_b32_e32 v1, 0x800000, v60
	v_lshlrev_b64 v[42:43], v2, -1
	v_cndmask_b32_e32 v0, v1, v60, vcc
	v_mov_b32_e32 v1, v61
	v_add_u32_e32 v2, 20, v55
	v_bfi_b32 v42, v42, 0, v0
	v_lshlrev_b64 v[56:57], v2, 1
	v_lshrrev_b64 v[0:1], v55, v[0:1]
	v_bfi_b32 v43, v43, 0, 0
	v_cmp_eq_u64_e64 s[28:29], v[42:43], v[56:57]
	v_mov_b32_e32 v2, v1
	v_mov_b32_e32 v1, v0
	s_and_saveexec_b64 s[38:39], s[28:29]
; %bb.6320:                             ;   in Loop: Header=BB4_5364 Depth=3
	v_bfe_u32 v1, v0, 21, 1
	v_add_co_u32_e64 v1, s[28:29], v0, v1
	v_add_co_u32_e64 v1, s[28:29], -1, v1
; %bb.6321:                             ;   in Loop: Header=BB4_5364 Depth=3
	s_or_b64 exec, exec, s[38:39]
	v_add_u32_e32 v2, 0xffffff81, v13
	v_mov_b32_e32 v13, 0xffffff82
	v_cndmask_b32_e32 v2, v2, v13, vcc
	v_lshrrev_b32_e32 v13, 23, v0
	v_add3_u32 v55, v55, v2, v13
	v_add_u32_e32 v13, 14, v55
	v_and_b32_e32 v1, 0x1fffff, v1
	v_add_u32_e32 v60, v1, v0
	v_cmp_ne_u32_e32 vcc, 0, v13
                                        ; implicit-def: $vgpr0_vgpr1
                                        ; implicit-def: $vgpr2
	s_and_saveexec_b64 s[28:29], vcc
	s_xor_b64 s[28:29], exec, s[28:29]
; %bb.6322:                             ;   in Loop: Header=BB4_5364 Depth=3
	v_cmp_lt_u64_e32 vcc, s[88:89], v[60:61]
	v_add_u32_e32 v0, 15, v55
	v_cndmask_b32_e32 v2, v13, v0, vcc
	v_cndmask_b32_e64 v0, 0, 1, vcc
	v_lshrrev_b64 v[0:1], v0, v[60:61]
; %bb.6323:                             ;   in Loop: Header=BB4_5364 Depth=3
	s_andn2_saveexec_b64 s[28:29], s[28:29]
; %bb.6324:                             ;   in Loop: Header=BB4_5364 Depth=3
	v_mov_b32_e32 v0, v60
	v_mov_b32_e32 v1, v61
	v_bfe_u32 v2, v60, 23, 1
; %bb.6325:                             ;   in Loop: Header=BB4_5364 Depth=3
	s_or_b64 exec, exec, s[28:29]
	v_lshrrev_b64 v[0:1], 21, v[0:1]
	v_cmp_gt_i32_e32 vcc, 32, v2
	v_cndmask_b32_e32 v1, 0, v1, vcc
	v_cndmask_b32_e32 v0, 3, v0, vcc
	v_cmp_eq_u64_e64 s[28:29], 0, v[0:1]
	v_min_i32_e32 v1, 31, v2
	v_lshlrev_b32_e32 v1, 2, v1
	v_cmp_eq_u32_e32 vcc, 0, v2
	v_and_b32_e32 v1, 0xfc, v1
	v_and_or_b32 v0, v0, 3, v1
	s_and_b64 s[28:29], vcc, s[28:29]
	v_cndmask_b32_e64 v0, v0, 0, s[28:29]
	v_or_b32_e32 v13, v0, v54
.LBB4_6326:                             ;   in Loop: Header=BB4_5364 Depth=3
	s_or_b64 exec, exec, s[36:37]
                                        ; implicit-def: $vgpr54
.LBB4_6327:                             ;   in Loop: Header=BB4_5364 Depth=3
	s_andn2_saveexec_b64 s[28:29], s[34:35]
; %bb.6328:                             ;   in Loop: Header=BB4_5364 Depth=3
	v_or_b32_e32 v13, 0x7b, v54
; %bb.6329:                             ;   in Loop: Header=BB4_5364 Depth=3
	s_or_b64 exec, exec, s[28:29]
                                        ; implicit-def: $vgpr0
.LBB4_6330:                             ;   in Loop: Header=BB4_5364 Depth=3
	s_andn2_saveexec_b64 s[28:29], s[30:31]
	s_cbranch_execz .LBB4_6336
; %bb.6331:                             ;   in Loop: Header=BB4_5364 Depth=3
	v_cmp_ne_u64_e32 vcc, 0, v[60:61]
                                        ; implicit-def: $vgpr13
	s_and_saveexec_b64 s[30:31], vcc
	s_xor_b64 vcc, exec, s[30:31]
; %bb.6332:                             ;   in Loop: Header=BB4_5364 Depth=3
	v_or_b32_sdwa v13, v0, s44 dst_sel:DWORD dst_unused:UNUSED_PAD src0_sel:BYTE_3 src1_sel:DWORD
                                        ; implicit-def: $vgpr0
; %bb.6333:                             ;   in Loop: Header=BB4_5364 Depth=3
	s_andn2_saveexec_b64 s[30:31], vcc
; %bb.6334:                             ;   in Loop: Header=BB4_5364 Depth=3
	v_cmp_lt_i32_e32 vcc, -1, v0
	v_bfrev_b32_e32 v0, 0.5
	v_mov_b32_e32 v1, 0x7c
	v_cndmask_b32_e32 v13, v0, v1, vcc
; %bb.6335:                             ;   in Loop: Header=BB4_5364 Depth=3
	s_or_b64 exec, exec, s[30:31]
.LBB4_6336:                             ;   in Loop: Header=BB4_5364 Depth=3
	s_or_b64 exec, exec, s[28:29]
	v_cmp_lt_u32_e32 vcc, s57, v14
	v_mov_b32_e32 v1, 0
	v_mov_b32_e32 v2, 0
	s_and_saveexec_b64 s[28:29], vcc
	s_cbranch_execz .LBB4_6344
; %bb.6337:                             ;   in Loop: Header=BB4_5364 Depth=3
	v_lshrrev_b32_e32 v0, 24, v14
	v_cmp_ne_u32_e32 vcc, s81, v0
	v_bfrev_b32_e32 v2, 1
	s_and_saveexec_b64 s[30:31], vcc
	s_cbranch_execz .LBB4_6343
; %bb.6338:                             ;   in Loop: Header=BB4_5364 Depth=3
	v_and_b32_e32 v2, 0x7c000000, v14
	v_bfe_u32 v54, v14, 24, 2
	v_cmp_ne_u32_e32 vcc, s82, v2
                                        ; implicit-def: $vgpr2
	s_and_saveexec_b64 s[34:35], vcc
	s_xor_b64 s[34:35], exec, s[34:35]
	s_cbranch_execz .LBB4_6340
; %bb.6339:                             ;   in Loop: Header=BB4_5364 Depth=3
	v_ffbh_u32_e32 v55, v54
	v_min_u32_e32 v55, 32, v55
	v_subrev_u32_e32 v42, 29, v55
	v_lshlrev_b64 v[42:43], v42, v[0:1]
	v_bfe_u32 v2, v14, 26, 5
	v_sub_u32_e32 v0, 30, v55
	v_and_b32_e32 v55, 3, v42
	v_cmp_eq_u32_e32 vcc, 0, v2
	v_cndmask_b32_e32 v0, v2, v0, vcc
	v_cndmask_b32_e32 v2, v54, v55, vcc
	v_and_b32_e32 v54, 0x80000000, v14
	v_lshl_add_u32 v0, v0, 23, v54
	v_lshl_or_b32 v0, v2, 21, v0
	v_add_u32_e32 v2, 0x38000000, v0
                                        ; implicit-def: $vgpr54
.LBB4_6340:                             ;   in Loop: Header=BB4_5364 Depth=3
	s_andn2_saveexec_b64 s[34:35], s[34:35]
; %bb.6341:                             ;   in Loop: Header=BB4_5364 Depth=3
	v_cmp_lt_i32_e32 vcc, -1, v14
	v_mov_b32_e32 v0, 0xff800000
	v_cndmask_b32_e32 v0, v0, v47, vcc
	v_cmp_eq_u32_e32 vcc, 0, v54
	v_mov_b32_e32 v2, 0x7f800001
	v_cndmask_b32_e32 v2, v2, v0, vcc
; %bb.6342:                             ;   in Loop: Header=BB4_5364 Depth=3
	s_or_b64 exec, exec, s[34:35]
.LBB4_6343:                             ;   in Loop: Header=BB4_5364 Depth=3
	s_or_b64 exec, exec, s[30:31]
.LBB4_6344:                             ;   in Loop: Header=BB4_5364 Depth=3
	s_or_b64 exec, exec, s[28:29]
	v_cmp_lt_u32_e32 vcc, s57, v10
	s_and_saveexec_b64 s[28:29], vcc
	s_cbranch_execz .LBB4_6352
; %bb.6345:                             ;   in Loop: Header=BB4_5364 Depth=3
	v_lshrrev_b32_e32 v0, 24, v10
	v_cmp_ne_u32_e32 vcc, s81, v0
	v_bfrev_b32_e32 v1, 1
	s_and_saveexec_b64 s[30:31], vcc
	s_cbranch_execz .LBB4_6351
; %bb.6346:                             ;   in Loop: Header=BB4_5364 Depth=3
	v_and_b32_e32 v1, 0x7c000000, v10
	v_bfe_u32 v54, v10, 24, 2
	v_cmp_ne_u32_e32 vcc, s82, v1
                                        ; implicit-def: $vgpr1
	s_and_saveexec_b64 s[34:35], vcc
	s_xor_b64 s[34:35], exec, s[34:35]
	s_cbranch_execz .LBB4_6348
; %bb.6347:                             ;   in Loop: Header=BB4_5364 Depth=3
	v_ffbh_u32_e32 v1, v54
	v_min_u32_e32 v42, 32, v1
	v_subrev_u32_e32 v1, 29, v42
	v_lshlrev_b64 v[0:1], v1, v[0:1]
	v_bfe_u32 v55, v10, 26, 5
	v_sub_u32_e32 v1, 30, v42
	v_and_b32_e32 v0, 3, v0
	v_cmp_eq_u32_e32 vcc, 0, v55
	v_cndmask_b32_e32 v1, v55, v1, vcc
	v_cndmask_b32_e32 v0, v54, v0, vcc
	v_and_b32_e32 v54, 0x80000000, v10
	v_lshl_add_u32 v1, v1, 23, v54
	v_lshl_or_b32 v0, v0, 21, v1
	v_add_u32_e32 v1, 0x38000000, v0
                                        ; implicit-def: $vgpr54
.LBB4_6348:                             ;   in Loop: Header=BB4_5364 Depth=3
	s_andn2_saveexec_b64 s[34:35], s[34:35]
; %bb.6349:                             ;   in Loop: Header=BB4_5364 Depth=3
	v_cmp_lt_i32_e32 vcc, -1, v10
	v_mov_b32_e32 v0, 0xff800000
	v_cndmask_b32_e32 v0, v0, v47, vcc
	v_cmp_eq_u32_e32 vcc, 0, v54
	v_mov_b32_e32 v1, 0x7f800001
	v_cndmask_b32_e32 v1, v1, v0, vcc
; %bb.6350:                             ;   in Loop: Header=BB4_5364 Depth=3
	s_or_b64 exec, exec, s[34:35]
.LBB4_6351:                             ;   in Loop: Header=BB4_5364 Depth=3
	s_or_b64 exec, exec, s[30:31]
.LBB4_6352:                             ;   in Loop: Header=BB4_5364 Depth=3
	s_or_b64 exec, exec, s[28:29]
	v_mul_f32_e32 v0, v2, v1
	v_and_b32_e32 v1, 0x7f800000, v0
	v_mov_b32_e32 v2, v61
	v_cmp_ne_u64_e32 vcc, s[62:63], v[1:2]
	v_and_b32_e32 v60, 0x7fffff, v0
                                        ; implicit-def: $vgpr54
	s_and_saveexec_b64 s[28:29], vcc
	s_xor_b64 s[30:31], exec, s[28:29]
	s_cbranch_execz .LBB4_6366
; %bb.6353:                             ;   in Loop: Header=BB4_5364 Depth=3
	v_and_b32_e32 v1, 0x7fffffff, v0
	v_mov_b32_e32 v2, v61
	v_cmp_gt_u64_e32 vcc, s[78:79], v[1:2]
	v_and_b32_sdwa v55, v0, s81 dst_sel:DWORD dst_unused:UNUSED_PAD src0_sel:BYTE_3 src1_sel:DWORD
                                        ; implicit-def: $vgpr54
	s_and_saveexec_b64 s[28:29], vcc
	s_xor_b64 s[34:35], exec, s[28:29]
	s_cbranch_execz .LBB4_6363
; %bb.6354:                             ;   in Loop: Header=BB4_5364 Depth=3
	v_mov_b32_e32 v54, 0
	v_cmp_ne_u32_e32 vcc, 0, v0
	s_and_saveexec_b64 s[36:37], vcc
	s_cbranch_execz .LBB4_6362
; %bb.6355:                             ;   in Loop: Header=BB4_5364 Depth=3
	v_bfe_u32 v54, v0, 23, 8
	v_cmp_gt_u32_e64 s[28:29], s47, v54
	v_sub_u32_e32 v0, 0x71, v54
	v_cmp_eq_u32_e32 vcc, 0, v54
	v_cndmask_b32_e64 v0, 0, v0, s[28:29]
	v_mov_b32_e32 v2, 0x70
	v_cndmask_b32_e32 v42, v0, v2, vcc
	v_add_u32_e32 v2, 21, v42
	v_or_b32_e32 v1, 0x800000, v60
	v_lshlrev_b64 v[43:44], v2, -1
	v_cndmask_b32_e32 v0, v1, v60, vcc
	v_mov_b32_e32 v1, v61
	v_add_u32_e32 v2, 20, v42
	v_bfi_b32 v43, v43, 0, v0
	v_lshlrev_b64 v[56:57], v2, 1
	v_lshrrev_b64 v[0:1], v42, v[0:1]
	v_bfi_b32 v44, v44, 0, 0
	v_cmp_eq_u64_e64 s[28:29], v[43:44], v[56:57]
	v_mov_b32_e32 v2, v1
	v_mov_b32_e32 v1, v0
	s_and_saveexec_b64 s[38:39], s[28:29]
; %bb.6356:                             ;   in Loop: Header=BB4_5364 Depth=3
	v_bfe_u32 v1, v0, 21, 1
	v_add_co_u32_e64 v1, s[28:29], v0, v1
	v_add_co_u32_e64 v1, s[28:29], -1, v1
; %bb.6357:                             ;   in Loop: Header=BB4_5364 Depth=3
	s_or_b64 exec, exec, s[38:39]
	v_add_u32_e32 v2, 0xffffff81, v54
	v_mov_b32_e32 v54, 0xffffff82
	v_cndmask_b32_e32 v2, v2, v54, vcc
	v_lshrrev_b32_e32 v54, 23, v0
	v_add3_u32 v42, v42, v2, v54
	v_add_u32_e32 v54, 14, v42
	v_and_b32_e32 v1, 0x1fffff, v1
	v_add_u32_e32 v60, v1, v0
	v_cmp_ne_u32_e32 vcc, 0, v54
                                        ; implicit-def: $vgpr0_vgpr1
                                        ; implicit-def: $vgpr2
	s_and_saveexec_b64 s[28:29], vcc
	s_xor_b64 s[28:29], exec, s[28:29]
; %bb.6358:                             ;   in Loop: Header=BB4_5364 Depth=3
	v_cmp_lt_u64_e32 vcc, s[88:89], v[60:61]
	v_add_u32_e32 v0, 15, v42
	v_cndmask_b32_e32 v2, v54, v0, vcc
	v_cndmask_b32_e64 v0, 0, 1, vcc
	v_lshrrev_b64 v[0:1], v0, v[60:61]
; %bb.6359:                             ;   in Loop: Header=BB4_5364 Depth=3
	s_andn2_saveexec_b64 s[28:29], s[28:29]
; %bb.6360:                             ;   in Loop: Header=BB4_5364 Depth=3
	v_mov_b32_e32 v0, v60
	v_mov_b32_e32 v1, v61
	v_bfe_u32 v2, v60, 23, 1
; %bb.6361:                             ;   in Loop: Header=BB4_5364 Depth=3
	s_or_b64 exec, exec, s[28:29]
	v_lshrrev_b64 v[0:1], 21, v[0:1]
	v_cmp_gt_i32_e32 vcc, 32, v2
	v_cndmask_b32_e32 v1, 0, v1, vcc
	v_cndmask_b32_e32 v0, 3, v0, vcc
	v_cmp_eq_u64_e64 s[28:29], 0, v[0:1]
	v_min_i32_e32 v1, 31, v2
	v_lshlrev_b32_e32 v1, 2, v1
	v_cmp_eq_u32_e32 vcc, 0, v2
	v_and_b32_e32 v1, 0xfc, v1
	v_and_or_b32 v0, v0, 3, v1
	s_and_b64 s[28:29], vcc, s[28:29]
	v_cndmask_b32_e64 v0, v0, 0, s[28:29]
	v_or_b32_e32 v54, v0, v55
.LBB4_6362:                             ;   in Loop: Header=BB4_5364 Depth=3
	s_or_b64 exec, exec, s[36:37]
                                        ; implicit-def: $vgpr55
.LBB4_6363:                             ;   in Loop: Header=BB4_5364 Depth=3
	s_andn2_saveexec_b64 s[28:29], s[34:35]
; %bb.6364:                             ;   in Loop: Header=BB4_5364 Depth=3
	v_or_b32_e32 v54, 0x7b, v55
; %bb.6365:                             ;   in Loop: Header=BB4_5364 Depth=3
	s_or_b64 exec, exec, s[28:29]
                                        ; implicit-def: $vgpr0
.LBB4_6366:                             ;   in Loop: Header=BB4_5364 Depth=3
	s_andn2_saveexec_b64 s[28:29], s[30:31]
	s_cbranch_execz .LBB4_6372
; %bb.6367:                             ;   in Loop: Header=BB4_5364 Depth=3
	v_cmp_ne_u64_e32 vcc, 0, v[60:61]
                                        ; implicit-def: $vgpr54
	s_and_saveexec_b64 s[30:31], vcc
	s_xor_b64 vcc, exec, s[30:31]
; %bb.6368:                             ;   in Loop: Header=BB4_5364 Depth=3
	v_or_b32_sdwa v54, v0, s44 dst_sel:DWORD dst_unused:UNUSED_PAD src0_sel:BYTE_3 src1_sel:DWORD
                                        ; implicit-def: $vgpr0
; %bb.6369:                             ;   in Loop: Header=BB4_5364 Depth=3
	s_andn2_saveexec_b64 s[30:31], vcc
; %bb.6370:                             ;   in Loop: Header=BB4_5364 Depth=3
	v_cmp_lt_i32_e32 vcc, -1, v0
	v_bfrev_b32_e32 v0, 0.5
	v_mov_b32_e32 v1, 0x7c
	v_cndmask_b32_e32 v54, v0, v1, vcc
; %bb.6371:                             ;   in Loop: Header=BB4_5364 Depth=3
	s_or_b64 exec, exec, s[30:31]
.LBB4_6372:                             ;   in Loop: Header=BB4_5364 Depth=3
	s_or_b64 exec, exec, s[28:29]
	v_mov_b32_e32 v60, v15
	v_cmp_ne_u16_sdwa vcc, v15, v61 src0_sel:BYTE_0 src1_sel:DWORD
	v_mov_b32_e32 v1, 0
	v_mov_b32_e32 v0, 0
	s_and_saveexec_b64 s[28:29], vcc
	s_cbranch_execz .LBB4_6380
; %bb.6373:                             ;   in Loop: Header=BB4_5364 Depth=3
	v_cmp_ne_u16_sdwa vcc, v15, s81 src0_sel:BYTE_0 src1_sel:DWORD
	v_bfrev_b32_e32 v0, 1
	s_and_saveexec_b64 s[30:31], vcc
	s_cbranch_execz .LBB4_6379
; %bb.6374:                             ;   in Loop: Header=BB4_5364 Depth=3
	v_and_b32_e32 v0, 0x7c, v15
	v_and_b32_e32 v2, 3, v15
	v_cmp_ne_u32_e32 vcc, s71, v0
                                        ; implicit-def: $vgpr0
	s_and_saveexec_b64 s[34:35], vcc
	s_xor_b64 s[34:35], exec, s[34:35]
	s_cbranch_execz .LBB4_6376
; %bb.6375:                             ;   in Loop: Header=BB4_5364 Depth=3
	v_ffbh_u32_e32 v55, v2
	v_min_u32_e32 v55, 32, v55
	v_bfe_u32 v0, v15, 2, 5
	v_subrev_u32_e32 v42, 29, v55
	v_lshlrev_b64 v[42:43], v42, v[60:61]
	v_sub_u32_e32 v55, 30, v55
	v_cmp_eq_u32_e32 vcc, 0, v0
	v_cndmask_b32_e32 v0, v0, v55, vcc
	v_lshlrev_b32_e32 v55, 24, v15
	v_and_b32_e32 v42, 3, v42
	v_and_b32_e32 v55, 0x80000000, v55
	v_cndmask_b32_e32 v2, v2, v42, vcc
	v_lshl_add_u32 v0, v0, 23, v55
	v_lshl_or_b32 v0, v2, 21, v0
	v_add_u32_e32 v0, 0x38000000, v0
                                        ; implicit-def: $vgpr2
.LBB4_6376:                             ;   in Loop: Header=BB4_5364 Depth=3
	s_andn2_saveexec_b64 s[34:35], s[34:35]
; %bb.6377:                             ;   in Loop: Header=BB4_5364 Depth=3
	v_mov_b32_e32 v0, -1
	v_cmp_gt_i16_sdwa vcc, sext(v15), v0 src0_sel:BYTE_0 src1_sel:DWORD
	v_mov_b32_e32 v0, 0xff800000
	v_cndmask_b32_e32 v0, v0, v47, vcc
	v_cmp_eq_u32_e32 vcc, 0, v2
	v_mov_b32_e32 v2, 0x7f800001
	v_cndmask_b32_e32 v0, v2, v0, vcc
; %bb.6378:                             ;   in Loop: Header=BB4_5364 Depth=3
	s_or_b64 exec, exec, s[34:35]
.LBB4_6379:                             ;   in Loop: Header=BB4_5364 Depth=3
	s_or_b64 exec, exec, s[30:31]
.LBB4_6380:                             ;   in Loop: Header=BB4_5364 Depth=3
	s_or_b64 exec, exec, s[28:29]
	v_cmp_ne_u16_sdwa vcc, v11, v61 src0_sel:BYTE_0 src1_sel:DWORD
	s_and_saveexec_b64 s[28:29], vcc
	s_cbranch_execz .LBB4_6388
; %bb.6381:                             ;   in Loop: Header=BB4_5364 Depth=3
	v_cmp_ne_u16_sdwa vcc, v11, s81 src0_sel:BYTE_0 src1_sel:DWORD
	v_bfrev_b32_e32 v1, 1
	s_and_saveexec_b64 s[30:31], vcc
	s_cbranch_execz .LBB4_6387
; %bb.6382:                             ;   in Loop: Header=BB4_5364 Depth=3
	v_and_b32_e32 v1, 0x7c, v11
	v_and_b32_e32 v2, 3, v11
	v_cmp_ne_u32_e32 vcc, s71, v1
                                        ; implicit-def: $vgpr1
	s_and_saveexec_b64 s[34:35], vcc
	s_xor_b64 s[34:35], exec, s[34:35]
	s_cbranch_execz .LBB4_6384
; %bb.6383:                             ;   in Loop: Header=BB4_5364 Depth=3
	v_ffbh_u32_e32 v55, v2
	v_min_u32_e32 v55, 32, v55
	v_mov_b32_e32 v42, v11
	v_mov_b32_e32 v43, v61
	v_bfe_u32 v1, v11, 2, 5
	v_subrev_u32_e32 v44, 29, v55
	v_lshlrev_b64 v[42:43], v44, v[42:43]
	v_sub_u32_e32 v55, 30, v55
	v_cmp_eq_u32_e32 vcc, 0, v1
	v_cndmask_b32_e32 v1, v1, v55, vcc
	v_lshlrev_b32_e32 v55, 24, v11
	v_and_b32_e32 v42, 3, v42
	v_and_b32_e32 v55, 0x80000000, v55
	v_cndmask_b32_e32 v2, v2, v42, vcc
	v_lshl_add_u32 v1, v1, 23, v55
	v_lshl_or_b32 v1, v2, 21, v1
	v_add_u32_e32 v1, 0x38000000, v1
                                        ; implicit-def: $vgpr2
.LBB4_6384:                             ;   in Loop: Header=BB4_5364 Depth=3
	s_andn2_saveexec_b64 s[34:35], s[34:35]
; %bb.6385:                             ;   in Loop: Header=BB4_5364 Depth=3
	v_mov_b32_e32 v1, -1
	v_cmp_gt_i16_sdwa vcc, sext(v11), v1 src0_sel:BYTE_0 src1_sel:DWORD
	v_mov_b32_e32 v1, 0xff800000
	v_cndmask_b32_e32 v1, v1, v47, vcc
	v_cmp_eq_u32_e32 vcc, 0, v2
	v_mov_b32_e32 v2, 0x7f800001
	v_cndmask_b32_e32 v1, v2, v1, vcc
; %bb.6386:                             ;   in Loop: Header=BB4_5364 Depth=3
	s_or_b64 exec, exec, s[34:35]
.LBB4_6387:                             ;   in Loop: Header=BB4_5364 Depth=3
	s_or_b64 exec, exec, s[30:31]
.LBB4_6388:                             ;   in Loop: Header=BB4_5364 Depth=3
	s_or_b64 exec, exec, s[28:29]
	v_mul_f32_e32 v2, v0, v1
	v_and_b32_e32 v42, 0x7f800000, v2
	v_mov_b32_e32 v43, v61
	v_cmp_ne_u64_e32 vcc, s[62:63], v[42:43]
	v_and_b32_e32 v0, 0x7fffff, v2
	v_mov_b32_e32 v1, v61
                                        ; implicit-def: $vgpr55
	s_and_saveexec_b64 s[28:29], vcc
	s_xor_b64 s[30:31], exec, s[28:29]
	s_cbranch_execz .LBB4_6402
; %bb.6389:                             ;   in Loop: Header=BB4_5364 Depth=3
	v_and_b32_e32 v42, 0x7fffffff, v2
	v_mov_b32_e32 v43, v61
	v_cmp_gt_u64_e32 vcc, s[78:79], v[42:43]
	v_and_b32_sdwa v42, v2, s81 dst_sel:DWORD dst_unused:UNUSED_PAD src0_sel:BYTE_3 src1_sel:DWORD
                                        ; implicit-def: $vgpr55
	s_and_saveexec_b64 s[28:29], vcc
	s_xor_b64 s[34:35], exec, s[28:29]
	s_cbranch_execz .LBB4_6399
; %bb.6390:                             ;   in Loop: Header=BB4_5364 Depth=3
	v_mov_b32_e32 v55, 0
	v_cmp_ne_u32_e32 vcc, 0, v2
	s_and_saveexec_b64 s[36:37], vcc
	s_cbranch_execz .LBB4_6398
; %bb.6391:                             ;   in Loop: Header=BB4_5364 Depth=3
	v_bfe_u32 v55, v2, 23, 8
	v_cmp_gt_u32_e64 s[28:29], s47, v55
	v_sub_u32_e32 v2, 0x71, v55
	v_cmp_eq_u32_e32 vcc, 0, v55
	v_cndmask_b32_e64 v2, 0, v2, s[28:29]
	v_mov_b32_e32 v43, 0x70
	v_cndmask_b32_e32 v43, v2, v43, vcc
	v_add_u32_e32 v2, 21, v43
	v_or_b32_e32 v44, 0x800000, v0
	v_lshlrev_b64 v[56:57], v2, -1
	v_cndmask_b32_e32 v0, v44, v0, vcc
	v_add_u32_e32 v2, 20, v43
	v_bfi_b32 v56, v56, 0, v0
	v_lshlrev_b64 v[58:59], v2, 1
	v_lshrrev_b64 v[0:1], v43, v[0:1]
	v_bfi_b32 v57, v57, 0, 0
	v_cmp_eq_u64_e64 s[28:29], v[56:57], v[58:59]
	v_mov_b32_e32 v2, v1
	v_mov_b32_e32 v1, v0
	s_and_saveexec_b64 s[38:39], s[28:29]
; %bb.6392:                             ;   in Loop: Header=BB4_5364 Depth=3
	v_bfe_u32 v1, v0, 21, 1
	v_add_co_u32_e64 v1, s[28:29], v0, v1
	v_add_co_u32_e64 v1, s[28:29], -1, v1
; %bb.6393:                             ;   in Loop: Header=BB4_5364 Depth=3
	s_or_b64 exec, exec, s[38:39]
	v_add_u32_e32 v2, 0xffffff81, v55
	v_mov_b32_e32 v55, 0xffffff82
	v_cndmask_b32_e32 v2, v2, v55, vcc
	v_lshrrev_b32_e32 v55, 23, v0
	v_add3_u32 v43, v43, v2, v55
	v_add_u32_e32 v55, 14, v43
	v_and_b32_e32 v1, 0x1fffff, v1
	v_add_u32_e32 v0, v1, v0
	v_mov_b32_e32 v1, v61
	v_cmp_ne_u32_e32 vcc, 0, v55
                                        ; implicit-def: $vgpr2
	s_and_saveexec_b64 s[28:29], vcc
	s_xor_b64 s[28:29], exec, s[28:29]
; %bb.6394:                             ;   in Loop: Header=BB4_5364 Depth=3
	v_cmp_lt_u64_e32 vcc, s[88:89], v[0:1]
	v_add_u32_e32 v2, 15, v43
	v_cndmask_b32_e32 v2, v55, v2, vcc
	v_cndmask_b32_e64 v55, 0, 1, vcc
	v_lshrrev_b64 v[0:1], v55, v[0:1]
; %bb.6395:                             ;   in Loop: Header=BB4_5364 Depth=3
	s_andn2_saveexec_b64 s[28:29], s[28:29]
; %bb.6396:                             ;   in Loop: Header=BB4_5364 Depth=3
	v_bfe_u32 v2, v0, 23, 1
; %bb.6397:                             ;   in Loop: Header=BB4_5364 Depth=3
	s_or_b64 exec, exec, s[28:29]
	v_lshrrev_b64 v[0:1], 21, v[0:1]
	v_cmp_gt_i32_e32 vcc, 32, v2
	v_cndmask_b32_e32 v1, 0, v1, vcc
	v_cndmask_b32_e32 v0, 3, v0, vcc
	v_cmp_eq_u64_e64 s[28:29], 0, v[0:1]
	v_min_i32_e32 v1, 31, v2
	v_lshlrev_b32_e32 v1, 2, v1
	v_cmp_eq_u32_e32 vcc, 0, v2
	v_and_b32_e32 v1, 0xfc, v1
	v_and_or_b32 v0, v0, 3, v1
	s_and_b64 s[28:29], vcc, s[28:29]
	v_cndmask_b32_e64 v0, v0, 0, s[28:29]
	v_or_b32_e32 v55, v0, v42
.LBB4_6398:                             ;   in Loop: Header=BB4_5364 Depth=3
	s_or_b64 exec, exec, s[36:37]
                                        ; implicit-def: $vgpr42
.LBB4_6399:                             ;   in Loop: Header=BB4_5364 Depth=3
	s_andn2_saveexec_b64 s[28:29], s[34:35]
; %bb.6400:                             ;   in Loop: Header=BB4_5364 Depth=3
	v_or_b32_e32 v55, 0x7b, v42
; %bb.6401:                             ;   in Loop: Header=BB4_5364 Depth=3
	s_or_b64 exec, exec, s[28:29]
                                        ; implicit-def: $vgpr2
                                        ; implicit-def: $vgpr0_vgpr1
.LBB4_6402:                             ;   in Loop: Header=BB4_5364 Depth=3
	s_andn2_saveexec_b64 s[28:29], s[30:31]
	s_cbranch_execz .LBB4_6408
; %bb.6403:                             ;   in Loop: Header=BB4_5364 Depth=3
	v_cmp_ne_u64_e32 vcc, 0, v[0:1]
                                        ; implicit-def: $vgpr55
	s_and_saveexec_b64 s[30:31], vcc
	s_xor_b64 vcc, exec, s[30:31]
; %bb.6404:                             ;   in Loop: Header=BB4_5364 Depth=3
	v_or_b32_sdwa v55, v2, s44 dst_sel:DWORD dst_unused:UNUSED_PAD src0_sel:BYTE_3 src1_sel:DWORD
                                        ; implicit-def: $vgpr2
; %bb.6405:                             ;   in Loop: Header=BB4_5364 Depth=3
	s_andn2_saveexec_b64 s[30:31], vcc
; %bb.6406:                             ;   in Loop: Header=BB4_5364 Depth=3
	v_cmp_lt_i32_e32 vcc, -1, v2
	v_bfrev_b32_e32 v0, 0.5
	v_mov_b32_e32 v1, 0x7c
	v_cndmask_b32_e32 v55, v0, v1, vcc
; %bb.6407:                             ;   in Loop: Header=BB4_5364 Depth=3
	s_or_b64 exec, exec, s[30:31]
.LBB4_6408:                             ;   in Loop: Header=BB4_5364 Depth=3
	s_or_b64 exec, exec, s[28:29]
	v_lshrrev_b16_e32 v0, 8, v60
	v_cmp_ne_u16_e32 vcc, 0, v0
	v_mov_b32_e32 v2, 0
	v_mov_b32_e32 v42, 0
	s_and_saveexec_b64 s[28:29], vcc
	s_cbranch_execz .LBB4_6416
; %bb.6409:                             ;   in Loop: Header=BB4_5364 Depth=3
	v_cmp_ne_u16_e32 vcc, s81, v0
	v_bfrev_b32_e32 v42, 1
	s_and_saveexec_b64 s[30:31], vcc
	s_cbranch_execz .LBB4_6415
; %bb.6410:                             ;   in Loop: Header=BB4_5364 Depth=3
	v_and_b32_e32 v1, 0x7c, v0
	v_and_b32_e32 v43, 3, v0
	v_cmp_ne_u32_e32 vcc, s71, v1
                                        ; implicit-def: $vgpr42
	s_and_saveexec_b64 s[34:35], vcc
	s_xor_b64 s[34:35], exec, s[34:35]
	s_cbranch_execz .LBB4_6412
; %bb.6411:                             ;   in Loop: Header=BB4_5364 Depth=3
	v_ffbh_u32_e32 v44, v43
	v_min_u32_e32 v44, 32, v44
	v_mov_b32_e32 v1, v61
	v_subrev_u32_e32 v45, 29, v44
	v_bfe_u32 v42, v0, 2, 5
	v_lshlrev_b64 v[0:1], v45, v[0:1]
	v_sub_u32_e32 v1, 30, v44
	v_cmp_eq_u32_e32 vcc, 0, v42
	v_cndmask_b32_e32 v1, v42, v1, vcc
	v_lshlrev_b32_e32 v42, 16, v60
	v_and_b32_e32 v0, 3, v0
	v_and_b32_e32 v42, 0x80000000, v42
	v_cndmask_b32_e32 v0, v43, v0, vcc
	v_lshl_add_u32 v1, v1, 23, v42
	v_lshl_or_b32 v0, v0, 21, v1
	v_add_u32_e32 v42, 0x38000000, v0
                                        ; implicit-def: $vgpr43
.LBB4_6412:                             ;   in Loop: Header=BB4_5364 Depth=3
	s_andn2_saveexec_b64 s[34:35], s[34:35]
; %bb.6413:                             ;   in Loop: Header=BB4_5364 Depth=3
	v_cmp_lt_i16_e32 vcc, -1, v60
	v_mov_b32_e32 v0, 0xff800000
	v_cndmask_b32_e32 v0, v0, v47, vcc
	v_cmp_eq_u32_e32 vcc, 0, v43
	v_mov_b32_e32 v1, 0x7f800001
	v_cndmask_b32_e32 v42, v1, v0, vcc
; %bb.6414:                             ;   in Loop: Header=BB4_5364 Depth=3
	s_or_b64 exec, exec, s[34:35]
.LBB4_6415:                             ;   in Loop: Header=BB4_5364 Depth=3
	s_or_b64 exec, exec, s[30:31]
.LBB4_6416:                             ;   in Loop: Header=BB4_5364 Depth=3
	s_or_b64 exec, exec, s[28:29]
	v_lshrrev_b16_e32 v0, 8, v11
	v_cmp_ne_u16_e32 vcc, 0, v0
	s_and_saveexec_b64 s[28:29], vcc
	s_cbranch_execz .LBB4_6424
; %bb.6417:                             ;   in Loop: Header=BB4_5364 Depth=3
	v_cmp_ne_u16_e32 vcc, s81, v0
	v_bfrev_b32_e32 v2, 1
	s_and_saveexec_b64 s[30:31], vcc
	s_cbranch_execz .LBB4_6423
; %bb.6418:                             ;   in Loop: Header=BB4_5364 Depth=3
	v_and_b32_e32 v1, 0x7c, v0
	v_and_b32_e32 v43, 3, v0
	v_cmp_ne_u32_e32 vcc, s71, v1
                                        ; implicit-def: $vgpr2
	s_and_saveexec_b64 s[34:35], vcc
	s_xor_b64 s[34:35], exec, s[34:35]
	s_cbranch_execz .LBB4_6420
; %bb.6419:                             ;   in Loop: Header=BB4_5364 Depth=3
	v_ffbh_u32_e32 v44, v43
	v_min_u32_e32 v44, 32, v44
	v_mov_b32_e32 v1, v61
	v_subrev_u32_e32 v45, 29, v44
	v_bfe_u32 v2, v0, 2, 5
	v_lshlrev_b64 v[0:1], v45, v[0:1]
	v_sub_u32_e32 v1, 30, v44
	v_cmp_eq_u32_e32 vcc, 0, v2
	v_cndmask_b32_e32 v1, v2, v1, vcc
	v_lshlrev_b32_e32 v2, 16, v11
	v_and_b32_e32 v0, 3, v0
	v_and_b32_e32 v2, 0x80000000, v2
	v_cndmask_b32_e32 v0, v43, v0, vcc
	v_lshl_add_u32 v1, v1, 23, v2
	v_lshl_or_b32 v0, v0, 21, v1
	v_add_u32_e32 v2, 0x38000000, v0
                                        ; implicit-def: $vgpr43
.LBB4_6420:                             ;   in Loop: Header=BB4_5364 Depth=3
	s_andn2_saveexec_b64 s[34:35], s[34:35]
; %bb.6421:                             ;   in Loop: Header=BB4_5364 Depth=3
	v_cmp_lt_i16_e32 vcc, -1, v11
	v_mov_b32_e32 v0, 0xff800000
	v_cndmask_b32_e32 v0, v0, v47, vcc
	v_cmp_eq_u32_e32 vcc, 0, v43
	v_mov_b32_e32 v1, 0x7f800001
	v_cndmask_b32_e32 v2, v1, v0, vcc
; %bb.6422:                             ;   in Loop: Header=BB4_5364 Depth=3
	s_or_b64 exec, exec, s[34:35]
.LBB4_6423:                             ;   in Loop: Header=BB4_5364 Depth=3
	s_or_b64 exec, exec, s[30:31]
.LBB4_6424:                             ;   in Loop: Header=BB4_5364 Depth=3
	s_or_b64 exec, exec, s[28:29]
	v_mul_f32_e32 v0, v42, v2
	v_and_b32_e32 v1, 0x7f800000, v0
	v_mov_b32_e32 v2, v61
	v_cmp_ne_u64_e32 vcc, s[62:63], v[1:2]
	v_and_b32_e32 v60, 0x7fffff, v0
                                        ; implicit-def: $vgpr42
	s_and_saveexec_b64 s[28:29], vcc
	s_xor_b64 s[30:31], exec, s[28:29]
	s_cbranch_execz .LBB4_6438
; %bb.6425:                             ;   in Loop: Header=BB4_5364 Depth=3
	v_and_b32_e32 v1, 0x7fffffff, v0
	v_mov_b32_e32 v2, v61
	v_cmp_gt_u64_e32 vcc, s[78:79], v[1:2]
	v_and_b32_sdwa v43, v0, s81 dst_sel:DWORD dst_unused:UNUSED_PAD src0_sel:BYTE_3 src1_sel:DWORD
                                        ; implicit-def: $vgpr42
	s_and_saveexec_b64 s[28:29], vcc
	s_xor_b64 s[34:35], exec, s[28:29]
	s_cbranch_execz .LBB4_6435
; %bb.6426:                             ;   in Loop: Header=BB4_5364 Depth=3
	v_mov_b32_e32 v42, 0
	v_cmp_ne_u32_e32 vcc, 0, v0
	s_and_saveexec_b64 s[36:37], vcc
	s_cbranch_execz .LBB4_6434
; %bb.6427:                             ;   in Loop: Header=BB4_5364 Depth=3
	v_bfe_u32 v42, v0, 23, 8
	v_cmp_gt_u32_e64 s[28:29], s47, v42
	v_sub_u32_e32 v0, 0x71, v42
	v_cmp_eq_u32_e32 vcc, 0, v42
	v_cndmask_b32_e64 v0, 0, v0, s[28:29]
	v_mov_b32_e32 v2, 0x70
	v_cndmask_b32_e32 v44, v0, v2, vcc
	v_add_u32_e32 v2, 21, v44
	v_or_b32_e32 v1, 0x800000, v60
	v_lshlrev_b64 v[56:57], v2, -1
	v_cndmask_b32_e32 v0, v1, v60, vcc
	v_mov_b32_e32 v1, v61
	v_add_u32_e32 v2, 20, v44
	v_bfi_b32 v56, v56, 0, v0
	v_lshlrev_b64 v[58:59], v2, 1
	v_lshrrev_b64 v[0:1], v44, v[0:1]
	v_bfi_b32 v57, v57, 0, 0
	v_cmp_eq_u64_e64 s[28:29], v[56:57], v[58:59]
	v_mov_b32_e32 v2, v1
	v_mov_b32_e32 v1, v0
	s_and_saveexec_b64 s[38:39], s[28:29]
; %bb.6428:                             ;   in Loop: Header=BB4_5364 Depth=3
	v_bfe_u32 v1, v0, 21, 1
	v_add_co_u32_e64 v1, s[28:29], v0, v1
	v_add_co_u32_e64 v1, s[28:29], -1, v1
; %bb.6429:                             ;   in Loop: Header=BB4_5364 Depth=3
	s_or_b64 exec, exec, s[38:39]
	v_add_u32_e32 v2, 0xffffff81, v42
	v_mov_b32_e32 v42, 0xffffff82
	v_cndmask_b32_e32 v2, v2, v42, vcc
	v_lshrrev_b32_e32 v42, 23, v0
	v_add3_u32 v44, v44, v2, v42
	v_add_u32_e32 v42, 14, v44
	v_and_b32_e32 v1, 0x1fffff, v1
	v_add_u32_e32 v60, v1, v0
	v_cmp_ne_u32_e32 vcc, 0, v42
                                        ; implicit-def: $vgpr0_vgpr1
                                        ; implicit-def: $vgpr2
	s_and_saveexec_b64 s[28:29], vcc
	s_xor_b64 s[28:29], exec, s[28:29]
; %bb.6430:                             ;   in Loop: Header=BB4_5364 Depth=3
	v_cmp_lt_u64_e32 vcc, s[88:89], v[60:61]
	v_add_u32_e32 v0, 15, v44
	v_cndmask_b32_e32 v2, v42, v0, vcc
	v_cndmask_b32_e64 v0, 0, 1, vcc
	v_lshrrev_b64 v[0:1], v0, v[60:61]
; %bb.6431:                             ;   in Loop: Header=BB4_5364 Depth=3
	s_andn2_saveexec_b64 s[28:29], s[28:29]
; %bb.6432:                             ;   in Loop: Header=BB4_5364 Depth=3
	v_mov_b32_e32 v0, v60
	v_mov_b32_e32 v1, v61
	v_bfe_u32 v2, v60, 23, 1
; %bb.6433:                             ;   in Loop: Header=BB4_5364 Depth=3
	s_or_b64 exec, exec, s[28:29]
	v_lshrrev_b64 v[0:1], 21, v[0:1]
	v_cmp_gt_i32_e32 vcc, 32, v2
	v_cndmask_b32_e32 v1, 0, v1, vcc
	v_cndmask_b32_e32 v0, 3, v0, vcc
	v_cmp_eq_u64_e64 s[28:29], 0, v[0:1]
	v_min_i32_e32 v1, 31, v2
	v_lshlrev_b32_e32 v1, 2, v1
	v_cmp_eq_u32_e32 vcc, 0, v2
	v_and_b32_e32 v1, 0xfc, v1
	v_and_or_b32 v0, v0, 3, v1
	s_and_b64 s[28:29], vcc, s[28:29]
	v_cndmask_b32_e64 v0, v0, 0, s[28:29]
	v_or_b32_e32 v42, v0, v43
.LBB4_6434:                             ;   in Loop: Header=BB4_5364 Depth=3
	s_or_b64 exec, exec, s[36:37]
                                        ; implicit-def: $vgpr43
.LBB4_6435:                             ;   in Loop: Header=BB4_5364 Depth=3
	s_andn2_saveexec_b64 s[28:29], s[34:35]
; %bb.6436:                             ;   in Loop: Header=BB4_5364 Depth=3
	v_or_b32_e32 v42, 0x7b, v43
; %bb.6437:                             ;   in Loop: Header=BB4_5364 Depth=3
	s_or_b64 exec, exec, s[28:29]
                                        ; implicit-def: $vgpr0
.LBB4_6438:                             ;   in Loop: Header=BB4_5364 Depth=3
	s_andn2_saveexec_b64 s[28:29], s[30:31]
	s_cbranch_execz .LBB4_6444
; %bb.6439:                             ;   in Loop: Header=BB4_5364 Depth=3
	v_cmp_ne_u64_e32 vcc, 0, v[60:61]
                                        ; implicit-def: $vgpr42
	s_and_saveexec_b64 s[30:31], vcc
	s_xor_b64 vcc, exec, s[30:31]
; %bb.6440:                             ;   in Loop: Header=BB4_5364 Depth=3
	v_or_b32_sdwa v42, v0, s44 dst_sel:DWORD dst_unused:UNUSED_PAD src0_sel:BYTE_3 src1_sel:DWORD
                                        ; implicit-def: $vgpr0
; %bb.6441:                             ;   in Loop: Header=BB4_5364 Depth=3
	s_andn2_saveexec_b64 s[30:31], vcc
; %bb.6442:                             ;   in Loop: Header=BB4_5364 Depth=3
	v_cmp_lt_i32_e32 vcc, -1, v0
	v_bfrev_b32_e32 v0, 0.5
	v_mov_b32_e32 v1, 0x7c
	v_cndmask_b32_e32 v42, v0, v1, vcc
; %bb.6443:                             ;   in Loop: Header=BB4_5364 Depth=3
	s_or_b64 exec, exec, s[30:31]
.LBB4_6444:                             ;   in Loop: Header=BB4_5364 Depth=3
	s_or_b64 exec, exec, s[28:29]
	v_lshrrev_b32_e32 v0, 16, v15
	v_cmp_ne_u16_sdwa vcc, v0, v61 src0_sel:BYTE_0 src1_sel:DWORD
	v_mov_b32_e32 v1, 0
	v_mov_b32_e32 v2, 0
	s_and_saveexec_b64 s[28:29], vcc
	s_cbranch_execz .LBB4_6452
; %bb.6445:                             ;   in Loop: Header=BB4_5364 Depth=3
	v_cmp_ne_u16_sdwa vcc, v0, s81 src0_sel:BYTE_0 src1_sel:DWORD
	v_bfrev_b32_e32 v2, 1
	s_and_saveexec_b64 s[30:31], vcc
	s_cbranch_execz .LBB4_6451
; %bb.6446:                             ;   in Loop: Header=BB4_5364 Depth=3
	v_and_b32_e32 v2, 0x7c0000, v15
	v_bfe_u32 v43, v15, 16, 2
	v_cmp_ne_u32_e32 vcc, s45, v2
                                        ; implicit-def: $vgpr2
	s_and_saveexec_b64 s[34:35], vcc
	s_xor_b64 s[34:35], exec, s[34:35]
	s_cbranch_execz .LBB4_6448
; %bb.6447:                             ;   in Loop: Header=BB4_5364 Depth=3
	v_ffbh_u32_e32 v44, v43
	v_min_u32_e32 v44, 32, v44
	v_subrev_u32_e32 v45, 29, v44
	v_lshlrev_b64 v[56:57], v45, v[0:1]
	v_bfe_u32 v2, v15, 18, 5
	v_sub_u32_e32 v0, 30, v44
	v_and_b32_e32 v44, 3, v56
	v_cmp_eq_u32_e32 vcc, 0, v2
	v_cndmask_b32_e32 v0, v2, v0, vcc
	v_cndmask_b32_e32 v2, v43, v44, vcc
	v_lshlrev_b32_e32 v43, 8, v15
	v_and_b32_e32 v43, 0x80000000, v43
	v_lshl_add_u32 v0, v0, 23, v43
	v_lshl_or_b32 v0, v2, 21, v0
	v_add_u32_e32 v2, 0x38000000, v0
                                        ; implicit-def: $vgpr43
                                        ; implicit-def: $vgpr0
.LBB4_6448:                             ;   in Loop: Header=BB4_5364 Depth=3
	s_andn2_saveexec_b64 s[34:35], s[34:35]
; %bb.6449:                             ;   in Loop: Header=BB4_5364 Depth=3
	v_mov_b32_e32 v2, -1
	v_cmp_gt_i16_sdwa vcc, sext(v0), v2 src0_sel:BYTE_0 src1_sel:DWORD
	v_mov_b32_e32 v0, 0xff800000
	v_cndmask_b32_e32 v0, v0, v47, vcc
	v_cmp_eq_u32_e32 vcc, 0, v43
	v_mov_b32_e32 v2, 0x7f800001
	v_cndmask_b32_e32 v2, v2, v0, vcc
; %bb.6450:                             ;   in Loop: Header=BB4_5364 Depth=3
	s_or_b64 exec, exec, s[34:35]
.LBB4_6451:                             ;   in Loop: Header=BB4_5364 Depth=3
	s_or_b64 exec, exec, s[30:31]
.LBB4_6452:                             ;   in Loop: Header=BB4_5364 Depth=3
	s_or_b64 exec, exec, s[28:29]
	v_lshrrev_b32_e32 v0, 16, v11
	v_cmp_ne_u16_sdwa vcc, v0, v61 src0_sel:BYTE_0 src1_sel:DWORD
	s_and_saveexec_b64 s[28:29], vcc
	s_cbranch_execz .LBB4_6460
; %bb.6453:                             ;   in Loop: Header=BB4_5364 Depth=3
	v_cmp_ne_u16_sdwa vcc, v0, s81 src0_sel:BYTE_0 src1_sel:DWORD
	v_bfrev_b32_e32 v1, 1
	s_and_saveexec_b64 s[30:31], vcc
	s_cbranch_execz .LBB4_6459
; %bb.6454:                             ;   in Loop: Header=BB4_5364 Depth=3
	v_and_b32_e32 v1, 0x7c0000, v11
	v_bfe_u32 v43, v11, 16, 2
	v_cmp_ne_u32_e32 vcc, s45, v1
                                        ; implicit-def: $vgpr1
	s_and_saveexec_b64 s[34:35], vcc
	s_xor_b64 s[34:35], exec, s[34:35]
	s_cbranch_execz .LBB4_6456
; %bb.6455:                             ;   in Loop: Header=BB4_5364 Depth=3
	v_ffbh_u32_e32 v1, v43
	v_min_u32_e32 v45, 32, v1
	v_subrev_u32_e32 v1, 29, v45
	v_lshlrev_b64 v[0:1], v1, v[0:1]
	v_bfe_u32 v44, v11, 18, 5
	v_and_b32_e32 v0, 3, v0
	v_cmp_eq_u32_e32 vcc, 0, v44
	v_sub_u32_e32 v1, 30, v45
	v_cndmask_b32_e32 v0, v43, v0, vcc
	v_lshlrev_b32_e32 v43, 8, v11
	v_cndmask_b32_e32 v1, v44, v1, vcc
	v_and_b32_e32 v43, 0x80000000, v43
	v_lshl_add_u32 v1, v1, 23, v43
	v_lshl_or_b32 v0, v0, 21, v1
	v_add_u32_e32 v1, 0x38000000, v0
                                        ; implicit-def: $vgpr43
                                        ; implicit-def: $vgpr0
.LBB4_6456:                             ;   in Loop: Header=BB4_5364 Depth=3
	s_andn2_saveexec_b64 s[34:35], s[34:35]
; %bb.6457:                             ;   in Loop: Header=BB4_5364 Depth=3
	v_mov_b32_e32 v1, -1
	v_cmp_gt_i16_sdwa vcc, sext(v0), v1 src0_sel:BYTE_0 src1_sel:DWORD
	v_mov_b32_e32 v0, 0xff800000
	v_cndmask_b32_e32 v0, v0, v47, vcc
	v_cmp_eq_u32_e32 vcc, 0, v43
	v_mov_b32_e32 v1, 0x7f800001
	v_cndmask_b32_e32 v1, v1, v0, vcc
; %bb.6458:                             ;   in Loop: Header=BB4_5364 Depth=3
	s_or_b64 exec, exec, s[34:35]
.LBB4_6459:                             ;   in Loop: Header=BB4_5364 Depth=3
	s_or_b64 exec, exec, s[30:31]
.LBB4_6460:                             ;   in Loop: Header=BB4_5364 Depth=3
	s_or_b64 exec, exec, s[28:29]
	v_mul_f32_e32 v0, v2, v1
	v_and_b32_e32 v1, 0x7f800000, v0
	v_mov_b32_e32 v2, v61
	v_cmp_ne_u64_e32 vcc, s[62:63], v[1:2]
	v_and_b32_e32 v60, 0x7fffff, v0
                                        ; implicit-def: $vgpr43
	s_and_saveexec_b64 s[28:29], vcc
	s_xor_b64 s[30:31], exec, s[28:29]
	s_cbranch_execz .LBB4_6474
; %bb.6461:                             ;   in Loop: Header=BB4_5364 Depth=3
	v_and_b32_e32 v1, 0x7fffffff, v0
	v_mov_b32_e32 v2, v61
	v_cmp_gt_u64_e32 vcc, s[78:79], v[1:2]
	v_and_b32_sdwa v44, v0, s81 dst_sel:DWORD dst_unused:UNUSED_PAD src0_sel:BYTE_3 src1_sel:DWORD
                                        ; implicit-def: $vgpr43
	s_and_saveexec_b64 s[28:29], vcc
	s_xor_b64 s[34:35], exec, s[28:29]
	s_cbranch_execz .LBB4_6471
; %bb.6462:                             ;   in Loop: Header=BB4_5364 Depth=3
	v_mov_b32_e32 v43, 0
	v_cmp_ne_u32_e32 vcc, 0, v0
	s_and_saveexec_b64 s[36:37], vcc
	s_cbranch_execz .LBB4_6470
; %bb.6463:                             ;   in Loop: Header=BB4_5364 Depth=3
	v_bfe_u32 v43, v0, 23, 8
	v_cmp_gt_u32_e64 s[28:29], s47, v43
	v_sub_u32_e32 v0, 0x71, v43
	v_cmp_eq_u32_e32 vcc, 0, v43
	v_cndmask_b32_e64 v0, 0, v0, s[28:29]
	v_mov_b32_e32 v2, 0x70
	v_cndmask_b32_e32 v56, v0, v2, vcc
	v_add_u32_e32 v2, 21, v56
	v_or_b32_e32 v1, 0x800000, v60
	v_lshlrev_b64 v[57:58], v2, -1
	v_cndmask_b32_e32 v0, v1, v60, vcc
	v_mov_b32_e32 v1, v61
	v_add_u32_e32 v2, 20, v56
	v_bfi_b32 v57, v57, 0, v0
	v_lshlrev_b64 v[59:60], v2, 1
	v_lshrrev_b64 v[0:1], v56, v[0:1]
	v_bfi_b32 v58, v58, 0, 0
	v_cmp_eq_u64_e64 s[28:29], v[57:58], v[59:60]
	v_mov_b32_e32 v2, v1
	v_mov_b32_e32 v1, v0
	s_and_saveexec_b64 s[38:39], s[28:29]
; %bb.6464:                             ;   in Loop: Header=BB4_5364 Depth=3
	v_bfe_u32 v1, v0, 21, 1
	v_add_co_u32_e64 v1, s[28:29], v0, v1
	v_add_co_u32_e64 v1, s[28:29], -1, v1
; %bb.6465:                             ;   in Loop: Header=BB4_5364 Depth=3
	s_or_b64 exec, exec, s[38:39]
	v_add_u32_e32 v2, 0xffffff81, v43
	v_mov_b32_e32 v43, 0xffffff82
	v_cndmask_b32_e32 v2, v2, v43, vcc
	v_lshrrev_b32_e32 v43, 23, v0
	v_add3_u32 v56, v56, v2, v43
	v_add_u32_e32 v43, 14, v56
	v_and_b32_e32 v1, 0x1fffff, v1
	v_add_u32_e32 v60, v1, v0
	v_cmp_ne_u32_e32 vcc, 0, v43
                                        ; implicit-def: $vgpr0_vgpr1
                                        ; implicit-def: $vgpr2
	s_and_saveexec_b64 s[28:29], vcc
	s_xor_b64 s[28:29], exec, s[28:29]
; %bb.6466:                             ;   in Loop: Header=BB4_5364 Depth=3
	v_cmp_lt_u64_e32 vcc, s[88:89], v[60:61]
	v_add_u32_e32 v0, 15, v56
	v_cndmask_b32_e32 v2, v43, v0, vcc
	v_cndmask_b32_e64 v0, 0, 1, vcc
	v_lshrrev_b64 v[0:1], v0, v[60:61]
; %bb.6467:                             ;   in Loop: Header=BB4_5364 Depth=3
	s_andn2_saveexec_b64 s[28:29], s[28:29]
; %bb.6468:                             ;   in Loop: Header=BB4_5364 Depth=3
	v_mov_b32_e32 v0, v60
	v_mov_b32_e32 v1, v61
	v_bfe_u32 v2, v60, 23, 1
; %bb.6469:                             ;   in Loop: Header=BB4_5364 Depth=3
	s_or_b64 exec, exec, s[28:29]
	v_lshrrev_b64 v[0:1], 21, v[0:1]
	v_cmp_gt_i32_e32 vcc, 32, v2
	v_cndmask_b32_e32 v1, 0, v1, vcc
	v_cndmask_b32_e32 v0, 3, v0, vcc
	v_cmp_eq_u64_e64 s[28:29], 0, v[0:1]
	v_min_i32_e32 v1, 31, v2
	v_lshlrev_b32_e32 v1, 2, v1
	v_cmp_eq_u32_e32 vcc, 0, v2
	v_and_b32_e32 v1, 0xfc, v1
	v_and_or_b32 v0, v0, 3, v1
	s_and_b64 s[28:29], vcc, s[28:29]
	v_cndmask_b32_e64 v0, v0, 0, s[28:29]
	v_or_b32_e32 v43, v0, v44
.LBB4_6470:                             ;   in Loop: Header=BB4_5364 Depth=3
	s_or_b64 exec, exec, s[36:37]
                                        ; implicit-def: $vgpr44
.LBB4_6471:                             ;   in Loop: Header=BB4_5364 Depth=3
	s_andn2_saveexec_b64 s[28:29], s[34:35]
; %bb.6472:                             ;   in Loop: Header=BB4_5364 Depth=3
	v_or_b32_e32 v43, 0x7b, v44
; %bb.6473:                             ;   in Loop: Header=BB4_5364 Depth=3
	s_or_b64 exec, exec, s[28:29]
                                        ; implicit-def: $vgpr0
.LBB4_6474:                             ;   in Loop: Header=BB4_5364 Depth=3
	s_andn2_saveexec_b64 s[28:29], s[30:31]
	s_cbranch_execz .LBB4_6480
; %bb.6475:                             ;   in Loop: Header=BB4_5364 Depth=3
	v_cmp_ne_u64_e32 vcc, 0, v[60:61]
                                        ; implicit-def: $vgpr43
	s_and_saveexec_b64 s[30:31], vcc
	s_xor_b64 vcc, exec, s[30:31]
; %bb.6476:                             ;   in Loop: Header=BB4_5364 Depth=3
	v_or_b32_sdwa v43, v0, s44 dst_sel:DWORD dst_unused:UNUSED_PAD src0_sel:BYTE_3 src1_sel:DWORD
                                        ; implicit-def: $vgpr0
; %bb.6477:                             ;   in Loop: Header=BB4_5364 Depth=3
	s_andn2_saveexec_b64 s[30:31], vcc
; %bb.6478:                             ;   in Loop: Header=BB4_5364 Depth=3
	v_cmp_lt_i32_e32 vcc, -1, v0
	v_bfrev_b32_e32 v0, 0.5
	v_mov_b32_e32 v1, 0x7c
	v_cndmask_b32_e32 v43, v0, v1, vcc
; %bb.6479:                             ;   in Loop: Header=BB4_5364 Depth=3
	s_or_b64 exec, exec, s[30:31]
.LBB4_6480:                             ;   in Loop: Header=BB4_5364 Depth=3
	s_or_b64 exec, exec, s[28:29]
	v_cmp_lt_u64_e32 vcc, s[56:57], v[14:15]
	v_mov_b32_e32 v1, 0
	v_mov_b32_e32 v2, 0
	s_and_saveexec_b64 s[28:29], vcc
	s_cbranch_execz .LBB4_6488
; %bb.6481:                             ;   in Loop: Header=BB4_5364 Depth=3
	v_lshrrev_b32_e32 v0, 24, v15
	v_cmp_ne_u32_e32 vcc, s81, v0
	v_bfrev_b32_e32 v2, 1
	s_and_saveexec_b64 s[30:31], vcc
	s_cbranch_execz .LBB4_6487
; %bb.6482:                             ;   in Loop: Header=BB4_5364 Depth=3
	v_and_b32_e32 v2, 0x7c000000, v15
	v_bfe_u32 v44, v15, 24, 2
	v_cmp_ne_u32_e32 vcc, s82, v2
                                        ; implicit-def: $vgpr2
	s_and_saveexec_b64 s[34:35], vcc
	s_xor_b64 s[34:35], exec, s[34:35]
	s_cbranch_execz .LBB4_6484
; %bb.6483:                             ;   in Loop: Header=BB4_5364 Depth=3
	v_ffbh_u32_e32 v14, v44
	v_min_u32_e32 v14, 32, v14
	v_subrev_u32_e32 v45, 29, v14
	v_lshlrev_b64 v[56:57], v45, v[0:1]
	v_bfe_u32 v2, v15, 26, 5
	v_sub_u32_e32 v0, 30, v14
	v_and_b32_e32 v14, 3, v56
	v_cmp_eq_u32_e32 vcc, 0, v2
	v_cndmask_b32_e32 v0, v2, v0, vcc
	v_cndmask_b32_e32 v2, v44, v14, vcc
	v_and_b32_e32 v14, 0x80000000, v15
	v_lshl_add_u32 v0, v0, 23, v14
	v_lshl_or_b32 v0, v2, 21, v0
	v_add_u32_e32 v2, 0x38000000, v0
                                        ; implicit-def: $vgpr44
                                        ; implicit-def: $vgpr14_vgpr15
.LBB4_6484:                             ;   in Loop: Header=BB4_5364 Depth=3
	s_andn2_saveexec_b64 s[34:35], s[34:35]
; %bb.6485:                             ;   in Loop: Header=BB4_5364 Depth=3
	v_cmp_lt_i64_e32 vcc, -1, v[14:15]
	v_mov_b32_e32 v0, 0xff800000
	v_cndmask_b32_e32 v0, v0, v47, vcc
	v_cmp_eq_u32_e32 vcc, 0, v44
	v_mov_b32_e32 v2, 0x7f800001
	v_cndmask_b32_e32 v2, v2, v0, vcc
; %bb.6486:                             ;   in Loop: Header=BB4_5364 Depth=3
	s_or_b64 exec, exec, s[34:35]
.LBB4_6487:                             ;   in Loop: Header=BB4_5364 Depth=3
	s_or_b64 exec, exec, s[30:31]
.LBB4_6488:                             ;   in Loop: Header=BB4_5364 Depth=3
	s_or_b64 exec, exec, s[28:29]
	v_cmp_lt_u64_e32 vcc, s[56:57], v[10:11]
	s_and_saveexec_b64 s[28:29], vcc
	s_cbranch_execz .LBB4_6496
; %bb.6489:                             ;   in Loop: Header=BB4_5364 Depth=3
	v_lshrrev_b32_e32 v0, 24, v11
	v_cmp_ne_u32_e32 vcc, s81, v0
	v_bfrev_b32_e32 v1, 1
	s_and_saveexec_b64 s[30:31], vcc
	s_cbranch_execz .LBB4_6495
; %bb.6490:                             ;   in Loop: Header=BB4_5364 Depth=3
	v_and_b32_e32 v1, 0x7c000000, v11
	v_bfe_u32 v14, v11, 24, 2
	v_cmp_ne_u32_e32 vcc, s82, v1
                                        ; implicit-def: $vgpr1
	s_and_saveexec_b64 s[34:35], vcc
	s_xor_b64 s[34:35], exec, s[34:35]
	s_cbranch_execz .LBB4_6492
; %bb.6491:                             ;   in Loop: Header=BB4_5364 Depth=3
	v_ffbh_u32_e32 v1, v14
	v_min_u32_e32 v15, 32, v1
	v_subrev_u32_e32 v1, 29, v15
	v_bfe_u32 v10, v11, 26, 5
	v_lshlrev_b64 v[0:1], v1, v[0:1]
	v_sub_u32_e32 v1, 30, v15
	v_cmp_eq_u32_e32 vcc, 0, v10
	v_and_b32_e32 v0, 3, v0
	v_cndmask_b32_e32 v1, v10, v1, vcc
	v_and_b32_e32 v10, 0x80000000, v11
	v_cndmask_b32_e32 v0, v14, v0, vcc
	v_lshl_add_u32 v1, v1, 23, v10
	v_lshl_or_b32 v0, v0, 21, v1
	v_add_u32_e32 v1, 0x38000000, v0
                                        ; implicit-def: $vgpr14
                                        ; implicit-def: $vgpr10_vgpr11
.LBB4_6492:                             ;   in Loop: Header=BB4_5364 Depth=3
	s_andn2_saveexec_b64 s[34:35], s[34:35]
; %bb.6493:                             ;   in Loop: Header=BB4_5364 Depth=3
	v_cmp_lt_i64_e32 vcc, -1, v[10:11]
	v_mov_b32_e32 v0, 0xff800000
	v_cndmask_b32_e32 v0, v0, v47, vcc
	v_cmp_eq_u32_e32 vcc, 0, v14
	v_mov_b32_e32 v1, 0x7f800001
	v_cndmask_b32_e32 v1, v1, v0, vcc
; %bb.6494:                             ;   in Loop: Header=BB4_5364 Depth=3
	s_or_b64 exec, exec, s[34:35]
.LBB4_6495:                             ;   in Loop: Header=BB4_5364 Depth=3
	s_or_b64 exec, exec, s[30:31]
.LBB4_6496:                             ;   in Loop: Header=BB4_5364 Depth=3
	s_or_b64 exec, exec, s[28:29]
	v_mul_f32_e32 v1, v2, v1
	v_and_b32_e32 v10, 0x7f800000, v1
	v_mov_b32_e32 v11, v61
	v_cmp_ne_u64_e32 vcc, s[62:63], v[10:11]
	v_and_b32_e32 v60, 0x7fffff, v1
                                        ; implicit-def: $vgpr0
	s_and_saveexec_b64 s[28:29], vcc
	s_xor_b64 s[30:31], exec, s[28:29]
	s_cbranch_execz .LBB4_6510
; %bb.6497:                             ;   in Loop: Header=BB4_5364 Depth=3
	v_and_b32_e32 v10, 0x7fffffff, v1
	v_mov_b32_e32 v11, v61
	v_cmp_gt_u64_e32 vcc, s[78:79], v[10:11]
	v_and_b32_sdwa v10, v1, s81 dst_sel:DWORD dst_unused:UNUSED_PAD src0_sel:BYTE_3 src1_sel:DWORD
                                        ; implicit-def: $vgpr0
	s_and_saveexec_b64 s[28:29], vcc
	s_xor_b64 s[34:35], exec, s[28:29]
	s_cbranch_execz .LBB4_6507
; %bb.6498:                             ;   in Loop: Header=BB4_5364 Depth=3
	v_mov_b32_e32 v0, 0
	v_cmp_ne_u32_e32 vcc, 0, v1
	s_and_saveexec_b64 s[36:37], vcc
	s_cbranch_execz .LBB4_6506
; %bb.6499:                             ;   in Loop: Header=BB4_5364 Depth=3
	v_bfe_u32 v11, v1, 23, 8
	v_cmp_gt_u32_e64 s[28:29], s47, v11
	v_sub_u32_e32 v0, 0x71, v11
	v_cmp_eq_u32_e32 vcc, 0, v11
	v_cndmask_b32_e64 v0, 0, v0, s[28:29]
	v_mov_b32_e32 v2, 0x70
	v_cndmask_b32_e32 v14, v0, v2, vcc
	v_add_u32_e32 v2, 21, v14
	v_or_b32_e32 v1, 0x800000, v60
	v_lshlrev_b64 v[56:57], v2, -1
	v_cndmask_b32_e32 v0, v1, v60, vcc
	v_mov_b32_e32 v1, v61
	v_add_u32_e32 v2, 20, v14
	v_bfi_b32 v56, v56, 0, v0
	v_lshlrev_b64 v[58:59], v2, 1
	v_lshrrev_b64 v[0:1], v14, v[0:1]
	v_bfi_b32 v57, v57, 0, 0
	v_cmp_eq_u64_e64 s[28:29], v[56:57], v[58:59]
	v_mov_b32_e32 v2, v1
	v_mov_b32_e32 v1, v0
	s_and_saveexec_b64 s[38:39], s[28:29]
; %bb.6500:                             ;   in Loop: Header=BB4_5364 Depth=3
	v_bfe_u32 v1, v0, 21, 1
	v_add_co_u32_e64 v1, s[28:29], v0, v1
	v_add_co_u32_e64 v1, s[28:29], -1, v1
; %bb.6501:                             ;   in Loop: Header=BB4_5364 Depth=3
	s_or_b64 exec, exec, s[38:39]
	v_add_u32_e32 v2, 0xffffff81, v11
	v_mov_b32_e32 v11, 0xffffff82
	v_cndmask_b32_e32 v2, v2, v11, vcc
	v_lshrrev_b32_e32 v11, 23, v0
	v_add3_u32 v14, v14, v2, v11
	v_add_u32_e32 v11, 14, v14
	v_and_b32_e32 v1, 0x1fffff, v1
	v_add_u32_e32 v60, v1, v0
	v_cmp_ne_u32_e32 vcc, 0, v11
                                        ; implicit-def: $vgpr0_vgpr1
                                        ; implicit-def: $vgpr2
	s_and_saveexec_b64 s[28:29], vcc
	s_xor_b64 s[28:29], exec, s[28:29]
; %bb.6502:                             ;   in Loop: Header=BB4_5364 Depth=3
	v_cmp_lt_u64_e32 vcc, s[88:89], v[60:61]
	v_add_u32_e32 v0, 15, v14
	v_cndmask_b32_e32 v2, v11, v0, vcc
	v_cndmask_b32_e64 v0, 0, 1, vcc
	v_lshrrev_b64 v[0:1], v0, v[60:61]
; %bb.6503:                             ;   in Loop: Header=BB4_5364 Depth=3
	s_andn2_saveexec_b64 s[28:29], s[28:29]
; %bb.6504:                             ;   in Loop: Header=BB4_5364 Depth=3
	v_mov_b32_e32 v0, v60
	v_mov_b32_e32 v1, v61
	v_bfe_u32 v2, v60, 23, 1
; %bb.6505:                             ;   in Loop: Header=BB4_5364 Depth=3
	s_or_b64 exec, exec, s[28:29]
	v_lshrrev_b64 v[0:1], 21, v[0:1]
	v_cmp_gt_i32_e32 vcc, 32, v2
	v_cndmask_b32_e32 v1, 0, v1, vcc
	v_cndmask_b32_e32 v0, 3, v0, vcc
	v_cmp_eq_u64_e64 s[28:29], 0, v[0:1]
	v_min_i32_e32 v1, 31, v2
	v_lshlrev_b32_e32 v1, 2, v1
	v_cmp_eq_u32_e32 vcc, 0, v2
	v_and_b32_e32 v1, 0xfc, v1
	v_and_or_b32 v0, v0, 3, v1
	s_and_b64 s[28:29], vcc, s[28:29]
	v_cndmask_b32_e64 v0, v0, 0, s[28:29]
	v_or_b32_e32 v0, v0, v10
.LBB4_6506:                             ;   in Loop: Header=BB4_5364 Depth=3
	s_or_b64 exec, exec, s[36:37]
                                        ; implicit-def: $vgpr10
.LBB4_6507:                             ;   in Loop: Header=BB4_5364 Depth=3
	s_andn2_saveexec_b64 s[28:29], s[34:35]
; %bb.6508:                             ;   in Loop: Header=BB4_5364 Depth=3
	v_or_b32_e32 v0, 0x7b, v10
; %bb.6509:                             ;   in Loop: Header=BB4_5364 Depth=3
	s_or_b64 exec, exec, s[28:29]
                                        ; implicit-def: $vgpr1
.LBB4_6510:                             ;   in Loop: Header=BB4_5364 Depth=3
	s_andn2_saveexec_b64 s[28:29], s[30:31]
	s_cbranch_execz .LBB4_5363
; %bb.6511:                             ;   in Loop: Header=BB4_5364 Depth=3
	v_cmp_ne_u64_e32 vcc, 0, v[60:61]
                                        ; implicit-def: $vgpr0
	s_and_saveexec_b64 s[30:31], vcc
	s_xor_b64 vcc, exec, s[30:31]
; %bb.6512:                             ;   in Loop: Header=BB4_5364 Depth=3
	v_or_b32_sdwa v0, v1, s44 dst_sel:DWORD dst_unused:UNUSED_PAD src0_sel:BYTE_3 src1_sel:DWORD
                                        ; implicit-def: $vgpr1
; %bb.6513:                             ;   in Loop: Header=BB4_5364 Depth=3
	s_andn2_saveexec_b64 s[30:31], vcc
	s_cbranch_execz .LBB4_5362
; %bb.6514:                             ;   in Loop: Header=BB4_5364 Depth=3
	v_cmp_lt_i32_e32 vcc, -1, v1
	v_bfrev_b32_e32 v0, 0.5
	v_mov_b32_e32 v1, 0x7c
	v_cndmask_b32_e32 v0, v0, v1, vcc
	s_branch .LBB4_5362
.LBB4_6515:                             ;   in Loop: Header=BB4_2871 Depth=2
	s_or_b64 exec, exec, s[42:43]
.LBB4_6516:                             ;   in Loop: Header=BB4_2871 Depth=2
	s_or_b64 exec, exec, s[40:41]
	buffer_load_dword v0, off, s[0:3], s33 offset:152 ; 4-byte Folded Reload
	v_lshlrev_b32_e32 v4, 11, v4
	s_mov_b64 s[28:29], 0
	v_mov_b32_e32 v8, 0
                                        ; implicit-def: $vgpr45
                                        ; implicit-def: $vgpr2
	s_waitcnt vmcnt(0)
	v_cmp_ne_u32_e32 vcc, v0, v4
                                        ; implicit-def: $vgpr0
	s_and_saveexec_b64 s[30:31], vcc
	s_cbranch_execz .LBB4_7068
; %bb.6517:                             ;   in Loop: Header=BB4_2871 Depth=2
	buffer_load_dword v0, off, s[0:3], s33 offset:152 ; 4-byte Folded Reload
	buffer_load_dword v2, off, s[0:3], s33 offset:228 ; 4-byte Folded Reload
	s_waitcnt vmcnt(0)
	v_sub_u32_e32 v1, v0, v4
	v_lshlrev_b32_e32 v0, 6, v3
	v_sub_u32_e32 v0, v2, v0
	v_ashrrev_i32_e32 v2, 31, v0
	v_lshrrev_b32_e32 v2, 26, v2
	v_add_u32_e32 v2, v0, v2
	v_ashrrev_i32_e32 v3, 6, v2
	v_and_b32_e32 v2, 0xffffffc0, v2
	v_sub_u32_e32 v5, v0, v2
	v_ashrrev_i32_e32 v2, 31, v1
	v_lshrrev_b32_e32 v2, 22, v2
	v_add_u32_e32 v2, v1, v2
	v_and_b32_e32 v6, 0xfffffc00, v2
	v_lshlrev_b32_e32 v0, 4, v5
	v_sub_u32_e32 v22, v1, v6
	v_lshl_add_u32 v0, v3, 10, v0
	v_ashrrev_i32_e32 v7, 10, v2
	v_cmp_lt_i32_e32 vcc, 15, v22
	v_sub_u32_e32 v23, v1, v0
	v_addc_co_u32_e64 v1, s[28:29], 0, v7, vcc
	v_sub_u32_e32 v7, v1, v3
	v_cmp_lt_i32_e64 s[28:29], 15, v23
	s_and_saveexec_b64 s[34:35], s[28:29]
	s_cbranch_execz .LBB4_7065
; %bb.6518:                             ;   in Loop: Header=BB4_2871 Depth=2
	v_add_u32_e32 v2, v0, v4
	s_trap 2
	ds_read_b64 v[0:1], v0
	buffer_load_dword v8, off, s[0:3], s33 offset:184 ; 4-byte Folded Reload
	buffer_load_dword v9, off, s[0:3], s33 offset:188 ; 4-byte Folded Reload
	v_ashrrev_i32_e32 v3, 31, v2
	s_mov_b64 s[36:37], 0
	s_waitcnt vmcnt(0)
	v_add_co_u32_e64 v16, s[28:29], v2, v8
	v_addc_co_u32_e64 v17, s[28:29], v3, v9, s[28:29]
	s_waitcnt lgkmcnt(0)
	v_add_co_u32_e64 v18, s[28:29], v0, v2
	v_addc_co_u32_e64 v19, s[28:29], v1, v3, s[28:29]
	buffer_load_dword v0, off, s[0:3], s33 offset:116 ; 4-byte Folded Reload
	buffer_load_dword v1, off, s[0:3], s33 offset:120 ; 4-byte Folded Reload
	s_waitcnt vmcnt(1)
	v_add_co_u32_e64 v20, s[28:29], v2, v0
	s_waitcnt vmcnt(0)
	v_addc_co_u32_e64 v21, s[28:29], v3, v1, s[28:29]
	s_branch .LBB4_6521
.LBB4_6519:                             ;   in Loop: Header=BB4_6521 Depth=3
	s_or_b64 exec, exec, s[42:43]
.LBB4_6520:                             ;   in Loop: Header=BB4_6521 Depth=3
	s_or_b64 exec, exec, s[40:41]
	v_lshl_or_b32 v1, v29, 8, v28
	v_lshlrev_b32_e32 v2, 16, v30
	v_lshlrev_b32_e32 v8, 24, v8
	v_or3_b32 v11, v1, v2, v8
	v_lshl_or_b32 v1, v25, 8, v24
	v_lshlrev_b32_e32 v2, 16, v26
	v_lshlrev_b32_e32 v8, 24, v27
	v_or3_b32 v10, v1, v2, v8
	;; [unrolled: 4-line block ×3, first 2 shown]
	v_lshlrev_b32_e32 v0, 24, v0
	v_lshlrev_b32_e32 v1, 16, v35
	v_lshl_or_b32 v2, v34, 8, v3
	v_or3_b32 v13, v2, v1, v0
	buffer_load_dword v0, off, s[0:3], s33 offset:68 ; 4-byte Folded Reload
	s_waitcnt vmcnt(0)
	v_add_co_u32_e64 v16, s[28:29], v16, v0
	v_addc_co_u32_e64 v17, s[28:29], 0, v17, s[28:29]
	v_add_co_u32_e64 v18, s[28:29], v18, v0
	v_addc_co_u32_e64 v19, s[28:29], 0, v19, s[28:29]
	global_store_dwordx4 v[20:21], v[10:13], off glc slc
	v_add_co_u32_e64 v20, s[28:29], v20, v0
	v_sub_u32_e32 v23, v23, v0
	buffer_load_dword v0, off, s[0:3], s33 offset:64 ; 4-byte Folded Reload
	v_addc_co_u32_e64 v21, s[28:29], 0, v21, s[28:29]
	v_cmp_gt_i32_e64 s[28:29], 16, v23
	s_or_b64 s[36:37], s[28:29], s[36:37]
	s_waitcnt vmcnt(0)
	v_sub_u32_e32 v7, v7, v0
	s_andn2_b64 exec, exec, s[36:37]
	s_cbranch_execz .LBB4_7064
.LBB4_6521:                             ;   Parent Loop BB4_47 Depth=1
                                        ;     Parent Loop BB4_2871 Depth=2
                                        ; =>    This Inner Loop Header: Depth=3
	global_load_dwordx4 v[12:15], v[16:17], off glc slc
	global_load_dwordx4 v[8:11], v[18:19], off glc slc
	v_mov_b32_e32 v0, 0
	s_waitcnt vmcnt(1)
	v_cmp_ne_u16_sdwa s[28:29], v12, v61 src0_sel:BYTE_0 src1_sel:DWORD
	s_and_saveexec_b64 s[40:41], s[28:29]
	s_cbranch_execz .LBB4_6529
; %bb.6522:                             ;   in Loop: Header=BB4_6521 Depth=3
	v_cmp_ne_u16_sdwa s[28:29], sext(v12), s70 src0_sel:BYTE_0 src1_sel:DWORD
	v_bfrev_b32_e32 v0, 1
	s_and_saveexec_b64 s[42:43], s[28:29]
	s_cbranch_execz .LBB4_6528
; %bb.6523:                             ;   in Loop: Header=BB4_6521 Depth=3
	v_and_b32_e32 v0, 0x7c, v12
	v_and_b32_e32 v1, 3, v12
	v_cmp_ne_u32_e64 s[28:29], s71, v0
                                        ; implicit-def: $vgpr0
	s_and_saveexec_b64 s[38:39], s[28:29]
	s_xor_b64 s[38:39], exec, s[38:39]
	s_cbranch_execz .LBB4_6525
; %bb.6524:                             ;   in Loop: Header=BB4_6521 Depth=3
	v_ffbh_u32_e32 v2, v1
	v_min_u32_e32 v24, 32, v2
	v_subrev_u32_e32 v2, 29, v24
	v_lshlrev_b64 v[2:3], v2, v[12:13]
	v_bfe_u32 v0, v12, 2, 5
	v_and_b32_e32 v2, 3, v2
	v_cmp_eq_u32_e64 s[28:29], 0, v0
	v_sub_u32_e32 v3, 30, v24
	v_cndmask_b32_e64 v1, v1, v2, s[28:29]
	v_lshlrev_b32_e32 v2, 24, v12
	v_cndmask_b32_e64 v0, v0, v3, s[28:29]
	v_and_b32_e32 v2, 0x80000000, v2
	v_lshl_add_u32 v0, v0, 23, v2
	v_lshl_or_b32 v0, v1, 21, v0
	v_add_u32_e32 v0, 0x38000000, v0
                                        ; implicit-def: $vgpr1
.LBB4_6525:                             ;   in Loop: Header=BB4_6521 Depth=3
	s_andn2_saveexec_b64 s[38:39], s[38:39]
; %bb.6526:                             ;   in Loop: Header=BB4_6521 Depth=3
	v_mov_b32_e32 v0, -1
	v_cmp_gt_i16_sdwa s[28:29], sext(v12), v0 src0_sel:BYTE_0 src1_sel:DWORD
	v_mov_b32_e32 v0, 0xff800000
	v_cndmask_b32_e64 v0, v0, v47, s[28:29]
	v_cmp_eq_u32_e64 s[28:29], 0, v1
	v_mov_b32_e32 v1, 0x7f800001
	v_cndmask_b32_e64 v0, v1, v0, s[28:29]
; %bb.6527:                             ;   in Loop: Header=BB4_6521 Depth=3
	s_or_b64 exec, exec, s[38:39]
.LBB4_6528:                             ;   in Loop: Header=BB4_6521 Depth=3
	s_or_b64 exec, exec, s[42:43]
.LBB4_6529:                             ;   in Loop: Header=BB4_6521 Depth=3
	s_or_b64 exec, exec, s[40:41]
	s_waitcnt vmcnt(0)
	v_cmp_gt_i16_sdwa s[40:41], v8, s44 src0_sel:BYTE_0 src1_sel:DWORD
	s_mov_b64 s[28:29], 0
	s_and_saveexec_b64 s[42:43], s[40:41]
	s_xor_b64 s[40:41], exec, s[42:43]
	s_cbranch_execz .LBB4_7044
; %bb.6530:                             ;   in Loop: Header=BB4_6521 Depth=3
	v_cmp_eq_u16_sdwa s[38:39], v8, s81 src0_sel:BYTE_0 src1_sel:DWORD
	s_mov_b64 s[28:29], -1
	s_and_saveexec_b64 s[42:43], s[38:39]
; %bb.6531:                             ;   in Loop: Header=BB4_6521 Depth=3
	s_xor_b64 s[28:29], exec, -1
; %bb.6532:                             ;   in Loop: Header=BB4_6521 Depth=3
	s_or_b64 exec, exec, s[42:43]
	s_and_b64 s[28:29], s[28:29], exec
	s_or_saveexec_b64 s[40:41], s[40:41]
	v_bfrev_b32_e32 v1, 1
	s_xor_b64 exec, exec, s[40:41]
	s_cbranch_execnz .LBB4_7045
.LBB4_6533:                             ;   in Loop: Header=BB4_6521 Depth=3
	s_or_b64 exec, exec, s[40:41]
	s_and_saveexec_b64 s[38:39], s[28:29]
	s_cbranch_execz .LBB4_6535
.LBB4_6534:                             ;   in Loop: Header=BB4_6521 Depth=3
	v_and_b32_e32 v3, 3, v8
	v_and_b32_e32 v1, 0x7c, v8
	v_cmp_eq_u32_e64 s[28:29], s71, v1
	v_ffbh_u32_e32 v1, v3
	v_min_u32_e32 v25, 32, v1
	v_subrev_u32_e32 v1, 29, v25
	v_bfe_u32 v24, v8, 2, 5
	v_lshlrev_b64 v[1:2], v1, v[8:9]
	v_cmp_eq_u32_e64 s[40:41], 0, v24
	v_sub_u32_e32 v2, 30, v25
	v_cndmask_b32_e64 v2, v24, v2, s[40:41]
	v_lshlrev_b32_e32 v24, 24, v8
	v_and_b32_e32 v1, 3, v1
	v_and_b32_e32 v24, 0x80000000, v24
	v_cndmask_b32_e64 v1, v3, v1, s[40:41]
	v_lshl_add_u32 v2, v2, 23, v24
	v_lshl_or_b32 v1, v1, 21, v2
	v_mov_b32_e32 v2, -1
	v_cmp_gt_i16_sdwa s[42:43], sext(v8), v2 src0_sel:BYTE_0 src1_sel:DWORD
	v_mov_b32_e32 v2, 0xff800000
	v_cmp_eq_u32_e64 s[40:41], 0, v3
	v_cndmask_b32_e64 v2, v2, v47, s[42:43]
	v_mov_b32_e32 v3, 0x7f800001
	v_add_u32_e32 v1, 0x38000000, v1
	v_cndmask_b32_e64 v2, v3, v2, s[40:41]
	v_cndmask_b32_e64 v1, v1, v2, s[28:29]
.LBB4_6535:                             ;   in Loop: Header=BB4_6521 Depth=3
	s_or_b64 exec, exec, s[38:39]
	v_mul_f32_e32 v0, v0, v1
	v_and_b32_e32 v1, 0x7f800000, v0
	v_mov_b32_e32 v2, v61
	v_cmp_ne_u64_e64 s[28:29], s[62:63], v[1:2]
	v_and_b32_e32 v60, 0x7fffff, v0
                                        ; implicit-def: $vgpr24
	s_and_saveexec_b64 s[40:41], s[28:29]
	s_xor_b64 s[42:43], exec, s[40:41]
	s_cbranch_execz .LBB4_6549
; %bb.6536:                             ;   in Loop: Header=BB4_6521 Depth=3
	v_and_b32_e32 v1, 0x7fffffff, v0
	v_mov_b32_e32 v2, v61
	v_cmp_gt_u64_e64 s[28:29], s[78:79], v[1:2]
	v_and_b32_sdwa v3, v0, s81 dst_sel:DWORD dst_unused:UNUSED_PAD src0_sel:BYTE_3 src1_sel:DWORD
                                        ; implicit-def: $vgpr24
	s_and_saveexec_b64 s[40:41], s[28:29]
	s_xor_b64 s[38:39], exec, s[40:41]
	s_cbranch_execz .LBB4_6546
; %bb.6537:                             ;   in Loop: Header=BB4_6521 Depth=3
	v_mov_b32_e32 v24, 0
	v_cmp_ne_u32_e64 s[28:29], 0, v0
	s_and_saveexec_b64 s[48:49], s[28:29]
	s_cbranch_execz .LBB4_6545
; %bb.6538:                             ;   in Loop: Header=BB4_6521 Depth=3
	v_bfe_u32 v24, v0, 23, 8
	v_cmp_gt_u32_e64 s[40:41], s47, v24
	v_sub_u32_e32 v0, 0x71, v24
	v_cmp_eq_u32_e64 s[28:29], 0, v24
	v_cndmask_b32_e64 v0, 0, v0, s[40:41]
	v_mov_b32_e32 v2, 0x70
	v_cndmask_b32_e64 v25, v0, v2, s[28:29]
	v_add_u32_e32 v2, 21, v25
	v_or_b32_e32 v1, 0x800000, v60
	v_lshlrev_b64 v[26:27], v2, -1
	v_cndmask_b32_e64 v0, v1, v60, s[28:29]
	v_mov_b32_e32 v1, v61
	v_add_u32_e32 v2, 20, v25
	v_bfi_b32 v26, v26, 0, v0
	v_lshlrev_b64 v[28:29], v2, 1
	v_lshrrev_b64 v[0:1], v25, v[0:1]
	v_bfi_b32 v27, v27, 0, 0
	v_cmp_eq_u64_e64 s[40:41], v[26:27], v[28:29]
	v_mov_b32_e32 v2, v1
	v_mov_b32_e32 v1, v0
	s_and_saveexec_b64 s[50:51], s[40:41]
; %bb.6539:                             ;   in Loop: Header=BB4_6521 Depth=3
	v_bfe_u32 v1, v0, 21, 1
	v_add_co_u32_e64 v1, s[40:41], v0, v1
	v_add_co_u32_e64 v1, s[40:41], -1, v1
; %bb.6540:                             ;   in Loop: Header=BB4_6521 Depth=3
	s_or_b64 exec, exec, s[50:51]
	v_add_u32_e32 v2, 0xffffff81, v24
	v_mov_b32_e32 v24, 0xffffff82
	v_cndmask_b32_e64 v2, v2, v24, s[28:29]
	v_lshrrev_b32_e32 v24, 23, v0
	v_add3_u32 v25, v25, v2, v24
	v_add_u32_e32 v24, 14, v25
	v_and_b32_e32 v1, 0x1fffff, v1
	v_add_u32_e32 v60, v1, v0
	v_cmp_ne_u32_e64 s[28:29], 0, v24
                                        ; implicit-def: $vgpr0_vgpr1
                                        ; implicit-def: $vgpr2
	s_and_saveexec_b64 s[40:41], s[28:29]
	s_xor_b64 s[40:41], exec, s[40:41]
; %bb.6541:                             ;   in Loop: Header=BB4_6521 Depth=3
	v_cmp_lt_u64_e64 s[28:29], s[88:89], v[60:61]
	v_add_u32_e32 v0, 15, v25
	v_cndmask_b32_e64 v2, v24, v0, s[28:29]
	v_cndmask_b32_e64 v0, 0, 1, s[28:29]
	v_lshrrev_b64 v[0:1], v0, v[60:61]
; %bb.6542:                             ;   in Loop: Header=BB4_6521 Depth=3
	s_andn2_saveexec_b64 s[28:29], s[40:41]
; %bb.6543:                             ;   in Loop: Header=BB4_6521 Depth=3
	v_mov_b32_e32 v0, v60
	v_mov_b32_e32 v1, v61
	v_bfe_u32 v2, v60, 23, 1
; %bb.6544:                             ;   in Loop: Header=BB4_6521 Depth=3
	s_or_b64 exec, exec, s[28:29]
	v_lshrrev_b64 v[0:1], 21, v[0:1]
	v_cmp_gt_i32_e64 s[28:29], 32, v2
	v_cndmask_b32_e64 v1, 0, v1, s[28:29]
	v_cndmask_b32_e64 v0, 3, v0, s[28:29]
	v_cmp_eq_u64_e64 s[40:41], 0, v[0:1]
	v_min_i32_e32 v1, 31, v2
	v_lshlrev_b32_e32 v1, 2, v1
	v_cmp_eq_u32_e64 s[28:29], 0, v2
	v_and_b32_e32 v1, 0xfc, v1
	v_and_or_b32 v0, v0, 3, v1
	s_and_b64 s[28:29], s[28:29], s[40:41]
	v_cndmask_b32_e64 v0, v0, 0, s[28:29]
	v_or_b32_e32 v24, v0, v3
.LBB4_6545:                             ;   in Loop: Header=BB4_6521 Depth=3
	s_or_b64 exec, exec, s[48:49]
                                        ; implicit-def: $vgpr3
.LBB4_6546:                             ;   in Loop: Header=BB4_6521 Depth=3
	s_andn2_saveexec_b64 s[28:29], s[38:39]
; %bb.6547:                             ;   in Loop: Header=BB4_6521 Depth=3
	v_or_b32_e32 v24, 0x7b, v3
; %bb.6548:                             ;   in Loop: Header=BB4_6521 Depth=3
	s_or_b64 exec, exec, s[28:29]
                                        ; implicit-def: $vgpr0
.LBB4_6549:                             ;   in Loop: Header=BB4_6521 Depth=3
	s_andn2_saveexec_b64 s[40:41], s[42:43]
	s_cbranch_execz .LBB4_6555
; %bb.6550:                             ;   in Loop: Header=BB4_6521 Depth=3
	v_cmp_ne_u64_e64 s[28:29], 0, v[60:61]
                                        ; implicit-def: $vgpr24
	s_and_saveexec_b64 s[42:43], s[28:29]
	s_xor_b64 s[28:29], exec, s[42:43]
; %bb.6551:                             ;   in Loop: Header=BB4_6521 Depth=3
	v_or_b32_sdwa v24, v0, s44 dst_sel:DWORD dst_unused:UNUSED_PAD src0_sel:BYTE_3 src1_sel:DWORD
                                        ; implicit-def: $vgpr0
; %bb.6552:                             ;   in Loop: Header=BB4_6521 Depth=3
	s_andn2_saveexec_b64 s[42:43], s[28:29]
; %bb.6553:                             ;   in Loop: Header=BB4_6521 Depth=3
	v_cmp_lt_i32_e64 s[28:29], -1, v0
	v_bfrev_b32_e32 v0, 0.5
	v_mov_b32_e32 v1, 0x7c
	v_cndmask_b32_e64 v24, v0, v1, s[28:29]
; %bb.6554:                             ;   in Loop: Header=BB4_6521 Depth=3
	s_or_b64 exec, exec, s[42:43]
.LBB4_6555:                             ;   in Loop: Header=BB4_6521 Depth=3
	s_or_b64 exec, exec, s[40:41]
	v_lshrrev_b16_e32 v0, 8, v12
	v_cmp_ne_u16_e64 s[28:29], 0, v0
	v_mov_b32_e32 v2, 0
	s_and_saveexec_b64 s[40:41], s[28:29]
	s_cbranch_execz .LBB4_6563
; %bb.6556:                             ;   in Loop: Header=BB4_6521 Depth=3
	v_cmp_ne_u16_e64 s[28:29], s81, v0
	v_bfrev_b32_e32 v2, 1
	s_and_saveexec_b64 s[42:43], s[28:29]
	s_cbranch_execz .LBB4_6562
; %bb.6557:                             ;   in Loop: Header=BB4_6521 Depth=3
	v_and_b32_e32 v1, 0x7c, v0
	v_and_b32_e32 v3, 3, v0
	v_cmp_ne_u32_e64 s[28:29], s71, v1
                                        ; implicit-def: $vgpr2
	s_and_saveexec_b64 s[38:39], s[28:29]
	s_xor_b64 s[38:39], exec, s[38:39]
	s_cbranch_execz .LBB4_6559
; %bb.6558:                             ;   in Loop: Header=BB4_6521 Depth=3
	v_ffbh_u32_e32 v25, v3
	v_min_u32_e32 v25, 32, v25
	v_mov_b32_e32 v1, v61
	v_subrev_u32_e32 v26, 29, v25
	v_bfe_u32 v2, v0, 2, 5
	v_lshlrev_b64 v[0:1], v26, v[0:1]
	v_sub_u32_e32 v1, 30, v25
	v_cmp_eq_u32_e64 s[28:29], 0, v2
	v_cndmask_b32_e64 v1, v2, v1, s[28:29]
	v_lshlrev_b32_e32 v2, 16, v12
	v_and_b32_e32 v0, 3, v0
	v_and_b32_e32 v2, 0x80000000, v2
	v_cndmask_b32_e64 v0, v3, v0, s[28:29]
	v_lshl_add_u32 v1, v1, 23, v2
	v_lshl_or_b32 v0, v0, 21, v1
	v_add_u32_e32 v2, 0x38000000, v0
                                        ; implicit-def: $vgpr3
.LBB4_6559:                             ;   in Loop: Header=BB4_6521 Depth=3
	s_andn2_saveexec_b64 s[38:39], s[38:39]
; %bb.6560:                             ;   in Loop: Header=BB4_6521 Depth=3
	v_cmp_lt_i16_e64 s[28:29], -1, v12
	v_mov_b32_e32 v0, 0xff800000
	v_cndmask_b32_e64 v0, v0, v47, s[28:29]
	v_cmp_eq_u32_e64 s[28:29], 0, v3
	v_mov_b32_e32 v1, 0x7f800001
	v_cndmask_b32_e64 v2, v1, v0, s[28:29]
; %bb.6561:                             ;   in Loop: Header=BB4_6521 Depth=3
	s_or_b64 exec, exec, s[38:39]
.LBB4_6562:                             ;   in Loop: Header=BB4_6521 Depth=3
	s_or_b64 exec, exec, s[42:43]
.LBB4_6563:                             ;   in Loop: Header=BB4_6521 Depth=3
	s_or_b64 exec, exec, s[40:41]
	v_lshrrev_b16_e32 v0, 8, v8
	v_cmp_lt_i16_e64 s[28:29], s44, v0
	s_mov_b64 s[40:41], 0
	s_and_saveexec_b64 s[42:43], s[28:29]
	s_xor_b64 s[42:43], exec, s[42:43]
	s_cbranch_execz .LBB4_7046
; %bb.6564:                             ;   in Loop: Header=BB4_6521 Depth=3
	v_cmp_eq_u16_e64 s[28:29], s81, v0
	s_mov_b64 s[40:41], -1
	s_and_saveexec_b64 s[38:39], s[28:29]
; %bb.6565:                             ;   in Loop: Header=BB4_6521 Depth=3
	s_xor_b64 s[40:41], exec, -1
; %bb.6566:                             ;   in Loop: Header=BB4_6521 Depth=3
	s_or_b64 exec, exec, s[38:39]
	s_and_b64 s[40:41], s[40:41], exec
	s_or_saveexec_b64 s[42:43], s[42:43]
	v_bfrev_b32_e32 v1, 1
	s_xor_b64 exec, exec, s[42:43]
	s_cbranch_execnz .LBB4_7047
.LBB4_6567:                             ;   in Loop: Header=BB4_6521 Depth=3
	s_or_b64 exec, exec, s[42:43]
	s_and_saveexec_b64 s[38:39], s[40:41]
	s_cbranch_execz .LBB4_6569
.LBB4_6568:                             ;   in Loop: Header=BB4_6521 Depth=3
	v_and_b32_e32 v3, 3, v0
	v_and_b32_e32 v25, 0x7c, v0
	v_cmp_eq_u32_e64 s[28:29], s71, v25
	v_ffbh_u32_e32 v25, v3
	v_min_u32_e32 v28, 32, v25
	v_mov_b32_e32 v1, v61
	v_subrev_u32_e32 v25, 29, v28
	v_bfe_u32 v27, v0, 2, 5
	v_lshlrev_b64 v[25:26], v25, v[0:1]
	v_cmp_eq_u32_e64 s[40:41], 0, v27
	v_sub_u32_e32 v1, 30, v28
	v_lshlrev_b32_e32 v0, 24, v0
	v_and_b32_e32 v25, 3, v25
	v_cndmask_b32_e64 v1, v27, v1, s[40:41]
	v_and_b32_e32 v0, 0x80000000, v0
	v_cndmask_b32_e64 v25, v3, v25, s[40:41]
	v_lshl_add_u32 v0, v1, 23, v0
	v_cmp_lt_i16_e64 s[42:43], -1, v8
	v_mov_b32_e32 v1, 0xff800000
	v_lshl_or_b32 v0, v25, 21, v0
	v_cmp_eq_u32_e64 s[40:41], 0, v3
	v_cndmask_b32_e64 v1, v1, v47, s[42:43]
	v_mov_b32_e32 v3, 0x7f800001
	v_add_u32_e32 v0, 0x38000000, v0
	v_cndmask_b32_e64 v1, v3, v1, s[40:41]
	v_cndmask_b32_e64 v1, v0, v1, s[28:29]
.LBB4_6569:                             ;   in Loop: Header=BB4_6521 Depth=3
	s_or_b64 exec, exec, s[38:39]
	v_mul_f32_e32 v0, v2, v1
	v_and_b32_e32 v1, 0x7f800000, v0
	v_mov_b32_e32 v2, v61
	v_cmp_ne_u64_e64 s[28:29], s[62:63], v[1:2]
	v_and_b32_e32 v60, 0x7fffff, v0
                                        ; implicit-def: $vgpr25
	s_and_saveexec_b64 s[40:41], s[28:29]
	s_xor_b64 s[42:43], exec, s[40:41]
	s_cbranch_execz .LBB4_6583
; %bb.6570:                             ;   in Loop: Header=BB4_6521 Depth=3
	v_and_b32_e32 v1, 0x7fffffff, v0
	v_mov_b32_e32 v2, v61
	v_cmp_gt_u64_e64 s[28:29], s[78:79], v[1:2]
	v_and_b32_sdwa v3, v0, s81 dst_sel:DWORD dst_unused:UNUSED_PAD src0_sel:BYTE_3 src1_sel:DWORD
                                        ; implicit-def: $vgpr25
	s_and_saveexec_b64 s[40:41], s[28:29]
	s_xor_b64 s[38:39], exec, s[40:41]
	s_cbranch_execz .LBB4_6580
; %bb.6571:                             ;   in Loop: Header=BB4_6521 Depth=3
	v_mov_b32_e32 v25, 0
	v_cmp_ne_u32_e64 s[28:29], 0, v0
	s_and_saveexec_b64 s[48:49], s[28:29]
	s_cbranch_execz .LBB4_6579
; %bb.6572:                             ;   in Loop: Header=BB4_6521 Depth=3
	v_bfe_u32 v25, v0, 23, 8
	v_cmp_gt_u32_e64 s[40:41], s47, v25
	v_sub_u32_e32 v0, 0x71, v25
	v_cmp_eq_u32_e64 s[28:29], 0, v25
	v_cndmask_b32_e64 v0, 0, v0, s[40:41]
	v_mov_b32_e32 v2, 0x70
	v_cndmask_b32_e64 v26, v0, v2, s[28:29]
	v_add_u32_e32 v2, 21, v26
	v_or_b32_e32 v1, 0x800000, v60
	v_lshlrev_b64 v[27:28], v2, -1
	v_cndmask_b32_e64 v0, v1, v60, s[28:29]
	v_mov_b32_e32 v1, v61
	v_add_u32_e32 v2, 20, v26
	v_bfi_b32 v27, v27, 0, v0
	v_lshlrev_b64 v[29:30], v2, 1
	v_lshrrev_b64 v[0:1], v26, v[0:1]
	v_bfi_b32 v28, v28, 0, 0
	v_cmp_eq_u64_e64 s[40:41], v[27:28], v[29:30]
	v_mov_b32_e32 v2, v1
	v_mov_b32_e32 v1, v0
	s_and_saveexec_b64 s[50:51], s[40:41]
; %bb.6573:                             ;   in Loop: Header=BB4_6521 Depth=3
	v_bfe_u32 v1, v0, 21, 1
	v_add_co_u32_e64 v1, s[40:41], v0, v1
	v_add_co_u32_e64 v1, s[40:41], -1, v1
; %bb.6574:                             ;   in Loop: Header=BB4_6521 Depth=3
	s_or_b64 exec, exec, s[50:51]
	v_add_u32_e32 v2, 0xffffff81, v25
	v_mov_b32_e32 v25, 0xffffff82
	v_cndmask_b32_e64 v2, v2, v25, s[28:29]
	v_lshrrev_b32_e32 v25, 23, v0
	v_add3_u32 v26, v26, v2, v25
	v_add_u32_e32 v25, 14, v26
	v_and_b32_e32 v1, 0x1fffff, v1
	v_add_u32_e32 v60, v1, v0
	v_cmp_ne_u32_e64 s[28:29], 0, v25
                                        ; implicit-def: $vgpr0_vgpr1
                                        ; implicit-def: $vgpr2
	s_and_saveexec_b64 s[40:41], s[28:29]
	s_xor_b64 s[40:41], exec, s[40:41]
; %bb.6575:                             ;   in Loop: Header=BB4_6521 Depth=3
	v_cmp_lt_u64_e64 s[28:29], s[88:89], v[60:61]
	v_add_u32_e32 v0, 15, v26
	v_cndmask_b32_e64 v2, v25, v0, s[28:29]
	v_cndmask_b32_e64 v0, 0, 1, s[28:29]
	v_lshrrev_b64 v[0:1], v0, v[60:61]
; %bb.6576:                             ;   in Loop: Header=BB4_6521 Depth=3
	s_andn2_saveexec_b64 s[28:29], s[40:41]
; %bb.6577:                             ;   in Loop: Header=BB4_6521 Depth=3
	v_mov_b32_e32 v0, v60
	v_mov_b32_e32 v1, v61
	v_bfe_u32 v2, v60, 23, 1
; %bb.6578:                             ;   in Loop: Header=BB4_6521 Depth=3
	s_or_b64 exec, exec, s[28:29]
	v_lshrrev_b64 v[0:1], 21, v[0:1]
	v_cmp_gt_i32_e64 s[28:29], 32, v2
	v_cndmask_b32_e64 v1, 0, v1, s[28:29]
	v_cndmask_b32_e64 v0, 3, v0, s[28:29]
	v_cmp_eq_u64_e64 s[40:41], 0, v[0:1]
	v_min_i32_e32 v1, 31, v2
	v_lshlrev_b32_e32 v1, 2, v1
	v_cmp_eq_u32_e64 s[28:29], 0, v2
	v_and_b32_e32 v1, 0xfc, v1
	v_and_or_b32 v0, v0, 3, v1
	s_and_b64 s[28:29], s[28:29], s[40:41]
	v_cndmask_b32_e64 v0, v0, 0, s[28:29]
	v_or_b32_e32 v25, v0, v3
.LBB4_6579:                             ;   in Loop: Header=BB4_6521 Depth=3
	s_or_b64 exec, exec, s[48:49]
                                        ; implicit-def: $vgpr3
.LBB4_6580:                             ;   in Loop: Header=BB4_6521 Depth=3
	s_andn2_saveexec_b64 s[28:29], s[38:39]
; %bb.6581:                             ;   in Loop: Header=BB4_6521 Depth=3
	v_or_b32_e32 v25, 0x7b, v3
; %bb.6582:                             ;   in Loop: Header=BB4_6521 Depth=3
	s_or_b64 exec, exec, s[28:29]
                                        ; implicit-def: $vgpr0
.LBB4_6583:                             ;   in Loop: Header=BB4_6521 Depth=3
	s_andn2_saveexec_b64 s[40:41], s[42:43]
	s_cbranch_execz .LBB4_6589
; %bb.6584:                             ;   in Loop: Header=BB4_6521 Depth=3
	v_cmp_ne_u64_e64 s[28:29], 0, v[60:61]
                                        ; implicit-def: $vgpr25
	s_and_saveexec_b64 s[42:43], s[28:29]
	s_xor_b64 s[28:29], exec, s[42:43]
; %bb.6585:                             ;   in Loop: Header=BB4_6521 Depth=3
	v_or_b32_sdwa v25, v0, s44 dst_sel:DWORD dst_unused:UNUSED_PAD src0_sel:BYTE_3 src1_sel:DWORD
                                        ; implicit-def: $vgpr0
; %bb.6586:                             ;   in Loop: Header=BB4_6521 Depth=3
	s_andn2_saveexec_b64 s[42:43], s[28:29]
; %bb.6587:                             ;   in Loop: Header=BB4_6521 Depth=3
	v_cmp_lt_i32_e64 s[28:29], -1, v0
	v_bfrev_b32_e32 v0, 0.5
	v_mov_b32_e32 v1, 0x7c
	v_cndmask_b32_e64 v25, v0, v1, s[28:29]
; %bb.6588:                             ;   in Loop: Header=BB4_6521 Depth=3
	s_or_b64 exec, exec, s[42:43]
.LBB4_6589:                             ;   in Loop: Header=BB4_6521 Depth=3
	s_or_b64 exec, exec, s[40:41]
	v_lshrrev_b32_e32 v0, 16, v12
	v_cmp_ne_u16_sdwa s[28:29], v0, v61 src0_sel:BYTE_0 src1_sel:DWORD
	v_mov_b32_e32 v1, 0
	s_and_saveexec_b64 s[40:41], s[28:29]
	s_cbranch_execz .LBB4_6597
; %bb.6590:                             ;   in Loop: Header=BB4_6521 Depth=3
	v_cmp_ne_u16_sdwa s[28:29], v0, s81 src0_sel:BYTE_0 src1_sel:DWORD
	v_bfrev_b32_e32 v1, 1
	s_and_saveexec_b64 s[42:43], s[28:29]
	s_cbranch_execz .LBB4_6596
; %bb.6591:                             ;   in Loop: Header=BB4_6521 Depth=3
	v_and_b32_e32 v1, 0x7c0000, v12
	v_bfe_u32 v2, v12, 16, 2
	v_cmp_ne_u32_e64 s[28:29], s45, v1
                                        ; implicit-def: $vgpr1
	s_and_saveexec_b64 s[38:39], s[28:29]
	s_xor_b64 s[38:39], exec, s[38:39]
	s_cbranch_execz .LBB4_6593
; %bb.6592:                             ;   in Loop: Header=BB4_6521 Depth=3
	v_ffbh_u32_e32 v1, v2
	v_min_u32_e32 v26, 32, v1
	v_subrev_u32_e32 v1, 29, v26
	v_lshlrev_b64 v[0:1], v1, v[0:1]
	v_bfe_u32 v3, v12, 18, 5
	v_and_b32_e32 v0, 3, v0
	v_cmp_eq_u32_e64 s[28:29], 0, v3
	v_sub_u32_e32 v1, 30, v26
	v_cndmask_b32_e64 v0, v2, v0, s[28:29]
	v_lshlrev_b32_e32 v2, 8, v12
	v_cndmask_b32_e64 v1, v3, v1, s[28:29]
	v_and_b32_e32 v2, 0x80000000, v2
	v_lshl_add_u32 v1, v1, 23, v2
	v_lshl_or_b32 v0, v0, 21, v1
	v_add_u32_e32 v1, 0x38000000, v0
                                        ; implicit-def: $vgpr2
                                        ; implicit-def: $vgpr0
.LBB4_6593:                             ;   in Loop: Header=BB4_6521 Depth=3
	s_andn2_saveexec_b64 s[38:39], s[38:39]
; %bb.6594:                             ;   in Loop: Header=BB4_6521 Depth=3
	v_mov_b32_e32 v1, -1
	v_cmp_gt_i16_sdwa s[28:29], sext(v0), v1 src0_sel:BYTE_0 src1_sel:DWORD
	v_mov_b32_e32 v0, 0xff800000
	v_cndmask_b32_e64 v0, v0, v47, s[28:29]
	v_cmp_eq_u32_e64 s[28:29], 0, v2
	v_mov_b32_e32 v1, 0x7f800001
	v_cndmask_b32_e64 v1, v1, v0, s[28:29]
; %bb.6595:                             ;   in Loop: Header=BB4_6521 Depth=3
	s_or_b64 exec, exec, s[38:39]
.LBB4_6596:                             ;   in Loop: Header=BB4_6521 Depth=3
	s_or_b64 exec, exec, s[42:43]
.LBB4_6597:                             ;   in Loop: Header=BB4_6521 Depth=3
	s_or_b64 exec, exec, s[40:41]
	v_lshrrev_b32_e32 v0, 16, v8
	v_cmp_gt_i16_sdwa s[40:41], v0, s44 src0_sel:BYTE_0 src1_sel:DWORD
	s_mov_b64 s[28:29], 0
	s_and_saveexec_b64 s[42:43], s[40:41]
	s_xor_b64 s[40:41], exec, s[42:43]
	s_cbranch_execz .LBB4_7048
; %bb.6598:                             ;   in Loop: Header=BB4_6521 Depth=3
	v_cmp_eq_u16_sdwa s[38:39], v0, s81 src0_sel:BYTE_0 src1_sel:DWORD
	s_mov_b64 s[28:29], -1
	s_and_saveexec_b64 s[42:43], s[38:39]
; %bb.6599:                             ;   in Loop: Header=BB4_6521 Depth=3
	s_xor_b64 s[28:29], exec, -1
; %bb.6600:                             ;   in Loop: Header=BB4_6521 Depth=3
	s_or_b64 exec, exec, s[42:43]
	s_and_b64 s[28:29], s[28:29], exec
	s_or_saveexec_b64 s[40:41], s[40:41]
	v_bfrev_b32_e32 v2, 1
	s_xor_b64 exec, exec, s[40:41]
	s_cbranch_execnz .LBB4_7049
.LBB4_6601:                             ;   in Loop: Header=BB4_6521 Depth=3
	s_or_b64 exec, exec, s[40:41]
	s_and_saveexec_b64 s[38:39], s[28:29]
	s_cbranch_execz .LBB4_6603
.LBB4_6602:                             ;   in Loop: Header=BB4_6521 Depth=3
	v_and_b32_e32 v26, 3, v0
	v_and_b32_e32 v2, 0x7c0000, v8
	v_cmp_eq_u32_e64 s[28:29], s45, v2
	v_ffbh_u32_e32 v2, v26
	v_min_u32_e32 v28, 32, v2
	v_subrev_u32_e32 v2, 29, v28
	v_bfe_u32 v27, v8, 18, 5
	v_lshlrev_b64 v[2:3], v2, v[0:1]
	v_cmp_eq_u32_e64 s[40:41], 0, v27
	v_sub_u32_e32 v3, 30, v28
	v_cndmask_b32_e64 v3, v27, v3, s[40:41]
	v_lshlrev_b32_e32 v27, 24, v0
	v_and_b32_e32 v2, 3, v2
	v_and_b32_e32 v27, 0x80000000, v27
	v_cndmask_b32_e64 v2, v26, v2, s[40:41]
	v_lshl_add_u32 v3, v3, 23, v27
	v_lshl_or_b32 v2, v2, 21, v3
	v_mov_b32_e32 v3, -1
	v_cmp_gt_i16_sdwa s[42:43], sext(v0), v3 src0_sel:BYTE_0 src1_sel:DWORD
	v_mov_b32_e32 v0, 0xff800000
	v_cmp_eq_u32_e64 s[40:41], 0, v26
	v_cndmask_b32_e64 v0, v0, v47, s[42:43]
	v_mov_b32_e32 v3, 0x7f800001
	v_add_u32_e32 v2, 0x38000000, v2
	v_cndmask_b32_e64 v0, v3, v0, s[40:41]
	v_cndmask_b32_e64 v2, v2, v0, s[28:29]
.LBB4_6603:                             ;   in Loop: Header=BB4_6521 Depth=3
	s_or_b64 exec, exec, s[38:39]
	v_mul_f32_e32 v0, v1, v2
	v_and_b32_e32 v1, 0x7f800000, v0
	v_mov_b32_e32 v2, v61
	v_cmp_ne_u64_e64 s[28:29], s[62:63], v[1:2]
	v_and_b32_e32 v60, 0x7fffff, v0
                                        ; implicit-def: $vgpr26
	s_and_saveexec_b64 s[40:41], s[28:29]
	s_xor_b64 s[42:43], exec, s[40:41]
	s_cbranch_execz .LBB4_6617
; %bb.6604:                             ;   in Loop: Header=BB4_6521 Depth=3
	v_and_b32_e32 v1, 0x7fffffff, v0
	v_mov_b32_e32 v2, v61
	v_cmp_gt_u64_e64 s[28:29], s[78:79], v[1:2]
	v_and_b32_sdwa v3, v0, s81 dst_sel:DWORD dst_unused:UNUSED_PAD src0_sel:BYTE_3 src1_sel:DWORD
                                        ; implicit-def: $vgpr26
	s_and_saveexec_b64 s[40:41], s[28:29]
	s_xor_b64 s[38:39], exec, s[40:41]
	s_cbranch_execz .LBB4_6614
; %bb.6605:                             ;   in Loop: Header=BB4_6521 Depth=3
	v_mov_b32_e32 v26, 0
	v_cmp_ne_u32_e64 s[28:29], 0, v0
	s_and_saveexec_b64 s[48:49], s[28:29]
	s_cbranch_execz .LBB4_6613
; %bb.6606:                             ;   in Loop: Header=BB4_6521 Depth=3
	v_bfe_u32 v26, v0, 23, 8
	v_cmp_gt_u32_e64 s[40:41], s47, v26
	v_sub_u32_e32 v0, 0x71, v26
	v_cmp_eq_u32_e64 s[28:29], 0, v26
	v_cndmask_b32_e64 v0, 0, v0, s[40:41]
	v_mov_b32_e32 v2, 0x70
	v_cndmask_b32_e64 v27, v0, v2, s[28:29]
	v_add_u32_e32 v2, 21, v27
	v_or_b32_e32 v1, 0x800000, v60
	v_lshlrev_b64 v[28:29], v2, -1
	v_cndmask_b32_e64 v0, v1, v60, s[28:29]
	v_mov_b32_e32 v1, v61
	v_add_u32_e32 v2, 20, v27
	v_bfi_b32 v28, v28, 0, v0
	v_lshlrev_b64 v[30:31], v2, 1
	v_lshrrev_b64 v[0:1], v27, v[0:1]
	v_bfi_b32 v29, v29, 0, 0
	v_cmp_eq_u64_e64 s[40:41], v[28:29], v[30:31]
	v_mov_b32_e32 v2, v1
	v_mov_b32_e32 v1, v0
	s_and_saveexec_b64 s[50:51], s[40:41]
; %bb.6607:                             ;   in Loop: Header=BB4_6521 Depth=3
	v_bfe_u32 v1, v0, 21, 1
	v_add_co_u32_e64 v1, s[40:41], v0, v1
	v_add_co_u32_e64 v1, s[40:41], -1, v1
; %bb.6608:                             ;   in Loop: Header=BB4_6521 Depth=3
	s_or_b64 exec, exec, s[50:51]
	v_add_u32_e32 v2, 0xffffff81, v26
	v_mov_b32_e32 v26, 0xffffff82
	v_cndmask_b32_e64 v2, v2, v26, s[28:29]
	v_lshrrev_b32_e32 v26, 23, v0
	v_add3_u32 v27, v27, v2, v26
	v_add_u32_e32 v26, 14, v27
	v_and_b32_e32 v1, 0x1fffff, v1
	v_add_u32_e32 v60, v1, v0
	v_cmp_ne_u32_e64 s[28:29], 0, v26
                                        ; implicit-def: $vgpr0_vgpr1
                                        ; implicit-def: $vgpr2
	s_and_saveexec_b64 s[40:41], s[28:29]
	s_xor_b64 s[40:41], exec, s[40:41]
; %bb.6609:                             ;   in Loop: Header=BB4_6521 Depth=3
	v_cmp_lt_u64_e64 s[28:29], s[88:89], v[60:61]
	v_add_u32_e32 v0, 15, v27
	v_cndmask_b32_e64 v2, v26, v0, s[28:29]
	v_cndmask_b32_e64 v0, 0, 1, s[28:29]
	v_lshrrev_b64 v[0:1], v0, v[60:61]
; %bb.6610:                             ;   in Loop: Header=BB4_6521 Depth=3
	s_andn2_saveexec_b64 s[28:29], s[40:41]
; %bb.6611:                             ;   in Loop: Header=BB4_6521 Depth=3
	v_mov_b32_e32 v0, v60
	v_mov_b32_e32 v1, v61
	v_bfe_u32 v2, v60, 23, 1
; %bb.6612:                             ;   in Loop: Header=BB4_6521 Depth=3
	s_or_b64 exec, exec, s[28:29]
	v_lshrrev_b64 v[0:1], 21, v[0:1]
	v_cmp_gt_i32_e64 s[28:29], 32, v2
	v_cndmask_b32_e64 v1, 0, v1, s[28:29]
	v_cndmask_b32_e64 v0, 3, v0, s[28:29]
	v_cmp_eq_u64_e64 s[40:41], 0, v[0:1]
	v_min_i32_e32 v1, 31, v2
	v_lshlrev_b32_e32 v1, 2, v1
	v_cmp_eq_u32_e64 s[28:29], 0, v2
	v_and_b32_e32 v1, 0xfc, v1
	v_and_or_b32 v0, v0, 3, v1
	s_and_b64 s[28:29], s[28:29], s[40:41]
	v_cndmask_b32_e64 v0, v0, 0, s[28:29]
	v_or_b32_e32 v26, v0, v3
.LBB4_6613:                             ;   in Loop: Header=BB4_6521 Depth=3
	s_or_b64 exec, exec, s[48:49]
                                        ; implicit-def: $vgpr3
.LBB4_6614:                             ;   in Loop: Header=BB4_6521 Depth=3
	s_andn2_saveexec_b64 s[28:29], s[38:39]
; %bb.6615:                             ;   in Loop: Header=BB4_6521 Depth=3
	v_or_b32_e32 v26, 0x7b, v3
; %bb.6616:                             ;   in Loop: Header=BB4_6521 Depth=3
	s_or_b64 exec, exec, s[28:29]
                                        ; implicit-def: $vgpr0
.LBB4_6617:                             ;   in Loop: Header=BB4_6521 Depth=3
	s_andn2_saveexec_b64 s[40:41], s[42:43]
	s_cbranch_execz .LBB4_6623
; %bb.6618:                             ;   in Loop: Header=BB4_6521 Depth=3
	v_cmp_ne_u64_e64 s[28:29], 0, v[60:61]
                                        ; implicit-def: $vgpr26
	s_and_saveexec_b64 s[42:43], s[28:29]
	s_xor_b64 s[28:29], exec, s[42:43]
; %bb.6619:                             ;   in Loop: Header=BB4_6521 Depth=3
	v_or_b32_sdwa v26, v0, s44 dst_sel:DWORD dst_unused:UNUSED_PAD src0_sel:BYTE_3 src1_sel:DWORD
                                        ; implicit-def: $vgpr0
; %bb.6620:                             ;   in Loop: Header=BB4_6521 Depth=3
	s_andn2_saveexec_b64 s[42:43], s[28:29]
; %bb.6621:                             ;   in Loop: Header=BB4_6521 Depth=3
	v_cmp_lt_i32_e64 s[28:29], -1, v0
	v_bfrev_b32_e32 v0, 0.5
	v_mov_b32_e32 v1, 0x7c
	v_cndmask_b32_e64 v26, v0, v1, s[28:29]
; %bb.6622:                             ;   in Loop: Header=BB4_6521 Depth=3
	s_or_b64 exec, exec, s[42:43]
.LBB4_6623:                             ;   in Loop: Header=BB4_6521 Depth=3
	s_or_b64 exec, exec, s[40:41]
	v_cmp_lt_u32_e64 s[28:29], s57, v12
	v_mov_b32_e32 v1, 0
	s_and_saveexec_b64 s[40:41], s[28:29]
	s_cbranch_execz .LBB4_6631
; %bb.6624:                             ;   in Loop: Header=BB4_6521 Depth=3
	v_lshrrev_b32_e32 v0, 24, v12
	v_cmp_ne_u32_e64 s[28:29], s81, v0
	v_bfrev_b32_e32 v1, 1
	s_and_saveexec_b64 s[42:43], s[28:29]
	s_cbranch_execz .LBB4_6630
; %bb.6625:                             ;   in Loop: Header=BB4_6521 Depth=3
	v_and_b32_e32 v1, 0x7c000000, v12
	v_bfe_u32 v2, v12, 24, 2
	v_cmp_ne_u32_e64 s[28:29], s82, v1
                                        ; implicit-def: $vgpr1
	s_and_saveexec_b64 s[38:39], s[28:29]
	s_xor_b64 s[38:39], exec, s[38:39]
	s_cbranch_execz .LBB4_6627
; %bb.6626:                             ;   in Loop: Header=BB4_6521 Depth=3
	v_ffbh_u32_e32 v1, v2
	v_min_u32_e32 v27, 32, v1
	v_subrev_u32_e32 v1, 29, v27
	v_lshlrev_b64 v[0:1], v1, v[0:1]
	v_bfe_u32 v3, v12, 26, 5
	v_sub_u32_e32 v1, 30, v27
	v_and_b32_e32 v0, 3, v0
	v_cmp_eq_u32_e64 s[28:29], 0, v3
	v_cndmask_b32_e64 v1, v3, v1, s[28:29]
	v_cndmask_b32_e64 v0, v2, v0, s[28:29]
	v_and_b32_e32 v2, 0x80000000, v12
	v_lshl_add_u32 v1, v1, 23, v2
	v_lshl_or_b32 v0, v0, 21, v1
	v_add_u32_e32 v1, 0x38000000, v0
                                        ; implicit-def: $vgpr2
.LBB4_6627:                             ;   in Loop: Header=BB4_6521 Depth=3
	s_andn2_saveexec_b64 s[38:39], s[38:39]
; %bb.6628:                             ;   in Loop: Header=BB4_6521 Depth=3
	v_cmp_lt_i32_e64 s[28:29], -1, v12
	v_mov_b32_e32 v0, 0xff800000
	v_cndmask_b32_e64 v0, v0, v47, s[28:29]
	v_cmp_eq_u32_e64 s[28:29], 0, v2
	v_mov_b32_e32 v1, 0x7f800001
	v_cndmask_b32_e64 v1, v1, v0, s[28:29]
; %bb.6629:                             ;   in Loop: Header=BB4_6521 Depth=3
	s_or_b64 exec, exec, s[38:39]
.LBB4_6630:                             ;   in Loop: Header=BB4_6521 Depth=3
	s_or_b64 exec, exec, s[42:43]
.LBB4_6631:                             ;   in Loop: Header=BB4_6521 Depth=3
	s_or_b64 exec, exec, s[40:41]
	v_bfe_u32 v27, v8, 24, 2
	v_and_b32_e32 v2, 0x7c000000, v8
	v_cmp_eq_u32_e64 s[28:29], s82, v2
	v_ffbh_u32_e32 v2, v27
	v_min_u32_e32 v29, 32, v2
	v_lshrrev_b32_e32 v0, 24, v8
	v_subrev_u32_e32 v2, 29, v29
	v_bfe_u32 v28, v8, 26, 5
	v_lshlrev_b64 v[2:3], v2, v[0:1]
	v_cmp_eq_u32_e64 s[40:41], 0, v28
	v_sub_u32_e32 v3, 30, v29
	v_and_b32_e32 v2, 3, v2
	v_cndmask_b32_e64 v3, v28, v3, s[40:41]
	v_and_b32_e32 v28, 0x80000000, v8
	v_cndmask_b32_e64 v2, v27, v2, s[40:41]
	v_lshl_add_u32 v3, v3, 23, v28
	v_lshl_or_b32 v2, v2, 21, v3
	v_cmp_lt_i32_e64 s[42:43], -1, v8
	v_mov_b32_e32 v3, 0xff800000
	v_cmp_eq_u32_e64 s[40:41], 0, v27
	v_cndmask_b32_e64 v3, v3, v47, s[42:43]
	v_mov_b32_e32 v27, 0x7f800001
	v_add_u32_e32 v2, 0x38000000, v2
	v_cndmask_b32_e64 v3, v27, v3, s[40:41]
	v_cndmask_b32_e64 v2, v2, v3, s[28:29]
	v_cmp_ne_u32_e64 s[28:29], s81, v0
	v_bfrev_b32_e32 v0, 1
	v_cndmask_b32_e64 v0, v0, v2, s[28:29]
	v_cmp_lt_u32_e64 s[28:29], s57, v8
	v_cndmask_b32_e64 v0, 0, v0, s[28:29]
	v_mul_f32_e32 v0, v0, v1
	v_and_b32_e32 v1, 0x7f800000, v0
	v_mov_b32_e32 v2, v61
	v_cmp_ne_u64_e64 s[28:29], s[62:63], v[1:2]
	v_and_b32_e32 v60, 0x7fffff, v0
                                        ; implicit-def: $vgpr27
	s_and_saveexec_b64 s[40:41], s[28:29]
	s_xor_b64 s[42:43], exec, s[40:41]
	s_cbranch_execz .LBB4_6645
; %bb.6632:                             ;   in Loop: Header=BB4_6521 Depth=3
	v_and_b32_e32 v1, 0x7fffffff, v0
	v_mov_b32_e32 v2, v61
	v_cmp_gt_u64_e64 s[28:29], s[78:79], v[1:2]
	v_and_b32_sdwa v3, v0, s81 dst_sel:DWORD dst_unused:UNUSED_PAD src0_sel:BYTE_3 src1_sel:DWORD
                                        ; implicit-def: $vgpr27
	s_and_saveexec_b64 s[40:41], s[28:29]
	s_xor_b64 s[38:39], exec, s[40:41]
	s_cbranch_execz .LBB4_6642
; %bb.6633:                             ;   in Loop: Header=BB4_6521 Depth=3
	v_mov_b32_e32 v27, 0
	v_cmp_ne_u32_e64 s[28:29], 0, v0
	s_and_saveexec_b64 s[48:49], s[28:29]
	s_cbranch_execz .LBB4_6641
; %bb.6634:                             ;   in Loop: Header=BB4_6521 Depth=3
	v_bfe_u32 v27, v0, 23, 8
	v_cmp_gt_u32_e64 s[40:41], s47, v27
	v_sub_u32_e32 v0, 0x71, v27
	v_cmp_eq_u32_e64 s[28:29], 0, v27
	v_cndmask_b32_e64 v0, 0, v0, s[40:41]
	v_mov_b32_e32 v2, 0x70
	v_cndmask_b32_e64 v28, v0, v2, s[28:29]
	v_add_u32_e32 v2, 21, v28
	v_or_b32_e32 v1, 0x800000, v60
	v_lshlrev_b64 v[29:30], v2, -1
	v_cndmask_b32_e64 v0, v1, v60, s[28:29]
	v_mov_b32_e32 v1, v61
	v_add_u32_e32 v2, 20, v28
	v_bfi_b32 v29, v29, 0, v0
	v_lshlrev_b64 v[34:35], v2, 1
	v_lshrrev_b64 v[0:1], v28, v[0:1]
	v_bfi_b32 v30, v30, 0, 0
	v_cmp_eq_u64_e64 s[40:41], v[29:30], v[34:35]
	v_mov_b32_e32 v2, v1
	v_mov_b32_e32 v1, v0
	s_and_saveexec_b64 s[50:51], s[40:41]
; %bb.6635:                             ;   in Loop: Header=BB4_6521 Depth=3
	v_bfe_u32 v1, v0, 21, 1
	v_add_co_u32_e64 v1, s[40:41], v0, v1
	v_add_co_u32_e64 v1, s[40:41], -1, v1
; %bb.6636:                             ;   in Loop: Header=BB4_6521 Depth=3
	s_or_b64 exec, exec, s[50:51]
	v_add_u32_e32 v2, 0xffffff81, v27
	v_mov_b32_e32 v27, 0xffffff82
	v_cndmask_b32_e64 v2, v2, v27, s[28:29]
	v_lshrrev_b32_e32 v27, 23, v0
	v_add3_u32 v28, v28, v2, v27
	v_add_u32_e32 v27, 14, v28
	v_and_b32_e32 v1, 0x1fffff, v1
	v_add_u32_e32 v60, v1, v0
	v_cmp_ne_u32_e64 s[28:29], 0, v27
                                        ; implicit-def: $vgpr0_vgpr1
                                        ; implicit-def: $vgpr2
	s_and_saveexec_b64 s[40:41], s[28:29]
	s_xor_b64 s[40:41], exec, s[40:41]
; %bb.6637:                             ;   in Loop: Header=BB4_6521 Depth=3
	v_cmp_lt_u64_e64 s[28:29], s[88:89], v[60:61]
	v_add_u32_e32 v0, 15, v28
	v_cndmask_b32_e64 v2, v27, v0, s[28:29]
	v_cndmask_b32_e64 v0, 0, 1, s[28:29]
	v_lshrrev_b64 v[0:1], v0, v[60:61]
; %bb.6638:                             ;   in Loop: Header=BB4_6521 Depth=3
	s_andn2_saveexec_b64 s[28:29], s[40:41]
; %bb.6639:                             ;   in Loop: Header=BB4_6521 Depth=3
	v_mov_b32_e32 v0, v60
	v_mov_b32_e32 v1, v61
	v_bfe_u32 v2, v60, 23, 1
; %bb.6640:                             ;   in Loop: Header=BB4_6521 Depth=3
	s_or_b64 exec, exec, s[28:29]
	v_lshrrev_b64 v[0:1], 21, v[0:1]
	v_cmp_gt_i32_e64 s[28:29], 32, v2
	v_cndmask_b32_e64 v1, 0, v1, s[28:29]
	v_cndmask_b32_e64 v0, 3, v0, s[28:29]
	v_cmp_eq_u64_e64 s[40:41], 0, v[0:1]
	v_min_i32_e32 v1, 31, v2
	v_lshlrev_b32_e32 v1, 2, v1
	v_cmp_eq_u32_e64 s[28:29], 0, v2
	v_and_b32_e32 v1, 0xfc, v1
	v_and_or_b32 v0, v0, 3, v1
	s_and_b64 s[28:29], s[28:29], s[40:41]
	v_cndmask_b32_e64 v0, v0, 0, s[28:29]
	v_or_b32_e32 v27, v0, v3
.LBB4_6641:                             ;   in Loop: Header=BB4_6521 Depth=3
	s_or_b64 exec, exec, s[48:49]
                                        ; implicit-def: $vgpr3
.LBB4_6642:                             ;   in Loop: Header=BB4_6521 Depth=3
	s_andn2_saveexec_b64 s[28:29], s[38:39]
; %bb.6643:                             ;   in Loop: Header=BB4_6521 Depth=3
	v_or_b32_e32 v27, 0x7b, v3
; %bb.6644:                             ;   in Loop: Header=BB4_6521 Depth=3
	s_or_b64 exec, exec, s[28:29]
                                        ; implicit-def: $vgpr0
.LBB4_6645:                             ;   in Loop: Header=BB4_6521 Depth=3
	s_andn2_saveexec_b64 s[40:41], s[42:43]
	s_cbranch_execz .LBB4_6651
; %bb.6646:                             ;   in Loop: Header=BB4_6521 Depth=3
	v_cmp_ne_u64_e64 s[28:29], 0, v[60:61]
                                        ; implicit-def: $vgpr27
	s_and_saveexec_b64 s[42:43], s[28:29]
	s_xor_b64 s[28:29], exec, s[42:43]
; %bb.6647:                             ;   in Loop: Header=BB4_6521 Depth=3
	v_or_b32_sdwa v27, v0, s44 dst_sel:DWORD dst_unused:UNUSED_PAD src0_sel:BYTE_3 src1_sel:DWORD
                                        ; implicit-def: $vgpr0
; %bb.6648:                             ;   in Loop: Header=BB4_6521 Depth=3
	s_andn2_saveexec_b64 s[42:43], s[28:29]
; %bb.6649:                             ;   in Loop: Header=BB4_6521 Depth=3
	v_cmp_lt_i32_e64 s[28:29], -1, v0
	v_bfrev_b32_e32 v0, 0.5
	v_mov_b32_e32 v1, 0x7c
	v_cndmask_b32_e64 v27, v0, v1, s[28:29]
; %bb.6650:                             ;   in Loop: Header=BB4_6521 Depth=3
	s_or_b64 exec, exec, s[42:43]
.LBB4_6651:                             ;   in Loop: Header=BB4_6521 Depth=3
	s_or_b64 exec, exec, s[40:41]
	v_mov_b32_e32 v60, v13
	v_cmp_ne_u16_sdwa s[28:29], v13, v61 src0_sel:BYTE_0 src1_sel:DWORD
	v_mov_b32_e32 v2, 0
	s_and_saveexec_b64 s[40:41], s[28:29]
	s_cbranch_execz .LBB4_6659
; %bb.6652:                             ;   in Loop: Header=BB4_6521 Depth=3
	v_cmp_ne_u16_sdwa s[28:29], v13, s81 src0_sel:BYTE_0 src1_sel:DWORD
	v_bfrev_b32_e32 v2, 1
	s_and_saveexec_b64 s[42:43], s[28:29]
	s_cbranch_execz .LBB4_6658
; %bb.6653:                             ;   in Loop: Header=BB4_6521 Depth=3
	v_and_b32_e32 v1, 0x7c, v13
	v_and_b32_e32 v0, 3, v13
	v_cmp_ne_u32_e64 s[28:29], s71, v1
                                        ; implicit-def: $vgpr2
	s_and_saveexec_b64 s[38:39], s[28:29]
	s_xor_b64 s[38:39], exec, s[38:39]
	s_cbranch_execz .LBB4_6655
; %bb.6654:                             ;   in Loop: Header=BB4_6521 Depth=3
	v_ffbh_u32_e32 v1, v0
	v_min_u32_e32 v28, 32, v1
	v_subrev_u32_e32 v1, 29, v28
	v_lshlrev_b64 v[1:2], v1, v[60:61]
	v_bfe_u32 v3, v13, 2, 5
	v_and_b32_e32 v1, 3, v1
	v_cmp_eq_u32_e64 s[28:29], 0, v3
	v_sub_u32_e32 v2, 30, v28
	v_cndmask_b32_e64 v0, v0, v1, s[28:29]
	v_lshlrev_b32_e32 v1, 24, v13
	v_cndmask_b32_e64 v2, v3, v2, s[28:29]
	v_and_b32_e32 v1, 0x80000000, v1
	v_lshl_add_u32 v1, v2, 23, v1
	v_lshl_or_b32 v0, v0, 21, v1
	v_add_u32_e32 v2, 0x38000000, v0
                                        ; implicit-def: $vgpr0
.LBB4_6655:                             ;   in Loop: Header=BB4_6521 Depth=3
	s_andn2_saveexec_b64 s[38:39], s[38:39]
; %bb.6656:                             ;   in Loop: Header=BB4_6521 Depth=3
	v_mov_b32_e32 v1, -1
	v_cmp_gt_i16_sdwa s[28:29], sext(v13), v1 src0_sel:BYTE_0 src1_sel:DWORD
	v_mov_b32_e32 v1, 0xff800000
	v_cndmask_b32_e64 v1, v1, v47, s[28:29]
	v_cmp_eq_u32_e64 s[28:29], 0, v0
	v_mov_b32_e32 v0, 0x7f800001
	v_cndmask_b32_e64 v2, v0, v1, s[28:29]
; %bb.6657:                             ;   in Loop: Header=BB4_6521 Depth=3
	s_or_b64 exec, exec, s[38:39]
.LBB4_6658:                             ;   in Loop: Header=BB4_6521 Depth=3
	s_or_b64 exec, exec, s[42:43]
.LBB4_6659:                             ;   in Loop: Header=BB4_6521 Depth=3
	s_or_b64 exec, exec, s[40:41]
	v_cmp_gt_i16_sdwa s[40:41], v9, s44 src0_sel:BYTE_0 src1_sel:DWORD
	s_mov_b64 s[28:29], 0
	s_and_saveexec_b64 s[42:43], s[40:41]
	s_xor_b64 s[40:41], exec, s[42:43]
	s_cbranch_execz .LBB4_6663
; %bb.6660:                             ;   in Loop: Header=BB4_6521 Depth=3
	v_cmp_eq_u16_sdwa s[38:39], v9, s81 src0_sel:BYTE_0 src1_sel:DWORD
	s_mov_b64 s[28:29], -1
	s_and_saveexec_b64 s[42:43], s[38:39]
; %bb.6661:                             ;   in Loop: Header=BB4_6521 Depth=3
	s_xor_b64 s[28:29], exec, -1
; %bb.6662:                             ;   in Loop: Header=BB4_6521 Depth=3
	s_or_b64 exec, exec, s[42:43]
	s_and_b64 s[28:29], s[28:29], exec
.LBB4_6663:                             ;   in Loop: Header=BB4_6521 Depth=3
	s_or_saveexec_b64 s[40:41], s[40:41]
	v_bfrev_b32_e32 v3, 1
	s_xor_b64 exec, exec, s[40:41]
; %bb.6664:                             ;   in Loop: Header=BB4_6521 Depth=3
	v_cmp_ne_u16_sdwa s[42:43], v9, v61 src0_sel:BYTE_0 src1_sel:DWORD
	s_andn2_b64 s[28:29], s[28:29], exec
	s_and_b64 s[42:43], s[42:43], exec
	v_mov_b32_e32 v3, 0
	s_or_b64 s[28:29], s[28:29], s[42:43]
; %bb.6665:                             ;   in Loop: Header=BB4_6521 Depth=3
	s_or_b64 exec, exec, s[40:41]
	v_mov_b32_e32 v0, v9
	v_mov_b32_e32 v1, v61
	s_and_saveexec_b64 s[38:39], s[28:29]
	s_cbranch_execz .LBB4_6667
; %bb.6666:                             ;   in Loop: Header=BB4_6521 Depth=3
	v_and_b32_e32 v3, 3, v9
	v_and_b32_e32 v28, 0x7c, v9
	v_cmp_eq_u32_e64 s[28:29], s71, v28
	v_ffbh_u32_e32 v28, v3
	v_min_u32_e32 v31, 32, v28
	v_subrev_u32_e32 v28, 29, v31
	v_lshlrev_b64 v[28:29], v28, v[0:1]
	v_bfe_u32 v30, v9, 2, 5
	v_cmp_eq_u32_e64 s[40:41], 0, v30
	v_sub_u32_e32 v1, 30, v31
	v_and_b32_e32 v28, 3, v28
	v_lshlrev_b32_e32 v29, 24, v9
	v_cndmask_b32_e64 v1, v30, v1, s[40:41]
	v_cndmask_b32_e64 v28, v3, v28, s[40:41]
	v_and_b32_e32 v29, 0x80000000, v29
	v_cmp_eq_u32_e64 s[40:41], 0, v3
	v_mov_b32_e32 v3, -1
	v_lshl_add_u32 v1, v1, 23, v29
	v_cmp_gt_i16_sdwa s[42:43], sext(v9), v3 src0_sel:BYTE_0 src1_sel:DWORD
	v_mov_b32_e32 v3, 0xff800000
	v_lshl_or_b32 v1, v28, 21, v1
	v_cndmask_b32_e64 v3, v3, v47, s[42:43]
	v_mov_b32_e32 v28, 0x7f800001
	v_add_u32_e32 v1, 0x38000000, v1
	v_cndmask_b32_e64 v3, v28, v3, s[40:41]
	v_cndmask_b32_e64 v3, v1, v3, s[28:29]
.LBB4_6667:                             ;   in Loop: Header=BB4_6521 Depth=3
	s_or_b64 exec, exec, s[38:39]
	v_mul_f32_e32 v3, v2, v3
	v_and_b32_e32 v28, 0x7f800000, v3
	v_mov_b32_e32 v29, v61
	v_cmp_ne_u64_e64 s[28:29], s[62:63], v[28:29]
	v_and_b32_e32 v1, 0x7fffff, v3
	v_mov_b32_e32 v2, v61
                                        ; implicit-def: $vgpr28
	s_and_saveexec_b64 s[40:41], s[28:29]
	s_xor_b64 s[42:43], exec, s[40:41]
	s_cbranch_execz .LBB4_6681
; %bb.6668:                             ;   in Loop: Header=BB4_6521 Depth=3
	v_and_b32_e32 v28, 0x7fffffff, v3
	v_mov_b32_e32 v29, v61
	v_cmp_gt_u64_e64 s[28:29], s[78:79], v[28:29]
	v_and_b32_sdwa v29, v3, s81 dst_sel:DWORD dst_unused:UNUSED_PAD src0_sel:BYTE_3 src1_sel:DWORD
                                        ; implicit-def: $vgpr28
	s_and_saveexec_b64 s[40:41], s[28:29]
	s_xor_b64 s[38:39], exec, s[40:41]
	s_cbranch_execz .LBB4_6678
; %bb.6669:                             ;   in Loop: Header=BB4_6521 Depth=3
	v_mov_b32_e32 v28, 0
	v_cmp_ne_u32_e64 s[28:29], 0, v3
	s_and_saveexec_b64 s[48:49], s[28:29]
	s_cbranch_execz .LBB4_6677
; %bb.6670:                             ;   in Loop: Header=BB4_6521 Depth=3
	v_bfe_u32 v28, v3, 23, 8
	v_cmp_gt_u32_e64 s[40:41], s47, v28
	v_sub_u32_e32 v3, 0x71, v28
	v_cmp_eq_u32_e64 s[28:29], 0, v28
	v_cndmask_b32_e64 v3, 0, v3, s[40:41]
	v_mov_b32_e32 v30, 0x70
	v_cndmask_b32_e64 v30, v3, v30, s[28:29]
	v_add_u32_e32 v3, 21, v30
	v_or_b32_e32 v31, 0x800000, v1
	v_lshlrev_b64 v[34:35], v3, -1
	v_cndmask_b32_e64 v1, v31, v1, s[28:29]
	v_add_u32_e32 v3, 20, v30
	v_bfi_b32 v34, v34, 0, v1
	v_lshlrev_b64 v[36:37], v3, 1
	v_lshrrev_b64 v[1:2], v30, v[1:2]
	v_bfi_b32 v35, v35, 0, 0
	v_cmp_eq_u64_e64 s[40:41], v[34:35], v[36:37]
	v_mov_b32_e32 v3, v2
	v_mov_b32_e32 v2, v1
	s_and_saveexec_b64 s[50:51], s[40:41]
; %bb.6671:                             ;   in Loop: Header=BB4_6521 Depth=3
	v_bfe_u32 v2, v1, 21, 1
	v_add_co_u32_e64 v2, s[40:41], v1, v2
	v_add_co_u32_e64 v2, s[40:41], -1, v2
; %bb.6672:                             ;   in Loop: Header=BB4_6521 Depth=3
	s_or_b64 exec, exec, s[50:51]
	v_add_u32_e32 v3, 0xffffff81, v28
	v_mov_b32_e32 v28, 0xffffff82
	v_cndmask_b32_e64 v3, v3, v28, s[28:29]
	v_lshrrev_b32_e32 v28, 23, v1
	v_add3_u32 v30, v30, v3, v28
	v_add_u32_e32 v28, 14, v30
	v_and_b32_e32 v2, 0x1fffff, v2
	v_add_u32_e32 v1, v2, v1
	v_mov_b32_e32 v2, v61
	v_cmp_ne_u32_e64 s[28:29], 0, v28
                                        ; implicit-def: $vgpr3
	s_and_saveexec_b64 s[40:41], s[28:29]
	s_xor_b64 s[40:41], exec, s[40:41]
; %bb.6673:                             ;   in Loop: Header=BB4_6521 Depth=3
	v_cmp_lt_u64_e64 s[28:29], s[88:89], v[1:2]
	v_add_u32_e32 v3, 15, v30
	v_cndmask_b32_e64 v3, v28, v3, s[28:29]
	v_cndmask_b32_e64 v28, 0, 1, s[28:29]
	v_lshrrev_b64 v[1:2], v28, v[1:2]
; %bb.6674:                             ;   in Loop: Header=BB4_6521 Depth=3
	s_andn2_saveexec_b64 s[28:29], s[40:41]
; %bb.6675:                             ;   in Loop: Header=BB4_6521 Depth=3
	v_bfe_u32 v3, v1, 23, 1
; %bb.6676:                             ;   in Loop: Header=BB4_6521 Depth=3
	s_or_b64 exec, exec, s[28:29]
	v_lshrrev_b64 v[1:2], 21, v[1:2]
	v_cmp_gt_i32_e64 s[28:29], 32, v3
	v_cndmask_b32_e64 v2, 0, v2, s[28:29]
	v_cndmask_b32_e64 v1, 3, v1, s[28:29]
	v_cmp_eq_u64_e64 s[40:41], 0, v[1:2]
	v_min_i32_e32 v2, 31, v3
	v_lshlrev_b32_e32 v2, 2, v2
	v_cmp_eq_u32_e64 s[28:29], 0, v3
	v_and_b32_e32 v2, 0xfc, v2
	v_and_or_b32 v1, v1, 3, v2
	s_and_b64 s[28:29], s[28:29], s[40:41]
	v_cndmask_b32_e64 v1, v1, 0, s[28:29]
	v_or_b32_e32 v28, v1, v29
.LBB4_6677:                             ;   in Loop: Header=BB4_6521 Depth=3
	s_or_b64 exec, exec, s[48:49]
                                        ; implicit-def: $vgpr29
.LBB4_6678:                             ;   in Loop: Header=BB4_6521 Depth=3
	s_andn2_saveexec_b64 s[28:29], s[38:39]
; %bb.6679:                             ;   in Loop: Header=BB4_6521 Depth=3
	v_or_b32_e32 v28, 0x7b, v29
; %bb.6680:                             ;   in Loop: Header=BB4_6521 Depth=3
	s_or_b64 exec, exec, s[28:29]
                                        ; implicit-def: $vgpr3
                                        ; implicit-def: $vgpr1_vgpr2
.LBB4_6681:                             ;   in Loop: Header=BB4_6521 Depth=3
	s_andn2_saveexec_b64 s[40:41], s[42:43]
	s_cbranch_execz .LBB4_6687
; %bb.6682:                             ;   in Loop: Header=BB4_6521 Depth=3
	v_cmp_ne_u64_e64 s[28:29], 0, v[1:2]
                                        ; implicit-def: $vgpr28
	s_and_saveexec_b64 s[42:43], s[28:29]
	s_xor_b64 s[28:29], exec, s[42:43]
; %bb.6683:                             ;   in Loop: Header=BB4_6521 Depth=3
	v_or_b32_sdwa v28, v3, s44 dst_sel:DWORD dst_unused:UNUSED_PAD src0_sel:BYTE_3 src1_sel:DWORD
                                        ; implicit-def: $vgpr3
; %bb.6684:                             ;   in Loop: Header=BB4_6521 Depth=3
	s_andn2_saveexec_b64 s[42:43], s[28:29]
; %bb.6685:                             ;   in Loop: Header=BB4_6521 Depth=3
	v_cmp_lt_i32_e64 s[28:29], -1, v3
	v_bfrev_b32_e32 v1, 0.5
	v_mov_b32_e32 v2, 0x7c
	v_cndmask_b32_e64 v28, v1, v2, s[28:29]
; %bb.6686:                             ;   in Loop: Header=BB4_6521 Depth=3
	s_or_b64 exec, exec, s[42:43]
.LBB4_6687:                             ;   in Loop: Header=BB4_6521 Depth=3
	s_or_b64 exec, exec, s[40:41]
	v_lshrrev_b16_e32 v1, 8, v60
	v_cmp_ne_u16_e64 s[28:29], 0, v1
	v_mov_b32_e32 v3, 0
	s_and_saveexec_b64 s[40:41], s[28:29]
	s_cbranch_execz .LBB4_6695
; %bb.6688:                             ;   in Loop: Header=BB4_6521 Depth=3
	v_cmp_ne_u16_e64 s[28:29], s81, v1
	v_bfrev_b32_e32 v3, 1
	s_and_saveexec_b64 s[42:43], s[28:29]
	s_cbranch_execz .LBB4_6694
; %bb.6689:                             ;   in Loop: Header=BB4_6521 Depth=3
	v_and_b32_e32 v2, 0x7c, v1
	v_and_b32_e32 v29, 3, v1
	v_cmp_ne_u32_e64 s[28:29], s71, v2
                                        ; implicit-def: $vgpr3
	s_and_saveexec_b64 s[38:39], s[28:29]
	s_xor_b64 s[38:39], exec, s[38:39]
	s_cbranch_execz .LBB4_6691
; %bb.6690:                             ;   in Loop: Header=BB4_6521 Depth=3
	v_ffbh_u32_e32 v30, v29
	v_min_u32_e32 v30, 32, v30
	v_mov_b32_e32 v2, v61
	v_subrev_u32_e32 v31, 29, v30
	v_bfe_u32 v3, v1, 2, 5
	v_lshlrev_b64 v[1:2], v31, v[1:2]
	v_sub_u32_e32 v2, 30, v30
	v_cmp_eq_u32_e64 s[28:29], 0, v3
	v_cndmask_b32_e64 v2, v3, v2, s[28:29]
	v_lshlrev_b32_e32 v3, 16, v60
	v_and_b32_e32 v1, 3, v1
	v_and_b32_e32 v3, 0x80000000, v3
	v_cndmask_b32_e64 v1, v29, v1, s[28:29]
	v_lshl_add_u32 v2, v2, 23, v3
	v_lshl_or_b32 v1, v1, 21, v2
	v_add_u32_e32 v3, 0x38000000, v1
                                        ; implicit-def: $vgpr29
.LBB4_6691:                             ;   in Loop: Header=BB4_6521 Depth=3
	s_andn2_saveexec_b64 s[38:39], s[38:39]
; %bb.6692:                             ;   in Loop: Header=BB4_6521 Depth=3
	v_cmp_lt_i16_e64 s[28:29], -1, v60
	v_mov_b32_e32 v1, 0xff800000
	v_cndmask_b32_e64 v1, v1, v47, s[28:29]
	v_cmp_eq_u32_e64 s[28:29], 0, v29
	v_mov_b32_e32 v2, 0x7f800001
	v_cndmask_b32_e64 v3, v2, v1, s[28:29]
; %bb.6693:                             ;   in Loop: Header=BB4_6521 Depth=3
	s_or_b64 exec, exec, s[38:39]
.LBB4_6694:                             ;   in Loop: Header=BB4_6521 Depth=3
	s_or_b64 exec, exec, s[42:43]
.LBB4_6695:                             ;   in Loop: Header=BB4_6521 Depth=3
	s_or_b64 exec, exec, s[40:41]
	v_lshrrev_b16_e32 v1, 8, v0
	v_cmp_lt_i16_e64 s[28:29], s44, v1
	s_mov_b64 s[40:41], 0
	s_and_saveexec_b64 s[42:43], s[28:29]
	s_xor_b64 s[42:43], exec, s[42:43]
	s_cbranch_execz .LBB4_7050
; %bb.6696:                             ;   in Loop: Header=BB4_6521 Depth=3
	v_cmp_eq_u16_e64 s[28:29], s81, v1
	s_mov_b64 s[40:41], -1
	s_and_saveexec_b64 s[38:39], s[28:29]
; %bb.6697:                             ;   in Loop: Header=BB4_6521 Depth=3
	s_xor_b64 s[40:41], exec, -1
; %bb.6698:                             ;   in Loop: Header=BB4_6521 Depth=3
	s_or_b64 exec, exec, s[38:39]
	s_and_b64 s[40:41], s[40:41], exec
	s_or_saveexec_b64 s[42:43], s[42:43]
	v_bfrev_b32_e32 v2, 1
	s_xor_b64 exec, exec, s[42:43]
	s_cbranch_execnz .LBB4_7051
.LBB4_6699:                             ;   in Loop: Header=BB4_6521 Depth=3
	s_or_b64 exec, exec, s[42:43]
	s_and_saveexec_b64 s[38:39], s[40:41]
	s_cbranch_execz .LBB4_6701
.LBB4_6700:                             ;   in Loop: Header=BB4_6521 Depth=3
	v_and_b32_e32 v31, 3, v1
	v_and_b32_e32 v29, 0x7c, v1
	v_cmp_eq_u32_e64 s[28:29], s71, v29
	v_ffbh_u32_e32 v29, v31
	v_min_u32_e32 v35, 32, v29
	v_mov_b32_e32 v2, v61
	v_subrev_u32_e32 v29, 29, v35
	v_bfe_u32 v34, v1, 2, 5
	v_lshlrev_b64 v[29:30], v29, v[1:2]
	v_cmp_eq_u32_e64 s[40:41], 0, v34
	v_sub_u32_e32 v2, 30, v35
	v_lshlrev_b32_e32 v1, 24, v1
	v_and_b32_e32 v29, 3, v29
	v_cndmask_b32_e64 v2, v34, v2, s[40:41]
	v_and_b32_e32 v1, 0x80000000, v1
	v_cndmask_b32_e64 v29, v31, v29, s[40:41]
	v_lshl_add_u32 v1, v2, 23, v1
	v_cmp_lt_i16_e64 s[42:43], -1, v0
	v_mov_b32_e32 v0, 0xff800000
	v_lshl_or_b32 v1, v29, 21, v1
	v_cmp_eq_u32_e64 s[40:41], 0, v31
	v_cndmask_b32_e64 v0, v0, v47, s[42:43]
	v_mov_b32_e32 v2, 0x7f800001
	v_add_u32_e32 v1, 0x38000000, v1
	v_cndmask_b32_e64 v0, v2, v0, s[40:41]
	v_cndmask_b32_e64 v2, v1, v0, s[28:29]
.LBB4_6701:                             ;   in Loop: Header=BB4_6521 Depth=3
	s_or_b64 exec, exec, s[38:39]
	v_mul_f32_e32 v0, v3, v2
	v_and_b32_e32 v1, 0x7f800000, v0
	v_mov_b32_e32 v2, v61
	v_cmp_ne_u64_e64 s[28:29], s[62:63], v[1:2]
	v_and_b32_e32 v60, 0x7fffff, v0
                                        ; implicit-def: $vgpr29
	s_and_saveexec_b64 s[40:41], s[28:29]
	s_xor_b64 s[42:43], exec, s[40:41]
	s_cbranch_execz .LBB4_6715
; %bb.6702:                             ;   in Loop: Header=BB4_6521 Depth=3
	v_and_b32_e32 v1, 0x7fffffff, v0
	v_mov_b32_e32 v2, v61
	v_cmp_gt_u64_e64 s[28:29], s[78:79], v[1:2]
	v_and_b32_sdwa v3, v0, s81 dst_sel:DWORD dst_unused:UNUSED_PAD src0_sel:BYTE_3 src1_sel:DWORD
                                        ; implicit-def: $vgpr29
	s_and_saveexec_b64 s[40:41], s[28:29]
	s_xor_b64 s[38:39], exec, s[40:41]
	s_cbranch_execz .LBB4_6712
; %bb.6703:                             ;   in Loop: Header=BB4_6521 Depth=3
	v_mov_b32_e32 v29, 0
	v_cmp_ne_u32_e64 s[28:29], 0, v0
	s_and_saveexec_b64 s[48:49], s[28:29]
	s_cbranch_execz .LBB4_6711
; %bb.6704:                             ;   in Loop: Header=BB4_6521 Depth=3
	v_bfe_u32 v29, v0, 23, 8
	v_cmp_gt_u32_e64 s[40:41], s47, v29
	v_sub_u32_e32 v0, 0x71, v29
	v_cmp_eq_u32_e64 s[28:29], 0, v29
	v_cndmask_b32_e64 v0, 0, v0, s[40:41]
	v_mov_b32_e32 v2, 0x70
	v_cndmask_b32_e64 v30, v0, v2, s[28:29]
	v_add_u32_e32 v2, 21, v30
	v_or_b32_e32 v1, 0x800000, v60
	v_lshlrev_b64 v[34:35], v2, -1
	v_cndmask_b32_e64 v0, v1, v60, s[28:29]
	v_mov_b32_e32 v1, v61
	v_add_u32_e32 v2, 20, v30
	v_bfi_b32 v34, v34, 0, v0
	v_lshlrev_b64 v[36:37], v2, 1
	v_lshrrev_b64 v[0:1], v30, v[0:1]
	v_bfi_b32 v35, v35, 0, 0
	v_cmp_eq_u64_e64 s[40:41], v[34:35], v[36:37]
	v_mov_b32_e32 v2, v1
	v_mov_b32_e32 v1, v0
	s_and_saveexec_b64 s[50:51], s[40:41]
; %bb.6705:                             ;   in Loop: Header=BB4_6521 Depth=3
	v_bfe_u32 v1, v0, 21, 1
	v_add_co_u32_e64 v1, s[40:41], v0, v1
	v_add_co_u32_e64 v1, s[40:41], -1, v1
; %bb.6706:                             ;   in Loop: Header=BB4_6521 Depth=3
	s_or_b64 exec, exec, s[50:51]
	v_add_u32_e32 v2, 0xffffff81, v29
	v_mov_b32_e32 v29, 0xffffff82
	v_cndmask_b32_e64 v2, v2, v29, s[28:29]
	v_lshrrev_b32_e32 v29, 23, v0
	v_add3_u32 v30, v30, v2, v29
	v_add_u32_e32 v29, 14, v30
	v_and_b32_e32 v1, 0x1fffff, v1
	v_add_u32_e32 v60, v1, v0
	v_cmp_ne_u32_e64 s[28:29], 0, v29
                                        ; implicit-def: $vgpr0_vgpr1
                                        ; implicit-def: $vgpr2
	s_and_saveexec_b64 s[40:41], s[28:29]
	s_xor_b64 s[40:41], exec, s[40:41]
; %bb.6707:                             ;   in Loop: Header=BB4_6521 Depth=3
	v_cmp_lt_u64_e64 s[28:29], s[88:89], v[60:61]
	v_add_u32_e32 v0, 15, v30
	v_cndmask_b32_e64 v2, v29, v0, s[28:29]
	v_cndmask_b32_e64 v0, 0, 1, s[28:29]
	v_lshrrev_b64 v[0:1], v0, v[60:61]
; %bb.6708:                             ;   in Loop: Header=BB4_6521 Depth=3
	s_andn2_saveexec_b64 s[28:29], s[40:41]
; %bb.6709:                             ;   in Loop: Header=BB4_6521 Depth=3
	v_mov_b32_e32 v0, v60
	v_mov_b32_e32 v1, v61
	v_bfe_u32 v2, v60, 23, 1
; %bb.6710:                             ;   in Loop: Header=BB4_6521 Depth=3
	s_or_b64 exec, exec, s[28:29]
	v_lshrrev_b64 v[0:1], 21, v[0:1]
	v_cmp_gt_i32_e64 s[28:29], 32, v2
	v_cndmask_b32_e64 v1, 0, v1, s[28:29]
	v_cndmask_b32_e64 v0, 3, v0, s[28:29]
	v_cmp_eq_u64_e64 s[40:41], 0, v[0:1]
	v_min_i32_e32 v1, 31, v2
	v_lshlrev_b32_e32 v1, 2, v1
	v_cmp_eq_u32_e64 s[28:29], 0, v2
	v_and_b32_e32 v1, 0xfc, v1
	v_and_or_b32 v0, v0, 3, v1
	s_and_b64 s[28:29], s[28:29], s[40:41]
	v_cndmask_b32_e64 v0, v0, 0, s[28:29]
	v_or_b32_e32 v29, v0, v3
.LBB4_6711:                             ;   in Loop: Header=BB4_6521 Depth=3
	s_or_b64 exec, exec, s[48:49]
                                        ; implicit-def: $vgpr3
.LBB4_6712:                             ;   in Loop: Header=BB4_6521 Depth=3
	s_andn2_saveexec_b64 s[28:29], s[38:39]
; %bb.6713:                             ;   in Loop: Header=BB4_6521 Depth=3
	v_or_b32_e32 v29, 0x7b, v3
; %bb.6714:                             ;   in Loop: Header=BB4_6521 Depth=3
	s_or_b64 exec, exec, s[28:29]
                                        ; implicit-def: $vgpr0
.LBB4_6715:                             ;   in Loop: Header=BB4_6521 Depth=3
	s_andn2_saveexec_b64 s[40:41], s[42:43]
	s_cbranch_execz .LBB4_6721
; %bb.6716:                             ;   in Loop: Header=BB4_6521 Depth=3
	v_cmp_ne_u64_e64 s[28:29], 0, v[60:61]
                                        ; implicit-def: $vgpr29
	s_and_saveexec_b64 s[42:43], s[28:29]
	s_xor_b64 s[28:29], exec, s[42:43]
; %bb.6717:                             ;   in Loop: Header=BB4_6521 Depth=3
	v_or_b32_sdwa v29, v0, s44 dst_sel:DWORD dst_unused:UNUSED_PAD src0_sel:BYTE_3 src1_sel:DWORD
                                        ; implicit-def: $vgpr0
; %bb.6718:                             ;   in Loop: Header=BB4_6521 Depth=3
	s_andn2_saveexec_b64 s[42:43], s[28:29]
; %bb.6719:                             ;   in Loop: Header=BB4_6521 Depth=3
	v_cmp_lt_i32_e64 s[28:29], -1, v0
	v_bfrev_b32_e32 v0, 0.5
	v_mov_b32_e32 v1, 0x7c
	v_cndmask_b32_e64 v29, v0, v1, s[28:29]
; %bb.6720:                             ;   in Loop: Header=BB4_6521 Depth=3
	s_or_b64 exec, exec, s[42:43]
.LBB4_6721:                             ;   in Loop: Header=BB4_6521 Depth=3
	s_or_b64 exec, exec, s[40:41]
	v_lshrrev_b32_e32 v0, 16, v13
	v_cmp_ne_u16_sdwa s[28:29], v0, v61 src0_sel:BYTE_0 src1_sel:DWORD
	v_mov_b32_e32 v1, 0
	s_and_saveexec_b64 s[40:41], s[28:29]
	s_cbranch_execz .LBB4_6729
; %bb.6722:                             ;   in Loop: Header=BB4_6521 Depth=3
	v_cmp_ne_u16_sdwa s[28:29], v0, s81 src0_sel:BYTE_0 src1_sel:DWORD
	v_bfrev_b32_e32 v1, 1
	s_and_saveexec_b64 s[42:43], s[28:29]
	s_cbranch_execz .LBB4_6728
; %bb.6723:                             ;   in Loop: Header=BB4_6521 Depth=3
	v_and_b32_e32 v1, 0x7c0000, v13
	v_bfe_u32 v2, v13, 16, 2
	v_cmp_ne_u32_e64 s[28:29], s45, v1
                                        ; implicit-def: $vgpr1
	s_and_saveexec_b64 s[38:39], s[28:29]
	s_xor_b64 s[38:39], exec, s[38:39]
	s_cbranch_execz .LBB4_6725
; %bb.6724:                             ;   in Loop: Header=BB4_6521 Depth=3
	v_ffbh_u32_e32 v1, v2
	v_min_u32_e32 v30, 32, v1
	v_subrev_u32_e32 v1, 29, v30
	v_lshlrev_b64 v[0:1], v1, v[0:1]
	v_bfe_u32 v3, v13, 18, 5
	v_and_b32_e32 v0, 3, v0
	v_cmp_eq_u32_e64 s[28:29], 0, v3
	v_sub_u32_e32 v1, 30, v30
	v_cndmask_b32_e64 v0, v2, v0, s[28:29]
	v_lshlrev_b32_e32 v2, 8, v13
	v_cndmask_b32_e64 v1, v3, v1, s[28:29]
	v_and_b32_e32 v2, 0x80000000, v2
	v_lshl_add_u32 v1, v1, 23, v2
	v_lshl_or_b32 v0, v0, 21, v1
	v_add_u32_e32 v1, 0x38000000, v0
                                        ; implicit-def: $vgpr2
                                        ; implicit-def: $vgpr0
.LBB4_6725:                             ;   in Loop: Header=BB4_6521 Depth=3
	s_andn2_saveexec_b64 s[38:39], s[38:39]
; %bb.6726:                             ;   in Loop: Header=BB4_6521 Depth=3
	v_mov_b32_e32 v1, -1
	v_cmp_gt_i16_sdwa s[28:29], sext(v0), v1 src0_sel:BYTE_0 src1_sel:DWORD
	v_mov_b32_e32 v0, 0xff800000
	v_cndmask_b32_e64 v0, v0, v47, s[28:29]
	v_cmp_eq_u32_e64 s[28:29], 0, v2
	v_mov_b32_e32 v1, 0x7f800001
	v_cndmask_b32_e64 v1, v1, v0, s[28:29]
; %bb.6727:                             ;   in Loop: Header=BB4_6521 Depth=3
	s_or_b64 exec, exec, s[38:39]
.LBB4_6728:                             ;   in Loop: Header=BB4_6521 Depth=3
	s_or_b64 exec, exec, s[42:43]
.LBB4_6729:                             ;   in Loop: Header=BB4_6521 Depth=3
	s_or_b64 exec, exec, s[40:41]
	v_lshrrev_b32_e32 v0, 16, v9
	v_cmp_gt_i16_sdwa s[40:41], v0, s44 src0_sel:BYTE_0 src1_sel:DWORD
	s_mov_b64 s[28:29], 0
	s_and_saveexec_b64 s[42:43], s[40:41]
	s_xor_b64 s[40:41], exec, s[42:43]
	s_cbranch_execz .LBB4_7052
; %bb.6730:                             ;   in Loop: Header=BB4_6521 Depth=3
	v_cmp_eq_u16_sdwa s[38:39], v0, s81 src0_sel:BYTE_0 src1_sel:DWORD
	s_mov_b64 s[28:29], -1
	s_and_saveexec_b64 s[42:43], s[38:39]
; %bb.6731:                             ;   in Loop: Header=BB4_6521 Depth=3
	s_xor_b64 s[28:29], exec, -1
; %bb.6732:                             ;   in Loop: Header=BB4_6521 Depth=3
	s_or_b64 exec, exec, s[42:43]
	s_and_b64 s[28:29], s[28:29], exec
	s_or_saveexec_b64 s[40:41], s[40:41]
	v_bfrev_b32_e32 v2, 1
	s_xor_b64 exec, exec, s[40:41]
	s_cbranch_execnz .LBB4_7053
.LBB4_6733:                             ;   in Loop: Header=BB4_6521 Depth=3
	s_or_b64 exec, exec, s[40:41]
	s_and_saveexec_b64 s[38:39], s[28:29]
	s_cbranch_execz .LBB4_6735
.LBB4_6734:                             ;   in Loop: Header=BB4_6521 Depth=3
	v_and_b32_e32 v30, 3, v0
	v_and_b32_e32 v2, 0x7c0000, v9
	v_cmp_eq_u32_e64 s[28:29], s45, v2
	v_ffbh_u32_e32 v2, v30
	v_min_u32_e32 v34, 32, v2
	v_subrev_u32_e32 v2, 29, v34
	v_bfe_u32 v31, v9, 18, 5
	v_lshlrev_b64 v[2:3], v2, v[0:1]
	v_cmp_eq_u32_e64 s[40:41], 0, v31
	v_sub_u32_e32 v3, 30, v34
	v_cndmask_b32_e64 v3, v31, v3, s[40:41]
	v_lshlrev_b32_e32 v31, 24, v0
	v_and_b32_e32 v2, 3, v2
	v_and_b32_e32 v31, 0x80000000, v31
	v_cndmask_b32_e64 v2, v30, v2, s[40:41]
	v_lshl_add_u32 v3, v3, 23, v31
	v_lshl_or_b32 v2, v2, 21, v3
	v_mov_b32_e32 v3, -1
	v_cmp_gt_i16_sdwa s[42:43], sext(v0), v3 src0_sel:BYTE_0 src1_sel:DWORD
	v_mov_b32_e32 v0, 0xff800000
	v_cmp_eq_u32_e64 s[40:41], 0, v30
	v_cndmask_b32_e64 v0, v0, v47, s[42:43]
	v_mov_b32_e32 v3, 0x7f800001
	v_add_u32_e32 v2, 0x38000000, v2
	v_cndmask_b32_e64 v0, v3, v0, s[40:41]
	v_cndmask_b32_e64 v2, v2, v0, s[28:29]
.LBB4_6735:                             ;   in Loop: Header=BB4_6521 Depth=3
	s_or_b64 exec, exec, s[38:39]
	v_mul_f32_e32 v0, v1, v2
	v_and_b32_e32 v1, 0x7f800000, v0
	v_mov_b32_e32 v2, v61
	v_cmp_ne_u64_e64 s[28:29], s[62:63], v[1:2]
	v_and_b32_e32 v60, 0x7fffff, v0
                                        ; implicit-def: $vgpr30
	s_and_saveexec_b64 s[40:41], s[28:29]
	s_xor_b64 s[42:43], exec, s[40:41]
	s_cbranch_execz .LBB4_6749
; %bb.6736:                             ;   in Loop: Header=BB4_6521 Depth=3
	v_and_b32_e32 v1, 0x7fffffff, v0
	v_mov_b32_e32 v2, v61
	v_cmp_gt_u64_e64 s[28:29], s[78:79], v[1:2]
	v_and_b32_sdwa v3, v0, s81 dst_sel:DWORD dst_unused:UNUSED_PAD src0_sel:BYTE_3 src1_sel:DWORD
                                        ; implicit-def: $vgpr30
	s_and_saveexec_b64 s[40:41], s[28:29]
	s_xor_b64 s[38:39], exec, s[40:41]
	s_cbranch_execz .LBB4_6746
; %bb.6737:                             ;   in Loop: Header=BB4_6521 Depth=3
	v_mov_b32_e32 v30, 0
	v_cmp_ne_u32_e64 s[28:29], 0, v0
	s_and_saveexec_b64 s[48:49], s[28:29]
	s_cbranch_execz .LBB4_6745
; %bb.6738:                             ;   in Loop: Header=BB4_6521 Depth=3
	v_bfe_u32 v30, v0, 23, 8
	v_cmp_gt_u32_e64 s[40:41], s47, v30
	v_sub_u32_e32 v0, 0x71, v30
	v_cmp_eq_u32_e64 s[28:29], 0, v30
	v_cndmask_b32_e64 v0, 0, v0, s[40:41]
	v_mov_b32_e32 v2, 0x70
	v_cndmask_b32_e64 v31, v0, v2, s[28:29]
	v_add_u32_e32 v2, 21, v31
	v_or_b32_e32 v1, 0x800000, v60
	v_lshlrev_b64 v[34:35], v2, -1
	v_cndmask_b32_e64 v0, v1, v60, s[28:29]
	v_mov_b32_e32 v1, v61
	v_add_u32_e32 v2, 20, v31
	v_bfi_b32 v34, v34, 0, v0
	v_lshlrev_b64 v[36:37], v2, 1
	v_lshrrev_b64 v[0:1], v31, v[0:1]
	v_bfi_b32 v35, v35, 0, 0
	v_cmp_eq_u64_e64 s[40:41], v[34:35], v[36:37]
	v_mov_b32_e32 v2, v1
	v_mov_b32_e32 v1, v0
	s_and_saveexec_b64 s[50:51], s[40:41]
; %bb.6739:                             ;   in Loop: Header=BB4_6521 Depth=3
	v_bfe_u32 v1, v0, 21, 1
	v_add_co_u32_e64 v1, s[40:41], v0, v1
	v_add_co_u32_e64 v1, s[40:41], -1, v1
; %bb.6740:                             ;   in Loop: Header=BB4_6521 Depth=3
	s_or_b64 exec, exec, s[50:51]
	v_add_u32_e32 v2, 0xffffff81, v30
	v_mov_b32_e32 v30, 0xffffff82
	v_cndmask_b32_e64 v2, v2, v30, s[28:29]
	v_lshrrev_b32_e32 v30, 23, v0
	v_add3_u32 v31, v31, v2, v30
	v_add_u32_e32 v30, 14, v31
	v_and_b32_e32 v1, 0x1fffff, v1
	v_add_u32_e32 v60, v1, v0
	v_cmp_ne_u32_e64 s[28:29], 0, v30
                                        ; implicit-def: $vgpr0_vgpr1
                                        ; implicit-def: $vgpr2
	s_and_saveexec_b64 s[40:41], s[28:29]
	s_xor_b64 s[40:41], exec, s[40:41]
; %bb.6741:                             ;   in Loop: Header=BB4_6521 Depth=3
	v_cmp_lt_u64_e64 s[28:29], s[88:89], v[60:61]
	v_add_u32_e32 v0, 15, v31
	v_cndmask_b32_e64 v2, v30, v0, s[28:29]
	v_cndmask_b32_e64 v0, 0, 1, s[28:29]
	v_lshrrev_b64 v[0:1], v0, v[60:61]
; %bb.6742:                             ;   in Loop: Header=BB4_6521 Depth=3
	s_andn2_saveexec_b64 s[28:29], s[40:41]
; %bb.6743:                             ;   in Loop: Header=BB4_6521 Depth=3
	v_mov_b32_e32 v0, v60
	v_mov_b32_e32 v1, v61
	v_bfe_u32 v2, v60, 23, 1
; %bb.6744:                             ;   in Loop: Header=BB4_6521 Depth=3
	s_or_b64 exec, exec, s[28:29]
	v_lshrrev_b64 v[0:1], 21, v[0:1]
	v_cmp_gt_i32_e64 s[28:29], 32, v2
	v_cndmask_b32_e64 v1, 0, v1, s[28:29]
	v_cndmask_b32_e64 v0, 3, v0, s[28:29]
	v_cmp_eq_u64_e64 s[40:41], 0, v[0:1]
	v_min_i32_e32 v1, 31, v2
	v_lshlrev_b32_e32 v1, 2, v1
	v_cmp_eq_u32_e64 s[28:29], 0, v2
	v_and_b32_e32 v1, 0xfc, v1
	v_and_or_b32 v0, v0, 3, v1
	s_and_b64 s[28:29], s[28:29], s[40:41]
	v_cndmask_b32_e64 v0, v0, 0, s[28:29]
	v_or_b32_e32 v30, v0, v3
.LBB4_6745:                             ;   in Loop: Header=BB4_6521 Depth=3
	s_or_b64 exec, exec, s[48:49]
                                        ; implicit-def: $vgpr3
.LBB4_6746:                             ;   in Loop: Header=BB4_6521 Depth=3
	s_andn2_saveexec_b64 s[28:29], s[38:39]
; %bb.6747:                             ;   in Loop: Header=BB4_6521 Depth=3
	v_or_b32_e32 v30, 0x7b, v3
; %bb.6748:                             ;   in Loop: Header=BB4_6521 Depth=3
	s_or_b64 exec, exec, s[28:29]
                                        ; implicit-def: $vgpr0
.LBB4_6749:                             ;   in Loop: Header=BB4_6521 Depth=3
	s_andn2_saveexec_b64 s[40:41], s[42:43]
	s_cbranch_execz .LBB4_6755
; %bb.6750:                             ;   in Loop: Header=BB4_6521 Depth=3
	v_cmp_ne_u64_e64 s[28:29], 0, v[60:61]
                                        ; implicit-def: $vgpr30
	s_and_saveexec_b64 s[42:43], s[28:29]
	s_xor_b64 s[28:29], exec, s[42:43]
; %bb.6751:                             ;   in Loop: Header=BB4_6521 Depth=3
	v_or_b32_sdwa v30, v0, s44 dst_sel:DWORD dst_unused:UNUSED_PAD src0_sel:BYTE_3 src1_sel:DWORD
                                        ; implicit-def: $vgpr0
; %bb.6752:                             ;   in Loop: Header=BB4_6521 Depth=3
	s_andn2_saveexec_b64 s[42:43], s[28:29]
; %bb.6753:                             ;   in Loop: Header=BB4_6521 Depth=3
	v_cmp_lt_i32_e64 s[28:29], -1, v0
	v_bfrev_b32_e32 v0, 0.5
	v_mov_b32_e32 v1, 0x7c
	v_cndmask_b32_e64 v30, v0, v1, s[28:29]
; %bb.6754:                             ;   in Loop: Header=BB4_6521 Depth=3
	s_or_b64 exec, exec, s[42:43]
.LBB4_6755:                             ;   in Loop: Header=BB4_6521 Depth=3
	s_or_b64 exec, exec, s[40:41]
	v_cmp_lt_u64_e64 s[28:29], s[56:57], v[12:13]
	v_mov_b32_e32 v1, 0
	s_and_saveexec_b64 s[40:41], s[28:29]
	s_cbranch_execz .LBB4_6763
; %bb.6756:                             ;   in Loop: Header=BB4_6521 Depth=3
	v_lshrrev_b32_e32 v0, 24, v13
	v_cmp_ne_u32_e64 s[28:29], s81, v0
	v_bfrev_b32_e32 v1, 1
	s_and_saveexec_b64 s[42:43], s[28:29]
	s_cbranch_execz .LBB4_6762
; %bb.6757:                             ;   in Loop: Header=BB4_6521 Depth=3
	v_and_b32_e32 v1, 0x7c000000, v13
	v_bfe_u32 v2, v13, 24, 2
	v_cmp_ne_u32_e64 s[28:29], s82, v1
                                        ; implicit-def: $vgpr1
	s_and_saveexec_b64 s[38:39], s[28:29]
	s_xor_b64 s[38:39], exec, s[38:39]
	s_cbranch_execz .LBB4_6759
; %bb.6758:                             ;   in Loop: Header=BB4_6521 Depth=3
	v_ffbh_u32_e32 v1, v2
	v_min_u32_e32 v31, 32, v1
	v_subrev_u32_e32 v1, 29, v31
	v_lshlrev_b64 v[0:1], v1, v[0:1]
	v_bfe_u32 v3, v13, 26, 5
	v_sub_u32_e32 v1, 30, v31
	v_and_b32_e32 v0, 3, v0
	v_cmp_eq_u32_e64 s[28:29], 0, v3
	v_cndmask_b32_e64 v1, v3, v1, s[28:29]
	v_cndmask_b32_e64 v0, v2, v0, s[28:29]
	v_and_b32_e32 v2, 0x80000000, v13
	v_lshl_add_u32 v1, v1, 23, v2
	v_lshl_or_b32 v0, v0, 21, v1
	v_add_u32_e32 v1, 0x38000000, v0
                                        ; implicit-def: $vgpr2
.LBB4_6759:                             ;   in Loop: Header=BB4_6521 Depth=3
	s_andn2_saveexec_b64 s[38:39], s[38:39]
; %bb.6760:                             ;   in Loop: Header=BB4_6521 Depth=3
	v_cmp_lt_i64_e64 s[28:29], -1, v[12:13]
	v_mov_b32_e32 v0, 0xff800000
	v_cndmask_b32_e64 v0, v0, v47, s[28:29]
	v_cmp_eq_u32_e64 s[28:29], 0, v2
	v_mov_b32_e32 v1, 0x7f800001
	v_cndmask_b32_e64 v1, v1, v0, s[28:29]
; %bb.6761:                             ;   in Loop: Header=BB4_6521 Depth=3
	s_or_b64 exec, exec, s[38:39]
.LBB4_6762:                             ;   in Loop: Header=BB4_6521 Depth=3
	s_or_b64 exec, exec, s[42:43]
.LBB4_6763:                             ;   in Loop: Header=BB4_6521 Depth=3
	s_or_b64 exec, exec, s[40:41]
	v_bfe_u32 v12, v9, 24, 2
	v_and_b32_e32 v2, 0x7c000000, v9
	v_cmp_eq_u32_e64 s[28:29], s82, v2
	v_ffbh_u32_e32 v2, v12
	v_min_u32_e32 v31, 32, v2
	v_lshrrev_b32_e32 v0, 24, v9
	v_subrev_u32_e32 v2, 29, v31
	v_bfe_u32 v13, v9, 26, 5
	v_lshlrev_b64 v[2:3], v2, v[0:1]
	v_cmp_eq_u32_e64 s[40:41], 0, v13
	v_sub_u32_e32 v3, 30, v31
	v_and_b32_e32 v2, 3, v2
	v_cndmask_b32_e64 v3, v13, v3, s[40:41]
	v_and_b32_e32 v13, 0x80000000, v9
	v_cndmask_b32_e64 v2, v12, v2, s[40:41]
	v_lshl_add_u32 v3, v3, 23, v13
	v_cmp_lt_i64_e64 s[42:43], -1, v[8:9]
	v_lshl_or_b32 v2, v2, 21, v3
	v_mov_b32_e32 v3, 0xff800000
	v_cmp_eq_u32_e64 s[40:41], 0, v12
	v_cndmask_b32_e64 v3, v3, v47, s[42:43]
	v_mov_b32_e32 v12, 0x7f800001
	v_add_u32_e32 v2, 0x38000000, v2
	v_cndmask_b32_e64 v3, v12, v3, s[40:41]
	v_cndmask_b32_e64 v2, v2, v3, s[28:29]
	v_cmp_ne_u32_e64 s[28:29], s81, v0
	v_bfrev_b32_e32 v0, 1
	v_cndmask_b32_e64 v0, v0, v2, s[28:29]
	v_cmp_lt_u64_e64 s[28:29], s[56:57], v[8:9]
	v_mov_b32_e32 v2, v61
	v_cndmask_b32_e64 v0, 0, v0, s[28:29]
	v_mul_f32_e32 v0, v0, v1
	v_and_b32_e32 v1, 0x7f800000, v0
	v_cmp_ne_u64_e64 s[28:29], s[62:63], v[1:2]
	v_and_b32_e32 v60, 0x7fffff, v0
                                        ; implicit-def: $vgpr8
	s_and_saveexec_b64 s[40:41], s[28:29]
	s_xor_b64 s[42:43], exec, s[40:41]
	s_cbranch_execz .LBB4_6777
; %bb.6764:                             ;   in Loop: Header=BB4_6521 Depth=3
	v_and_b32_e32 v1, 0x7fffffff, v0
	v_mov_b32_e32 v2, v61
	v_cmp_gt_u64_e64 s[28:29], s[78:79], v[1:2]
	v_and_b32_sdwa v3, v0, s81 dst_sel:DWORD dst_unused:UNUSED_PAD src0_sel:BYTE_3 src1_sel:DWORD
                                        ; implicit-def: $vgpr8
	s_and_saveexec_b64 s[40:41], s[28:29]
	s_xor_b64 s[38:39], exec, s[40:41]
	s_cbranch_execz .LBB4_6774
; %bb.6765:                             ;   in Loop: Header=BB4_6521 Depth=3
	v_mov_b32_e32 v8, 0
	v_cmp_ne_u32_e64 s[28:29], 0, v0
	s_and_saveexec_b64 s[48:49], s[28:29]
	s_cbranch_execz .LBB4_6773
; %bb.6766:                             ;   in Loop: Header=BB4_6521 Depth=3
	v_bfe_u32 v8, v0, 23, 8
	v_cmp_gt_u32_e64 s[40:41], s47, v8
	v_sub_u32_e32 v0, 0x71, v8
	v_cmp_eq_u32_e64 s[28:29], 0, v8
	v_cndmask_b32_e64 v0, 0, v0, s[40:41]
	v_mov_b32_e32 v2, 0x70
	v_cndmask_b32_e64 v9, v0, v2, s[28:29]
	v_add_u32_e32 v2, 21, v9
	v_or_b32_e32 v1, 0x800000, v60
	v_lshlrev_b64 v[12:13], v2, -1
	v_cndmask_b32_e64 v0, v1, v60, s[28:29]
	v_mov_b32_e32 v1, v61
	v_add_u32_e32 v2, 20, v9
	v_bfi_b32 v12, v12, 0, v0
	v_lshlrev_b64 v[34:35], v2, 1
	v_lshrrev_b64 v[0:1], v9, v[0:1]
	v_bfi_b32 v13, v13, 0, 0
	v_cmp_eq_u64_e64 s[40:41], v[12:13], v[34:35]
	v_mov_b32_e32 v2, v1
	v_mov_b32_e32 v1, v0
	s_and_saveexec_b64 s[50:51], s[40:41]
; %bb.6767:                             ;   in Loop: Header=BB4_6521 Depth=3
	v_bfe_u32 v1, v0, 21, 1
	v_add_co_u32_e64 v1, s[40:41], v0, v1
	v_add_co_u32_e64 v1, s[40:41], -1, v1
; %bb.6768:                             ;   in Loop: Header=BB4_6521 Depth=3
	s_or_b64 exec, exec, s[50:51]
	v_add_u32_e32 v2, 0xffffff81, v8
	v_mov_b32_e32 v8, 0xffffff82
	v_cndmask_b32_e64 v2, v2, v8, s[28:29]
	v_lshrrev_b32_e32 v8, 23, v0
	v_add3_u32 v9, v9, v2, v8
	v_add_u32_e32 v8, 14, v9
	v_and_b32_e32 v1, 0x1fffff, v1
	v_add_u32_e32 v60, v1, v0
	v_cmp_ne_u32_e64 s[28:29], 0, v8
                                        ; implicit-def: $vgpr0_vgpr1
                                        ; implicit-def: $vgpr2
	s_and_saveexec_b64 s[40:41], s[28:29]
	s_xor_b64 s[40:41], exec, s[40:41]
; %bb.6769:                             ;   in Loop: Header=BB4_6521 Depth=3
	v_cmp_lt_u64_e64 s[28:29], s[88:89], v[60:61]
	v_add_u32_e32 v0, 15, v9
	v_cndmask_b32_e64 v2, v8, v0, s[28:29]
	v_cndmask_b32_e64 v0, 0, 1, s[28:29]
	v_lshrrev_b64 v[0:1], v0, v[60:61]
; %bb.6770:                             ;   in Loop: Header=BB4_6521 Depth=3
	s_andn2_saveexec_b64 s[28:29], s[40:41]
; %bb.6771:                             ;   in Loop: Header=BB4_6521 Depth=3
	v_mov_b32_e32 v0, v60
	v_mov_b32_e32 v1, v61
	v_bfe_u32 v2, v60, 23, 1
; %bb.6772:                             ;   in Loop: Header=BB4_6521 Depth=3
	s_or_b64 exec, exec, s[28:29]
	v_lshrrev_b64 v[0:1], 21, v[0:1]
	v_cmp_gt_i32_e64 s[28:29], 32, v2
	v_cndmask_b32_e64 v1, 0, v1, s[28:29]
	v_cndmask_b32_e64 v0, 3, v0, s[28:29]
	v_cmp_eq_u64_e64 s[40:41], 0, v[0:1]
	v_min_i32_e32 v1, 31, v2
	v_lshlrev_b32_e32 v1, 2, v1
	v_cmp_eq_u32_e64 s[28:29], 0, v2
	v_and_b32_e32 v1, 0xfc, v1
	v_and_or_b32 v0, v0, 3, v1
	s_and_b64 s[28:29], s[28:29], s[40:41]
	v_cndmask_b32_e64 v0, v0, 0, s[28:29]
	v_or_b32_e32 v8, v0, v3
.LBB4_6773:                             ;   in Loop: Header=BB4_6521 Depth=3
	s_or_b64 exec, exec, s[48:49]
                                        ; implicit-def: $vgpr3
.LBB4_6774:                             ;   in Loop: Header=BB4_6521 Depth=3
	s_andn2_saveexec_b64 s[28:29], s[38:39]
; %bb.6775:                             ;   in Loop: Header=BB4_6521 Depth=3
	v_or_b32_e32 v8, 0x7b, v3
; %bb.6776:                             ;   in Loop: Header=BB4_6521 Depth=3
	s_or_b64 exec, exec, s[28:29]
                                        ; implicit-def: $vgpr0
.LBB4_6777:                             ;   in Loop: Header=BB4_6521 Depth=3
	s_andn2_saveexec_b64 s[40:41], s[42:43]
	s_cbranch_execz .LBB4_6783
; %bb.6778:                             ;   in Loop: Header=BB4_6521 Depth=3
	v_cmp_ne_u64_e64 s[28:29], 0, v[60:61]
                                        ; implicit-def: $vgpr8
	s_and_saveexec_b64 s[42:43], s[28:29]
	s_xor_b64 s[28:29], exec, s[42:43]
; %bb.6779:                             ;   in Loop: Header=BB4_6521 Depth=3
	v_or_b32_sdwa v8, v0, s44 dst_sel:DWORD dst_unused:UNUSED_PAD src0_sel:BYTE_3 src1_sel:DWORD
                                        ; implicit-def: $vgpr0
; %bb.6780:                             ;   in Loop: Header=BB4_6521 Depth=3
	s_andn2_saveexec_b64 s[42:43], s[28:29]
; %bb.6781:                             ;   in Loop: Header=BB4_6521 Depth=3
	v_cmp_lt_i32_e64 s[28:29], -1, v0
	v_bfrev_b32_e32 v0, 0.5
	v_mov_b32_e32 v1, 0x7c
	v_cndmask_b32_e64 v8, v0, v1, s[28:29]
; %bb.6782:                             ;   in Loop: Header=BB4_6521 Depth=3
	s_or_b64 exec, exec, s[42:43]
.LBB4_6783:                             ;   in Loop: Header=BB4_6521 Depth=3
	s_or_b64 exec, exec, s[40:41]
	v_cmp_ne_u16_sdwa s[28:29], v14, v61 src0_sel:BYTE_0 src1_sel:DWORD
	v_mov_b32_e32 v0, 0
	s_and_saveexec_b64 s[40:41], s[28:29]
	s_cbranch_execz .LBB4_6791
; %bb.6784:                             ;   in Loop: Header=BB4_6521 Depth=3
	v_cmp_ne_u16_sdwa s[28:29], sext(v14), s70 src0_sel:BYTE_0 src1_sel:DWORD
	v_bfrev_b32_e32 v0, 1
	s_and_saveexec_b64 s[42:43], s[28:29]
	s_cbranch_execz .LBB4_6790
; %bb.6785:                             ;   in Loop: Header=BB4_6521 Depth=3
	v_and_b32_e32 v0, 0x7c, v14
	v_and_b32_e32 v1, 3, v14
	v_cmp_ne_u32_e64 s[28:29], s71, v0
                                        ; implicit-def: $vgpr0
	s_and_saveexec_b64 s[38:39], s[28:29]
	s_xor_b64 s[38:39], exec, s[38:39]
	s_cbranch_execz .LBB4_6787
; %bb.6786:                             ;   in Loop: Header=BB4_6521 Depth=3
	v_ffbh_u32_e32 v2, v1
	v_min_u32_e32 v9, 32, v2
	v_subrev_u32_e32 v2, 29, v9
	v_lshlrev_b64 v[2:3], v2, v[14:15]
	v_bfe_u32 v0, v14, 2, 5
	v_and_b32_e32 v2, 3, v2
	v_cmp_eq_u32_e64 s[28:29], 0, v0
	v_sub_u32_e32 v3, 30, v9
	v_cndmask_b32_e64 v1, v1, v2, s[28:29]
	v_lshlrev_b32_e32 v2, 24, v14
	v_cndmask_b32_e64 v0, v0, v3, s[28:29]
	v_and_b32_e32 v2, 0x80000000, v2
	v_lshl_add_u32 v0, v0, 23, v2
	v_lshl_or_b32 v0, v1, 21, v0
	v_add_u32_e32 v0, 0x38000000, v0
                                        ; implicit-def: $vgpr1
.LBB4_6787:                             ;   in Loop: Header=BB4_6521 Depth=3
	s_andn2_saveexec_b64 s[38:39], s[38:39]
; %bb.6788:                             ;   in Loop: Header=BB4_6521 Depth=3
	v_mov_b32_e32 v0, -1
	v_cmp_gt_i16_sdwa s[28:29], sext(v14), v0 src0_sel:BYTE_0 src1_sel:DWORD
	v_mov_b32_e32 v0, 0xff800000
	v_cndmask_b32_e64 v0, v0, v47, s[28:29]
	v_cmp_eq_u32_e64 s[28:29], 0, v1
	v_mov_b32_e32 v1, 0x7f800001
	v_cndmask_b32_e64 v0, v1, v0, s[28:29]
; %bb.6789:                             ;   in Loop: Header=BB4_6521 Depth=3
	s_or_b64 exec, exec, s[38:39]
.LBB4_6790:                             ;   in Loop: Header=BB4_6521 Depth=3
	s_or_b64 exec, exec, s[42:43]
.LBB4_6791:                             ;   in Loop: Header=BB4_6521 Depth=3
	s_or_b64 exec, exec, s[40:41]
	v_cmp_gt_i16_sdwa s[40:41], v10, s44 src0_sel:BYTE_0 src1_sel:DWORD
	s_mov_b64 s[28:29], 0
	s_and_saveexec_b64 s[42:43], s[40:41]
	s_xor_b64 s[40:41], exec, s[42:43]
	s_cbranch_execz .LBB4_7054
; %bb.6792:                             ;   in Loop: Header=BB4_6521 Depth=3
	v_cmp_eq_u16_sdwa s[38:39], v10, s81 src0_sel:BYTE_0 src1_sel:DWORD
	s_mov_b64 s[28:29], -1
	s_and_saveexec_b64 s[42:43], s[38:39]
; %bb.6793:                             ;   in Loop: Header=BB4_6521 Depth=3
	s_xor_b64 s[28:29], exec, -1
; %bb.6794:                             ;   in Loop: Header=BB4_6521 Depth=3
	s_or_b64 exec, exec, s[42:43]
	s_and_b64 s[28:29], s[28:29], exec
	s_or_saveexec_b64 s[40:41], s[40:41]
	v_bfrev_b32_e32 v1, 1
	s_xor_b64 exec, exec, s[40:41]
	s_cbranch_execnz .LBB4_7055
.LBB4_6795:                             ;   in Loop: Header=BB4_6521 Depth=3
	s_or_b64 exec, exec, s[40:41]
	s_and_saveexec_b64 s[38:39], s[28:29]
	s_cbranch_execz .LBB4_6797
.LBB4_6796:                             ;   in Loop: Header=BB4_6521 Depth=3
	v_and_b32_e32 v3, 3, v10
	v_and_b32_e32 v1, 0x7c, v10
	v_cmp_eq_u32_e64 s[28:29], s71, v1
	v_ffbh_u32_e32 v1, v3
	v_min_u32_e32 v12, 32, v1
	v_subrev_u32_e32 v1, 29, v12
	v_bfe_u32 v9, v10, 2, 5
	v_lshlrev_b64 v[1:2], v1, v[10:11]
	v_cmp_eq_u32_e64 s[40:41], 0, v9
	v_sub_u32_e32 v2, 30, v12
	v_cndmask_b32_e64 v2, v9, v2, s[40:41]
	v_lshlrev_b32_e32 v9, 24, v10
	v_and_b32_e32 v1, 3, v1
	v_and_b32_e32 v9, 0x80000000, v9
	v_cndmask_b32_e64 v1, v3, v1, s[40:41]
	v_lshl_add_u32 v2, v2, 23, v9
	v_lshl_or_b32 v1, v1, 21, v2
	v_mov_b32_e32 v2, -1
	v_cmp_gt_i16_sdwa s[42:43], sext(v10), v2 src0_sel:BYTE_0 src1_sel:DWORD
	v_mov_b32_e32 v2, 0xff800000
	v_cmp_eq_u32_e64 s[40:41], 0, v3
	v_cndmask_b32_e64 v2, v2, v47, s[42:43]
	v_mov_b32_e32 v3, 0x7f800001
	v_add_u32_e32 v1, 0x38000000, v1
	v_cndmask_b32_e64 v2, v3, v2, s[40:41]
	v_cndmask_b32_e64 v1, v1, v2, s[28:29]
.LBB4_6797:                             ;   in Loop: Header=BB4_6521 Depth=3
	s_or_b64 exec, exec, s[38:39]
	v_mul_f32_e32 v0, v0, v1
	v_and_b32_e32 v1, 0x7f800000, v0
	v_mov_b32_e32 v2, v61
	v_cmp_ne_u64_e64 s[28:29], s[62:63], v[1:2]
	v_and_b32_e32 v60, 0x7fffff, v0
                                        ; implicit-def: $vgpr9
	s_and_saveexec_b64 s[40:41], s[28:29]
	s_xor_b64 s[42:43], exec, s[40:41]
	s_cbranch_execz .LBB4_6811
; %bb.6798:                             ;   in Loop: Header=BB4_6521 Depth=3
	v_and_b32_e32 v1, 0x7fffffff, v0
	v_mov_b32_e32 v2, v61
	v_cmp_gt_u64_e64 s[28:29], s[78:79], v[1:2]
	v_and_b32_sdwa v3, v0, s81 dst_sel:DWORD dst_unused:UNUSED_PAD src0_sel:BYTE_3 src1_sel:DWORD
                                        ; implicit-def: $vgpr9
	s_and_saveexec_b64 s[40:41], s[28:29]
	s_xor_b64 s[38:39], exec, s[40:41]
	s_cbranch_execz .LBB4_6808
; %bb.6799:                             ;   in Loop: Header=BB4_6521 Depth=3
	v_mov_b32_e32 v9, 0
	v_cmp_ne_u32_e64 s[28:29], 0, v0
	s_and_saveexec_b64 s[48:49], s[28:29]
	s_cbranch_execz .LBB4_6807
; %bb.6800:                             ;   in Loop: Header=BB4_6521 Depth=3
	v_bfe_u32 v9, v0, 23, 8
	v_cmp_gt_u32_e64 s[40:41], s47, v9
	v_sub_u32_e32 v0, 0x71, v9
	v_cmp_eq_u32_e64 s[28:29], 0, v9
	v_cndmask_b32_e64 v0, 0, v0, s[40:41]
	v_mov_b32_e32 v2, 0x70
	v_cndmask_b32_e64 v12, v0, v2, s[28:29]
	v_add_u32_e32 v2, 21, v12
	v_or_b32_e32 v1, 0x800000, v60
	v_lshlrev_b64 v[34:35], v2, -1
	v_cndmask_b32_e64 v0, v1, v60, s[28:29]
	v_mov_b32_e32 v1, v61
	v_add_u32_e32 v2, 20, v12
	v_bfi_b32 v34, v34, 0, v0
	v_lshlrev_b64 v[36:37], v2, 1
	v_lshrrev_b64 v[0:1], v12, v[0:1]
	v_bfi_b32 v35, v35, 0, 0
	v_cmp_eq_u64_e64 s[40:41], v[34:35], v[36:37]
	v_mov_b32_e32 v2, v1
	v_mov_b32_e32 v1, v0
	s_and_saveexec_b64 s[50:51], s[40:41]
; %bb.6801:                             ;   in Loop: Header=BB4_6521 Depth=3
	v_bfe_u32 v1, v0, 21, 1
	v_add_co_u32_e64 v1, s[40:41], v0, v1
	v_add_co_u32_e64 v1, s[40:41], -1, v1
; %bb.6802:                             ;   in Loop: Header=BB4_6521 Depth=3
	s_or_b64 exec, exec, s[50:51]
	v_add_u32_e32 v2, 0xffffff81, v9
	v_mov_b32_e32 v9, 0xffffff82
	v_cndmask_b32_e64 v2, v2, v9, s[28:29]
	v_lshrrev_b32_e32 v9, 23, v0
	v_add3_u32 v12, v12, v2, v9
	v_add_u32_e32 v9, 14, v12
	v_and_b32_e32 v1, 0x1fffff, v1
	v_add_u32_e32 v60, v1, v0
	v_cmp_ne_u32_e64 s[28:29], 0, v9
                                        ; implicit-def: $vgpr0_vgpr1
                                        ; implicit-def: $vgpr2
	s_and_saveexec_b64 s[40:41], s[28:29]
	s_xor_b64 s[40:41], exec, s[40:41]
; %bb.6803:                             ;   in Loop: Header=BB4_6521 Depth=3
	v_cmp_lt_u64_e64 s[28:29], s[88:89], v[60:61]
	v_add_u32_e32 v0, 15, v12
	v_cndmask_b32_e64 v2, v9, v0, s[28:29]
	v_cndmask_b32_e64 v0, 0, 1, s[28:29]
	v_lshrrev_b64 v[0:1], v0, v[60:61]
; %bb.6804:                             ;   in Loop: Header=BB4_6521 Depth=3
	s_andn2_saveexec_b64 s[28:29], s[40:41]
; %bb.6805:                             ;   in Loop: Header=BB4_6521 Depth=3
	v_mov_b32_e32 v0, v60
	v_mov_b32_e32 v1, v61
	v_bfe_u32 v2, v60, 23, 1
; %bb.6806:                             ;   in Loop: Header=BB4_6521 Depth=3
	s_or_b64 exec, exec, s[28:29]
	v_lshrrev_b64 v[0:1], 21, v[0:1]
	v_cmp_gt_i32_e64 s[28:29], 32, v2
	v_cndmask_b32_e64 v1, 0, v1, s[28:29]
	v_cndmask_b32_e64 v0, 3, v0, s[28:29]
	v_cmp_eq_u64_e64 s[40:41], 0, v[0:1]
	v_min_i32_e32 v1, 31, v2
	v_lshlrev_b32_e32 v1, 2, v1
	v_cmp_eq_u32_e64 s[28:29], 0, v2
	v_and_b32_e32 v1, 0xfc, v1
	v_and_or_b32 v0, v0, 3, v1
	s_and_b64 s[28:29], s[28:29], s[40:41]
	v_cndmask_b32_e64 v0, v0, 0, s[28:29]
	v_or_b32_e32 v9, v0, v3
.LBB4_6807:                             ;   in Loop: Header=BB4_6521 Depth=3
	s_or_b64 exec, exec, s[48:49]
                                        ; implicit-def: $vgpr3
.LBB4_6808:                             ;   in Loop: Header=BB4_6521 Depth=3
	s_andn2_saveexec_b64 s[28:29], s[38:39]
; %bb.6809:                             ;   in Loop: Header=BB4_6521 Depth=3
	v_or_b32_e32 v9, 0x7b, v3
; %bb.6810:                             ;   in Loop: Header=BB4_6521 Depth=3
	s_or_b64 exec, exec, s[28:29]
                                        ; implicit-def: $vgpr0
.LBB4_6811:                             ;   in Loop: Header=BB4_6521 Depth=3
	s_andn2_saveexec_b64 s[40:41], s[42:43]
	s_cbranch_execz .LBB4_6817
; %bb.6812:                             ;   in Loop: Header=BB4_6521 Depth=3
	v_cmp_ne_u64_e64 s[28:29], 0, v[60:61]
                                        ; implicit-def: $vgpr9
	s_and_saveexec_b64 s[42:43], s[28:29]
	s_xor_b64 s[28:29], exec, s[42:43]
; %bb.6813:                             ;   in Loop: Header=BB4_6521 Depth=3
	v_or_b32_sdwa v9, v0, s44 dst_sel:DWORD dst_unused:UNUSED_PAD src0_sel:BYTE_3 src1_sel:DWORD
                                        ; implicit-def: $vgpr0
; %bb.6814:                             ;   in Loop: Header=BB4_6521 Depth=3
	s_andn2_saveexec_b64 s[42:43], s[28:29]
; %bb.6815:                             ;   in Loop: Header=BB4_6521 Depth=3
	v_cmp_lt_i32_e64 s[28:29], -1, v0
	v_bfrev_b32_e32 v0, 0.5
	v_mov_b32_e32 v1, 0x7c
	v_cndmask_b32_e64 v9, v0, v1, s[28:29]
; %bb.6816:                             ;   in Loop: Header=BB4_6521 Depth=3
	s_or_b64 exec, exec, s[42:43]
.LBB4_6817:                             ;   in Loop: Header=BB4_6521 Depth=3
	s_or_b64 exec, exec, s[40:41]
	v_lshrrev_b16_e32 v0, 8, v14
	v_cmp_ne_u16_e64 s[28:29], 0, v0
	v_mov_b32_e32 v2, 0
	s_and_saveexec_b64 s[40:41], s[28:29]
	s_cbranch_execz .LBB4_6825
; %bb.6818:                             ;   in Loop: Header=BB4_6521 Depth=3
	v_cmp_ne_u16_e64 s[28:29], s81, v0
	v_bfrev_b32_e32 v2, 1
	s_and_saveexec_b64 s[42:43], s[28:29]
	s_cbranch_execz .LBB4_6824
; %bb.6819:                             ;   in Loop: Header=BB4_6521 Depth=3
	v_and_b32_e32 v1, 0x7c, v0
	v_and_b32_e32 v3, 3, v0
	v_cmp_ne_u32_e64 s[28:29], s71, v1
                                        ; implicit-def: $vgpr2
	s_and_saveexec_b64 s[38:39], s[28:29]
	s_xor_b64 s[38:39], exec, s[38:39]
	s_cbranch_execz .LBB4_6821
; %bb.6820:                             ;   in Loop: Header=BB4_6521 Depth=3
	v_ffbh_u32_e32 v12, v3
	v_min_u32_e32 v12, 32, v12
	v_mov_b32_e32 v1, v61
	v_subrev_u32_e32 v13, 29, v12
	v_bfe_u32 v2, v0, 2, 5
	v_lshlrev_b64 v[0:1], v13, v[0:1]
	v_sub_u32_e32 v1, 30, v12
	v_cmp_eq_u32_e64 s[28:29], 0, v2
	v_cndmask_b32_e64 v1, v2, v1, s[28:29]
	v_lshlrev_b32_e32 v2, 16, v14
	v_and_b32_e32 v0, 3, v0
	v_and_b32_e32 v2, 0x80000000, v2
	v_cndmask_b32_e64 v0, v3, v0, s[28:29]
	v_lshl_add_u32 v1, v1, 23, v2
	v_lshl_or_b32 v0, v0, 21, v1
	v_add_u32_e32 v2, 0x38000000, v0
                                        ; implicit-def: $vgpr3
.LBB4_6821:                             ;   in Loop: Header=BB4_6521 Depth=3
	s_andn2_saveexec_b64 s[38:39], s[38:39]
; %bb.6822:                             ;   in Loop: Header=BB4_6521 Depth=3
	v_cmp_lt_i16_e64 s[28:29], -1, v14
	v_mov_b32_e32 v0, 0xff800000
	v_cndmask_b32_e64 v0, v0, v47, s[28:29]
	v_cmp_eq_u32_e64 s[28:29], 0, v3
	v_mov_b32_e32 v1, 0x7f800001
	v_cndmask_b32_e64 v2, v1, v0, s[28:29]
; %bb.6823:                             ;   in Loop: Header=BB4_6521 Depth=3
	s_or_b64 exec, exec, s[38:39]
.LBB4_6824:                             ;   in Loop: Header=BB4_6521 Depth=3
	s_or_b64 exec, exec, s[42:43]
.LBB4_6825:                             ;   in Loop: Header=BB4_6521 Depth=3
	s_or_b64 exec, exec, s[40:41]
	v_lshrrev_b16_e32 v0, 8, v10
	v_cmp_lt_i16_e64 s[28:29], s44, v0
	s_mov_b64 s[40:41], 0
	s_and_saveexec_b64 s[42:43], s[28:29]
	s_xor_b64 s[42:43], exec, s[42:43]
	s_cbranch_execz .LBB4_7056
; %bb.6826:                             ;   in Loop: Header=BB4_6521 Depth=3
	v_cmp_eq_u16_e64 s[28:29], s81, v0
	s_mov_b64 s[40:41], -1
	s_and_saveexec_b64 s[38:39], s[28:29]
; %bb.6827:                             ;   in Loop: Header=BB4_6521 Depth=3
	s_xor_b64 s[40:41], exec, -1
; %bb.6828:                             ;   in Loop: Header=BB4_6521 Depth=3
	s_or_b64 exec, exec, s[38:39]
	s_and_b64 s[40:41], s[40:41], exec
	s_or_saveexec_b64 s[42:43], s[42:43]
	v_bfrev_b32_e32 v1, 1
	s_xor_b64 exec, exec, s[42:43]
	s_cbranch_execnz .LBB4_7057
.LBB4_6829:                             ;   in Loop: Header=BB4_6521 Depth=3
	s_or_b64 exec, exec, s[42:43]
	s_and_saveexec_b64 s[38:39], s[40:41]
	s_cbranch_execz .LBB4_6831
.LBB4_6830:                             ;   in Loop: Header=BB4_6521 Depth=3
	v_and_b32_e32 v3, 3, v0
	v_and_b32_e32 v12, 0x7c, v0
	v_cmp_eq_u32_e64 s[28:29], s71, v12
	v_ffbh_u32_e32 v12, v3
	v_min_u32_e32 v34, 32, v12
	v_mov_b32_e32 v1, v61
	v_subrev_u32_e32 v12, 29, v34
	v_bfe_u32 v31, v0, 2, 5
	v_lshlrev_b64 v[12:13], v12, v[0:1]
	v_cmp_eq_u32_e64 s[40:41], 0, v31
	v_sub_u32_e32 v1, 30, v34
	v_lshlrev_b32_e32 v0, 24, v0
	v_and_b32_e32 v12, 3, v12
	v_cndmask_b32_e64 v1, v31, v1, s[40:41]
	v_and_b32_e32 v0, 0x80000000, v0
	v_cndmask_b32_e64 v12, v3, v12, s[40:41]
	v_lshl_add_u32 v0, v1, 23, v0
	v_cmp_lt_i16_e64 s[42:43], -1, v10
	v_mov_b32_e32 v1, 0xff800000
	v_lshl_or_b32 v0, v12, 21, v0
	v_cmp_eq_u32_e64 s[40:41], 0, v3
	v_cndmask_b32_e64 v1, v1, v47, s[42:43]
	v_mov_b32_e32 v3, 0x7f800001
	v_add_u32_e32 v0, 0x38000000, v0
	v_cndmask_b32_e64 v1, v3, v1, s[40:41]
	v_cndmask_b32_e64 v1, v0, v1, s[28:29]
.LBB4_6831:                             ;   in Loop: Header=BB4_6521 Depth=3
	s_or_b64 exec, exec, s[38:39]
	v_mul_f32_e32 v0, v2, v1
	v_and_b32_e32 v1, 0x7f800000, v0
	v_mov_b32_e32 v2, v61
	v_cmp_ne_u64_e64 s[28:29], s[62:63], v[1:2]
	v_and_b32_e32 v60, 0x7fffff, v0
                                        ; implicit-def: $vgpr12
	s_and_saveexec_b64 s[40:41], s[28:29]
	s_xor_b64 s[42:43], exec, s[40:41]
	s_cbranch_execz .LBB4_6845
; %bb.6832:                             ;   in Loop: Header=BB4_6521 Depth=3
	v_and_b32_e32 v1, 0x7fffffff, v0
	v_mov_b32_e32 v2, v61
	v_cmp_gt_u64_e64 s[28:29], s[78:79], v[1:2]
	v_and_b32_sdwa v3, v0, s81 dst_sel:DWORD dst_unused:UNUSED_PAD src0_sel:BYTE_3 src1_sel:DWORD
                                        ; implicit-def: $vgpr12
	s_and_saveexec_b64 s[40:41], s[28:29]
	s_xor_b64 s[38:39], exec, s[40:41]
	s_cbranch_execz .LBB4_6842
; %bb.6833:                             ;   in Loop: Header=BB4_6521 Depth=3
	v_mov_b32_e32 v12, 0
	v_cmp_ne_u32_e64 s[28:29], 0, v0
	s_and_saveexec_b64 s[48:49], s[28:29]
	s_cbranch_execz .LBB4_6841
; %bb.6834:                             ;   in Loop: Header=BB4_6521 Depth=3
	v_bfe_u32 v12, v0, 23, 8
	v_cmp_gt_u32_e64 s[40:41], s47, v12
	v_sub_u32_e32 v0, 0x71, v12
	v_cmp_eq_u32_e64 s[28:29], 0, v12
	v_cndmask_b32_e64 v0, 0, v0, s[40:41]
	v_mov_b32_e32 v2, 0x70
	v_cndmask_b32_e64 v13, v0, v2, s[28:29]
	v_add_u32_e32 v2, 21, v13
	v_or_b32_e32 v1, 0x800000, v60
	v_lshlrev_b64 v[34:35], v2, -1
	v_cndmask_b32_e64 v0, v1, v60, s[28:29]
	v_mov_b32_e32 v1, v61
	v_add_u32_e32 v2, 20, v13
	v_bfi_b32 v34, v34, 0, v0
	v_lshlrev_b64 v[36:37], v2, 1
	v_lshrrev_b64 v[0:1], v13, v[0:1]
	v_bfi_b32 v35, v35, 0, 0
	v_cmp_eq_u64_e64 s[40:41], v[34:35], v[36:37]
	v_mov_b32_e32 v2, v1
	v_mov_b32_e32 v1, v0
	s_and_saveexec_b64 s[50:51], s[40:41]
; %bb.6835:                             ;   in Loop: Header=BB4_6521 Depth=3
	v_bfe_u32 v1, v0, 21, 1
	v_add_co_u32_e64 v1, s[40:41], v0, v1
	v_add_co_u32_e64 v1, s[40:41], -1, v1
; %bb.6836:                             ;   in Loop: Header=BB4_6521 Depth=3
	s_or_b64 exec, exec, s[50:51]
	v_add_u32_e32 v2, 0xffffff81, v12
	v_mov_b32_e32 v12, 0xffffff82
	v_cndmask_b32_e64 v2, v2, v12, s[28:29]
	v_lshrrev_b32_e32 v12, 23, v0
	v_add3_u32 v13, v13, v2, v12
	v_add_u32_e32 v12, 14, v13
	v_and_b32_e32 v1, 0x1fffff, v1
	v_add_u32_e32 v60, v1, v0
	v_cmp_ne_u32_e64 s[28:29], 0, v12
                                        ; implicit-def: $vgpr0_vgpr1
                                        ; implicit-def: $vgpr2
	s_and_saveexec_b64 s[40:41], s[28:29]
	s_xor_b64 s[40:41], exec, s[40:41]
; %bb.6837:                             ;   in Loop: Header=BB4_6521 Depth=3
	v_cmp_lt_u64_e64 s[28:29], s[88:89], v[60:61]
	v_add_u32_e32 v0, 15, v13
	v_cndmask_b32_e64 v2, v12, v0, s[28:29]
	v_cndmask_b32_e64 v0, 0, 1, s[28:29]
	v_lshrrev_b64 v[0:1], v0, v[60:61]
; %bb.6838:                             ;   in Loop: Header=BB4_6521 Depth=3
	s_andn2_saveexec_b64 s[28:29], s[40:41]
; %bb.6839:                             ;   in Loop: Header=BB4_6521 Depth=3
	v_mov_b32_e32 v0, v60
	v_mov_b32_e32 v1, v61
	v_bfe_u32 v2, v60, 23, 1
; %bb.6840:                             ;   in Loop: Header=BB4_6521 Depth=3
	s_or_b64 exec, exec, s[28:29]
	v_lshrrev_b64 v[0:1], 21, v[0:1]
	v_cmp_gt_i32_e64 s[28:29], 32, v2
	v_cndmask_b32_e64 v1, 0, v1, s[28:29]
	v_cndmask_b32_e64 v0, 3, v0, s[28:29]
	v_cmp_eq_u64_e64 s[40:41], 0, v[0:1]
	v_min_i32_e32 v1, 31, v2
	v_lshlrev_b32_e32 v1, 2, v1
	v_cmp_eq_u32_e64 s[28:29], 0, v2
	v_and_b32_e32 v1, 0xfc, v1
	v_and_or_b32 v0, v0, 3, v1
	s_and_b64 s[28:29], s[28:29], s[40:41]
	v_cndmask_b32_e64 v0, v0, 0, s[28:29]
	v_or_b32_e32 v12, v0, v3
.LBB4_6841:                             ;   in Loop: Header=BB4_6521 Depth=3
	s_or_b64 exec, exec, s[48:49]
                                        ; implicit-def: $vgpr3
.LBB4_6842:                             ;   in Loop: Header=BB4_6521 Depth=3
	s_andn2_saveexec_b64 s[28:29], s[38:39]
; %bb.6843:                             ;   in Loop: Header=BB4_6521 Depth=3
	v_or_b32_e32 v12, 0x7b, v3
; %bb.6844:                             ;   in Loop: Header=BB4_6521 Depth=3
	s_or_b64 exec, exec, s[28:29]
                                        ; implicit-def: $vgpr0
.LBB4_6845:                             ;   in Loop: Header=BB4_6521 Depth=3
	s_andn2_saveexec_b64 s[40:41], s[42:43]
	s_cbranch_execz .LBB4_6851
; %bb.6846:                             ;   in Loop: Header=BB4_6521 Depth=3
	v_cmp_ne_u64_e64 s[28:29], 0, v[60:61]
                                        ; implicit-def: $vgpr12
	s_and_saveexec_b64 s[42:43], s[28:29]
	s_xor_b64 s[28:29], exec, s[42:43]
; %bb.6847:                             ;   in Loop: Header=BB4_6521 Depth=3
	v_or_b32_sdwa v12, v0, s44 dst_sel:DWORD dst_unused:UNUSED_PAD src0_sel:BYTE_3 src1_sel:DWORD
                                        ; implicit-def: $vgpr0
; %bb.6848:                             ;   in Loop: Header=BB4_6521 Depth=3
	s_andn2_saveexec_b64 s[42:43], s[28:29]
; %bb.6849:                             ;   in Loop: Header=BB4_6521 Depth=3
	v_cmp_lt_i32_e64 s[28:29], -1, v0
	v_bfrev_b32_e32 v0, 0.5
	v_mov_b32_e32 v1, 0x7c
	v_cndmask_b32_e64 v12, v0, v1, s[28:29]
; %bb.6850:                             ;   in Loop: Header=BB4_6521 Depth=3
	s_or_b64 exec, exec, s[42:43]
.LBB4_6851:                             ;   in Loop: Header=BB4_6521 Depth=3
	s_or_b64 exec, exec, s[40:41]
	v_lshrrev_b32_e32 v0, 16, v14
	v_cmp_ne_u16_sdwa s[28:29], v0, v61 src0_sel:BYTE_0 src1_sel:DWORD
	v_mov_b32_e32 v1, 0
	s_and_saveexec_b64 s[40:41], s[28:29]
	s_cbranch_execz .LBB4_6859
; %bb.6852:                             ;   in Loop: Header=BB4_6521 Depth=3
	v_cmp_ne_u16_sdwa s[28:29], v0, s81 src0_sel:BYTE_0 src1_sel:DWORD
	v_bfrev_b32_e32 v1, 1
	s_and_saveexec_b64 s[42:43], s[28:29]
	s_cbranch_execz .LBB4_6858
; %bb.6853:                             ;   in Loop: Header=BB4_6521 Depth=3
	v_and_b32_e32 v1, 0x7c0000, v14
	v_bfe_u32 v2, v14, 16, 2
	v_cmp_ne_u32_e64 s[28:29], s45, v1
                                        ; implicit-def: $vgpr1
	s_and_saveexec_b64 s[38:39], s[28:29]
	s_xor_b64 s[38:39], exec, s[38:39]
	s_cbranch_execz .LBB4_6855
; %bb.6854:                             ;   in Loop: Header=BB4_6521 Depth=3
	v_ffbh_u32_e32 v1, v2
	v_min_u32_e32 v13, 32, v1
	v_subrev_u32_e32 v1, 29, v13
	v_lshlrev_b64 v[0:1], v1, v[0:1]
	v_bfe_u32 v3, v14, 18, 5
	v_and_b32_e32 v0, 3, v0
	v_cmp_eq_u32_e64 s[28:29], 0, v3
	v_sub_u32_e32 v1, 30, v13
	v_cndmask_b32_e64 v0, v2, v0, s[28:29]
	v_lshlrev_b32_e32 v2, 8, v14
	v_cndmask_b32_e64 v1, v3, v1, s[28:29]
	v_and_b32_e32 v2, 0x80000000, v2
	v_lshl_add_u32 v1, v1, 23, v2
	v_lshl_or_b32 v0, v0, 21, v1
	v_add_u32_e32 v1, 0x38000000, v0
                                        ; implicit-def: $vgpr2
                                        ; implicit-def: $vgpr0
.LBB4_6855:                             ;   in Loop: Header=BB4_6521 Depth=3
	s_andn2_saveexec_b64 s[38:39], s[38:39]
; %bb.6856:                             ;   in Loop: Header=BB4_6521 Depth=3
	v_mov_b32_e32 v1, -1
	v_cmp_gt_i16_sdwa s[28:29], sext(v0), v1 src0_sel:BYTE_0 src1_sel:DWORD
	v_mov_b32_e32 v0, 0xff800000
	v_cndmask_b32_e64 v0, v0, v47, s[28:29]
	v_cmp_eq_u32_e64 s[28:29], 0, v2
	v_mov_b32_e32 v1, 0x7f800001
	v_cndmask_b32_e64 v1, v1, v0, s[28:29]
; %bb.6857:                             ;   in Loop: Header=BB4_6521 Depth=3
	s_or_b64 exec, exec, s[38:39]
.LBB4_6858:                             ;   in Loop: Header=BB4_6521 Depth=3
	s_or_b64 exec, exec, s[42:43]
.LBB4_6859:                             ;   in Loop: Header=BB4_6521 Depth=3
	s_or_b64 exec, exec, s[40:41]
	v_lshrrev_b32_e32 v0, 16, v10
	v_cmp_gt_i16_sdwa s[40:41], v0, s44 src0_sel:BYTE_0 src1_sel:DWORD
	s_mov_b64 s[28:29], 0
	s_and_saveexec_b64 s[42:43], s[40:41]
	s_xor_b64 s[40:41], exec, s[42:43]
	s_cbranch_execz .LBB4_7058
; %bb.6860:                             ;   in Loop: Header=BB4_6521 Depth=3
	v_cmp_eq_u16_sdwa s[38:39], v0, s81 src0_sel:BYTE_0 src1_sel:DWORD
	s_mov_b64 s[28:29], -1
	s_and_saveexec_b64 s[42:43], s[38:39]
; %bb.6861:                             ;   in Loop: Header=BB4_6521 Depth=3
	s_xor_b64 s[28:29], exec, -1
; %bb.6862:                             ;   in Loop: Header=BB4_6521 Depth=3
	s_or_b64 exec, exec, s[42:43]
	s_and_b64 s[28:29], s[28:29], exec
	s_or_saveexec_b64 s[40:41], s[40:41]
	v_bfrev_b32_e32 v2, 1
	s_xor_b64 exec, exec, s[40:41]
	s_cbranch_execnz .LBB4_7059
.LBB4_6863:                             ;   in Loop: Header=BB4_6521 Depth=3
	s_or_b64 exec, exec, s[40:41]
	s_and_saveexec_b64 s[38:39], s[28:29]
	s_cbranch_execz .LBB4_6865
.LBB4_6864:                             ;   in Loop: Header=BB4_6521 Depth=3
	v_and_b32_e32 v13, 3, v0
	v_and_b32_e32 v2, 0x7c0000, v10
	v_cmp_eq_u32_e64 s[28:29], s45, v2
	v_ffbh_u32_e32 v2, v13
	v_min_u32_e32 v34, 32, v2
	v_subrev_u32_e32 v2, 29, v34
	v_bfe_u32 v31, v10, 18, 5
	v_lshlrev_b64 v[2:3], v2, v[0:1]
	v_cmp_eq_u32_e64 s[40:41], 0, v31
	v_sub_u32_e32 v3, 30, v34
	v_cndmask_b32_e64 v3, v31, v3, s[40:41]
	v_lshlrev_b32_e32 v31, 24, v0
	v_and_b32_e32 v2, 3, v2
	v_and_b32_e32 v31, 0x80000000, v31
	v_cndmask_b32_e64 v2, v13, v2, s[40:41]
	v_lshl_add_u32 v3, v3, 23, v31
	v_lshl_or_b32 v2, v2, 21, v3
	v_mov_b32_e32 v3, -1
	v_cmp_gt_i16_sdwa s[42:43], sext(v0), v3 src0_sel:BYTE_0 src1_sel:DWORD
	v_mov_b32_e32 v0, 0xff800000
	v_cmp_eq_u32_e64 s[40:41], 0, v13
	v_cndmask_b32_e64 v0, v0, v47, s[42:43]
	v_mov_b32_e32 v3, 0x7f800001
	v_add_u32_e32 v2, 0x38000000, v2
	v_cndmask_b32_e64 v0, v3, v0, s[40:41]
	v_cndmask_b32_e64 v2, v2, v0, s[28:29]
.LBB4_6865:                             ;   in Loop: Header=BB4_6521 Depth=3
	s_or_b64 exec, exec, s[38:39]
	v_mul_f32_e32 v0, v1, v2
	v_and_b32_e32 v1, 0x7f800000, v0
	v_mov_b32_e32 v2, v61
	v_cmp_ne_u64_e64 s[28:29], s[62:63], v[1:2]
	v_and_b32_e32 v60, 0x7fffff, v0
                                        ; implicit-def: $vgpr13
	s_and_saveexec_b64 s[40:41], s[28:29]
	s_xor_b64 s[42:43], exec, s[40:41]
	s_cbranch_execz .LBB4_6879
; %bb.6866:                             ;   in Loop: Header=BB4_6521 Depth=3
	v_and_b32_e32 v1, 0x7fffffff, v0
	v_mov_b32_e32 v2, v61
	v_cmp_gt_u64_e64 s[28:29], s[78:79], v[1:2]
	v_and_b32_sdwa v3, v0, s81 dst_sel:DWORD dst_unused:UNUSED_PAD src0_sel:BYTE_3 src1_sel:DWORD
                                        ; implicit-def: $vgpr13
	s_and_saveexec_b64 s[40:41], s[28:29]
	s_xor_b64 s[38:39], exec, s[40:41]
	s_cbranch_execz .LBB4_6876
; %bb.6867:                             ;   in Loop: Header=BB4_6521 Depth=3
	v_mov_b32_e32 v13, 0
	v_cmp_ne_u32_e64 s[28:29], 0, v0
	s_and_saveexec_b64 s[48:49], s[28:29]
	s_cbranch_execz .LBB4_6875
; %bb.6868:                             ;   in Loop: Header=BB4_6521 Depth=3
	v_bfe_u32 v13, v0, 23, 8
	v_cmp_gt_u32_e64 s[40:41], s47, v13
	v_sub_u32_e32 v0, 0x71, v13
	v_cmp_eq_u32_e64 s[28:29], 0, v13
	v_cndmask_b32_e64 v0, 0, v0, s[40:41]
	v_mov_b32_e32 v2, 0x70
	v_cndmask_b32_e64 v31, v0, v2, s[28:29]
	v_add_u32_e32 v2, 21, v31
	v_or_b32_e32 v1, 0x800000, v60
	v_lshlrev_b64 v[34:35], v2, -1
	v_cndmask_b32_e64 v0, v1, v60, s[28:29]
	v_mov_b32_e32 v1, v61
	v_add_u32_e32 v2, 20, v31
	v_bfi_b32 v34, v34, 0, v0
	v_lshlrev_b64 v[36:37], v2, 1
	v_lshrrev_b64 v[0:1], v31, v[0:1]
	v_bfi_b32 v35, v35, 0, 0
	v_cmp_eq_u64_e64 s[40:41], v[34:35], v[36:37]
	v_mov_b32_e32 v2, v1
	v_mov_b32_e32 v1, v0
	s_and_saveexec_b64 s[50:51], s[40:41]
; %bb.6869:                             ;   in Loop: Header=BB4_6521 Depth=3
	v_bfe_u32 v1, v0, 21, 1
	v_add_co_u32_e64 v1, s[40:41], v0, v1
	v_add_co_u32_e64 v1, s[40:41], -1, v1
; %bb.6870:                             ;   in Loop: Header=BB4_6521 Depth=3
	s_or_b64 exec, exec, s[50:51]
	v_add_u32_e32 v2, 0xffffff81, v13
	v_mov_b32_e32 v13, 0xffffff82
	v_cndmask_b32_e64 v2, v2, v13, s[28:29]
	v_lshrrev_b32_e32 v13, 23, v0
	v_add3_u32 v31, v31, v2, v13
	v_add_u32_e32 v13, 14, v31
	v_and_b32_e32 v1, 0x1fffff, v1
	v_add_u32_e32 v60, v1, v0
	v_cmp_ne_u32_e64 s[28:29], 0, v13
                                        ; implicit-def: $vgpr0_vgpr1
                                        ; implicit-def: $vgpr2
	s_and_saveexec_b64 s[40:41], s[28:29]
	s_xor_b64 s[40:41], exec, s[40:41]
; %bb.6871:                             ;   in Loop: Header=BB4_6521 Depth=3
	v_cmp_lt_u64_e64 s[28:29], s[88:89], v[60:61]
	v_add_u32_e32 v0, 15, v31
	v_cndmask_b32_e64 v2, v13, v0, s[28:29]
	v_cndmask_b32_e64 v0, 0, 1, s[28:29]
	v_lshrrev_b64 v[0:1], v0, v[60:61]
; %bb.6872:                             ;   in Loop: Header=BB4_6521 Depth=3
	s_andn2_saveexec_b64 s[28:29], s[40:41]
; %bb.6873:                             ;   in Loop: Header=BB4_6521 Depth=3
	v_mov_b32_e32 v0, v60
	v_mov_b32_e32 v1, v61
	v_bfe_u32 v2, v60, 23, 1
; %bb.6874:                             ;   in Loop: Header=BB4_6521 Depth=3
	s_or_b64 exec, exec, s[28:29]
	v_lshrrev_b64 v[0:1], 21, v[0:1]
	v_cmp_gt_i32_e64 s[28:29], 32, v2
	v_cndmask_b32_e64 v1, 0, v1, s[28:29]
	v_cndmask_b32_e64 v0, 3, v0, s[28:29]
	v_cmp_eq_u64_e64 s[40:41], 0, v[0:1]
	v_min_i32_e32 v1, 31, v2
	v_lshlrev_b32_e32 v1, 2, v1
	v_cmp_eq_u32_e64 s[28:29], 0, v2
	v_and_b32_e32 v1, 0xfc, v1
	v_and_or_b32 v0, v0, 3, v1
	s_and_b64 s[28:29], s[28:29], s[40:41]
	v_cndmask_b32_e64 v0, v0, 0, s[28:29]
	v_or_b32_e32 v13, v0, v3
.LBB4_6875:                             ;   in Loop: Header=BB4_6521 Depth=3
	s_or_b64 exec, exec, s[48:49]
                                        ; implicit-def: $vgpr3
.LBB4_6876:                             ;   in Loop: Header=BB4_6521 Depth=3
	s_andn2_saveexec_b64 s[28:29], s[38:39]
; %bb.6877:                             ;   in Loop: Header=BB4_6521 Depth=3
	v_or_b32_e32 v13, 0x7b, v3
; %bb.6878:                             ;   in Loop: Header=BB4_6521 Depth=3
	s_or_b64 exec, exec, s[28:29]
                                        ; implicit-def: $vgpr0
.LBB4_6879:                             ;   in Loop: Header=BB4_6521 Depth=3
	s_andn2_saveexec_b64 s[40:41], s[42:43]
	s_cbranch_execz .LBB4_6885
; %bb.6880:                             ;   in Loop: Header=BB4_6521 Depth=3
	v_cmp_ne_u64_e64 s[28:29], 0, v[60:61]
                                        ; implicit-def: $vgpr13
	s_and_saveexec_b64 s[42:43], s[28:29]
	s_xor_b64 s[28:29], exec, s[42:43]
; %bb.6881:                             ;   in Loop: Header=BB4_6521 Depth=3
	v_or_b32_sdwa v13, v0, s44 dst_sel:DWORD dst_unused:UNUSED_PAD src0_sel:BYTE_3 src1_sel:DWORD
                                        ; implicit-def: $vgpr0
; %bb.6882:                             ;   in Loop: Header=BB4_6521 Depth=3
	s_andn2_saveexec_b64 s[42:43], s[28:29]
; %bb.6883:                             ;   in Loop: Header=BB4_6521 Depth=3
	v_cmp_lt_i32_e64 s[28:29], -1, v0
	v_bfrev_b32_e32 v0, 0.5
	v_mov_b32_e32 v1, 0x7c
	v_cndmask_b32_e64 v13, v0, v1, s[28:29]
; %bb.6884:                             ;   in Loop: Header=BB4_6521 Depth=3
	s_or_b64 exec, exec, s[42:43]
.LBB4_6885:                             ;   in Loop: Header=BB4_6521 Depth=3
	s_or_b64 exec, exec, s[40:41]
	v_cmp_lt_u32_e64 s[28:29], s57, v14
	v_mov_b32_e32 v1, 0
	s_and_saveexec_b64 s[40:41], s[28:29]
	s_cbranch_execz .LBB4_6893
; %bb.6886:                             ;   in Loop: Header=BB4_6521 Depth=3
	v_lshrrev_b32_e32 v0, 24, v14
	v_cmp_ne_u32_e64 s[28:29], s81, v0
	v_bfrev_b32_e32 v1, 1
	s_and_saveexec_b64 s[42:43], s[28:29]
	s_cbranch_execz .LBB4_6892
; %bb.6887:                             ;   in Loop: Header=BB4_6521 Depth=3
	v_and_b32_e32 v1, 0x7c000000, v14
	v_bfe_u32 v2, v14, 24, 2
	v_cmp_ne_u32_e64 s[28:29], s82, v1
                                        ; implicit-def: $vgpr1
	s_and_saveexec_b64 s[38:39], s[28:29]
	s_xor_b64 s[38:39], exec, s[38:39]
	s_cbranch_execz .LBB4_6889
; %bb.6888:                             ;   in Loop: Header=BB4_6521 Depth=3
	v_ffbh_u32_e32 v1, v2
	v_min_u32_e32 v31, 32, v1
	v_subrev_u32_e32 v1, 29, v31
	v_lshlrev_b64 v[0:1], v1, v[0:1]
	v_bfe_u32 v3, v14, 26, 5
	v_sub_u32_e32 v1, 30, v31
	v_and_b32_e32 v0, 3, v0
	v_cmp_eq_u32_e64 s[28:29], 0, v3
	v_cndmask_b32_e64 v1, v3, v1, s[28:29]
	v_cndmask_b32_e64 v0, v2, v0, s[28:29]
	v_and_b32_e32 v2, 0x80000000, v14
	v_lshl_add_u32 v1, v1, 23, v2
	v_lshl_or_b32 v0, v0, 21, v1
	v_add_u32_e32 v1, 0x38000000, v0
                                        ; implicit-def: $vgpr2
.LBB4_6889:                             ;   in Loop: Header=BB4_6521 Depth=3
	s_andn2_saveexec_b64 s[38:39], s[38:39]
; %bb.6890:                             ;   in Loop: Header=BB4_6521 Depth=3
	v_cmp_lt_i32_e64 s[28:29], -1, v14
	v_mov_b32_e32 v0, 0xff800000
	v_cndmask_b32_e64 v0, v0, v47, s[28:29]
	v_cmp_eq_u32_e64 s[28:29], 0, v2
	v_mov_b32_e32 v1, 0x7f800001
	v_cndmask_b32_e64 v1, v1, v0, s[28:29]
; %bb.6891:                             ;   in Loop: Header=BB4_6521 Depth=3
	s_or_b64 exec, exec, s[38:39]
.LBB4_6892:                             ;   in Loop: Header=BB4_6521 Depth=3
	s_or_b64 exec, exec, s[42:43]
.LBB4_6893:                             ;   in Loop: Header=BB4_6521 Depth=3
	s_or_b64 exec, exec, s[40:41]
	v_bfe_u32 v31, v10, 24, 2
	v_and_b32_e32 v2, 0x7c000000, v10
	v_cmp_eq_u32_e64 s[28:29], s82, v2
	v_ffbh_u32_e32 v2, v31
	v_min_u32_e32 v35, 32, v2
	v_lshrrev_b32_e32 v0, 24, v10
	v_subrev_u32_e32 v2, 29, v35
	v_bfe_u32 v34, v10, 26, 5
	v_lshlrev_b64 v[2:3], v2, v[0:1]
	v_cmp_eq_u32_e64 s[40:41], 0, v34
	v_sub_u32_e32 v3, 30, v35
	v_and_b32_e32 v2, 3, v2
	v_cndmask_b32_e64 v3, v34, v3, s[40:41]
	v_and_b32_e32 v34, 0x80000000, v10
	v_cndmask_b32_e64 v2, v31, v2, s[40:41]
	v_lshl_add_u32 v3, v3, 23, v34
	v_lshl_or_b32 v2, v2, 21, v3
	v_cmp_lt_i32_e64 s[42:43], -1, v10
	v_mov_b32_e32 v3, 0xff800000
	v_cmp_eq_u32_e64 s[40:41], 0, v31
	v_cndmask_b32_e64 v3, v3, v47, s[42:43]
	v_mov_b32_e32 v31, 0x7f800001
	v_add_u32_e32 v2, 0x38000000, v2
	v_cndmask_b32_e64 v3, v31, v3, s[40:41]
	v_cndmask_b32_e64 v2, v2, v3, s[28:29]
	v_cmp_ne_u32_e64 s[28:29], s81, v0
	v_bfrev_b32_e32 v0, 1
	v_cndmask_b32_e64 v0, v0, v2, s[28:29]
	v_cmp_lt_u32_e64 s[28:29], s57, v10
	v_cndmask_b32_e64 v0, 0, v0, s[28:29]
	v_mul_f32_e32 v0, v0, v1
	v_and_b32_e32 v1, 0x7f800000, v0
	v_mov_b32_e32 v2, v61
	v_cmp_ne_u64_e64 s[28:29], s[62:63], v[1:2]
	v_and_b32_e32 v60, 0x7fffff, v0
                                        ; implicit-def: $vgpr31
	s_and_saveexec_b64 s[40:41], s[28:29]
	s_xor_b64 s[42:43], exec, s[40:41]
	s_cbranch_execz .LBB4_6907
; %bb.6894:                             ;   in Loop: Header=BB4_6521 Depth=3
	v_and_b32_e32 v1, 0x7fffffff, v0
	v_mov_b32_e32 v2, v61
	v_cmp_gt_u64_e64 s[28:29], s[78:79], v[1:2]
	v_and_b32_sdwa v3, v0, s81 dst_sel:DWORD dst_unused:UNUSED_PAD src0_sel:BYTE_3 src1_sel:DWORD
                                        ; implicit-def: $vgpr31
	s_and_saveexec_b64 s[40:41], s[28:29]
	s_xor_b64 s[38:39], exec, s[40:41]
	s_cbranch_execz .LBB4_6904
; %bb.6895:                             ;   in Loop: Header=BB4_6521 Depth=3
	v_mov_b32_e32 v31, 0
	v_cmp_ne_u32_e64 s[28:29], 0, v0
	s_and_saveexec_b64 s[48:49], s[28:29]
	s_cbranch_execz .LBB4_6903
; %bb.6896:                             ;   in Loop: Header=BB4_6521 Depth=3
	v_bfe_u32 v31, v0, 23, 8
	v_cmp_gt_u32_e64 s[40:41], s47, v31
	v_sub_u32_e32 v0, 0x71, v31
	v_cmp_eq_u32_e64 s[28:29], 0, v31
	v_cndmask_b32_e64 v0, 0, v0, s[40:41]
	v_mov_b32_e32 v2, 0x70
	v_cndmask_b32_e64 v34, v0, v2, s[28:29]
	v_add_u32_e32 v2, 21, v34
	v_or_b32_e32 v1, 0x800000, v60
	v_lshlrev_b64 v[35:36], v2, -1
	v_cndmask_b32_e64 v0, v1, v60, s[28:29]
	v_mov_b32_e32 v1, v61
	v_add_u32_e32 v2, 20, v34
	v_bfi_b32 v35, v35, 0, v0
	v_lshlrev_b64 v[37:38], v2, 1
	v_lshrrev_b64 v[0:1], v34, v[0:1]
	v_bfi_b32 v36, v36, 0, 0
	v_cmp_eq_u64_e64 s[40:41], v[35:36], v[37:38]
	v_mov_b32_e32 v2, v1
	v_mov_b32_e32 v1, v0
	s_and_saveexec_b64 s[50:51], s[40:41]
; %bb.6897:                             ;   in Loop: Header=BB4_6521 Depth=3
	v_bfe_u32 v1, v0, 21, 1
	v_add_co_u32_e64 v1, s[40:41], v0, v1
	v_add_co_u32_e64 v1, s[40:41], -1, v1
; %bb.6898:                             ;   in Loop: Header=BB4_6521 Depth=3
	s_or_b64 exec, exec, s[50:51]
	v_add_u32_e32 v2, 0xffffff81, v31
	v_mov_b32_e32 v31, 0xffffff82
	v_cndmask_b32_e64 v2, v2, v31, s[28:29]
	v_lshrrev_b32_e32 v31, 23, v0
	v_add3_u32 v34, v34, v2, v31
	v_add_u32_e32 v31, 14, v34
	v_and_b32_e32 v1, 0x1fffff, v1
	v_add_u32_e32 v60, v1, v0
	v_cmp_ne_u32_e64 s[28:29], 0, v31
                                        ; implicit-def: $vgpr0_vgpr1
                                        ; implicit-def: $vgpr2
	s_and_saveexec_b64 s[40:41], s[28:29]
	s_xor_b64 s[40:41], exec, s[40:41]
; %bb.6899:                             ;   in Loop: Header=BB4_6521 Depth=3
	v_cmp_lt_u64_e64 s[28:29], s[88:89], v[60:61]
	v_add_u32_e32 v0, 15, v34
	v_cndmask_b32_e64 v2, v31, v0, s[28:29]
	v_cndmask_b32_e64 v0, 0, 1, s[28:29]
	v_lshrrev_b64 v[0:1], v0, v[60:61]
; %bb.6900:                             ;   in Loop: Header=BB4_6521 Depth=3
	s_andn2_saveexec_b64 s[28:29], s[40:41]
; %bb.6901:                             ;   in Loop: Header=BB4_6521 Depth=3
	v_mov_b32_e32 v0, v60
	v_mov_b32_e32 v1, v61
	v_bfe_u32 v2, v60, 23, 1
; %bb.6902:                             ;   in Loop: Header=BB4_6521 Depth=3
	s_or_b64 exec, exec, s[28:29]
	v_lshrrev_b64 v[0:1], 21, v[0:1]
	v_cmp_gt_i32_e64 s[28:29], 32, v2
	v_cndmask_b32_e64 v1, 0, v1, s[28:29]
	v_cndmask_b32_e64 v0, 3, v0, s[28:29]
	v_cmp_eq_u64_e64 s[40:41], 0, v[0:1]
	v_min_i32_e32 v1, 31, v2
	v_lshlrev_b32_e32 v1, 2, v1
	v_cmp_eq_u32_e64 s[28:29], 0, v2
	v_and_b32_e32 v1, 0xfc, v1
	v_and_or_b32 v0, v0, 3, v1
	s_and_b64 s[28:29], s[28:29], s[40:41]
	v_cndmask_b32_e64 v0, v0, 0, s[28:29]
	v_or_b32_e32 v31, v0, v3
.LBB4_6903:                             ;   in Loop: Header=BB4_6521 Depth=3
	s_or_b64 exec, exec, s[48:49]
                                        ; implicit-def: $vgpr3
.LBB4_6904:                             ;   in Loop: Header=BB4_6521 Depth=3
	s_andn2_saveexec_b64 s[28:29], s[38:39]
; %bb.6905:                             ;   in Loop: Header=BB4_6521 Depth=3
	v_or_b32_e32 v31, 0x7b, v3
; %bb.6906:                             ;   in Loop: Header=BB4_6521 Depth=3
	s_or_b64 exec, exec, s[28:29]
                                        ; implicit-def: $vgpr0
.LBB4_6907:                             ;   in Loop: Header=BB4_6521 Depth=3
	s_andn2_saveexec_b64 s[40:41], s[42:43]
	s_cbranch_execz .LBB4_6913
; %bb.6908:                             ;   in Loop: Header=BB4_6521 Depth=3
	v_cmp_ne_u64_e64 s[28:29], 0, v[60:61]
                                        ; implicit-def: $vgpr31
	s_and_saveexec_b64 s[42:43], s[28:29]
	s_xor_b64 s[28:29], exec, s[42:43]
; %bb.6909:                             ;   in Loop: Header=BB4_6521 Depth=3
	v_or_b32_sdwa v31, v0, s44 dst_sel:DWORD dst_unused:UNUSED_PAD src0_sel:BYTE_3 src1_sel:DWORD
                                        ; implicit-def: $vgpr0
; %bb.6910:                             ;   in Loop: Header=BB4_6521 Depth=3
	s_andn2_saveexec_b64 s[42:43], s[28:29]
; %bb.6911:                             ;   in Loop: Header=BB4_6521 Depth=3
	v_cmp_lt_i32_e64 s[28:29], -1, v0
	v_bfrev_b32_e32 v0, 0.5
	v_mov_b32_e32 v1, 0x7c
	v_cndmask_b32_e64 v31, v0, v1, s[28:29]
; %bb.6912:                             ;   in Loop: Header=BB4_6521 Depth=3
	s_or_b64 exec, exec, s[42:43]
.LBB4_6913:                             ;   in Loop: Header=BB4_6521 Depth=3
	s_or_b64 exec, exec, s[40:41]
	v_mov_b32_e32 v60, v15
	v_cmp_ne_u16_sdwa s[28:29], v15, v61 src0_sel:BYTE_0 src1_sel:DWORD
	v_mov_b32_e32 v2, 0
	s_and_saveexec_b64 s[40:41], s[28:29]
	s_cbranch_execz .LBB4_6921
; %bb.6914:                             ;   in Loop: Header=BB4_6521 Depth=3
	v_cmp_ne_u16_sdwa s[28:29], v15, s81 src0_sel:BYTE_0 src1_sel:DWORD
	v_bfrev_b32_e32 v2, 1
	s_and_saveexec_b64 s[42:43], s[28:29]
	s_cbranch_execz .LBB4_6920
; %bb.6915:                             ;   in Loop: Header=BB4_6521 Depth=3
	v_and_b32_e32 v1, 0x7c, v15
	v_and_b32_e32 v0, 3, v15
	v_cmp_ne_u32_e64 s[28:29], s71, v1
                                        ; implicit-def: $vgpr2
	s_and_saveexec_b64 s[38:39], s[28:29]
	s_xor_b64 s[38:39], exec, s[38:39]
	s_cbranch_execz .LBB4_6917
; %bb.6916:                             ;   in Loop: Header=BB4_6521 Depth=3
	v_ffbh_u32_e32 v1, v0
	v_min_u32_e32 v34, 32, v1
	v_subrev_u32_e32 v1, 29, v34
	v_lshlrev_b64 v[1:2], v1, v[60:61]
	v_bfe_u32 v3, v15, 2, 5
	v_and_b32_e32 v1, 3, v1
	v_cmp_eq_u32_e64 s[28:29], 0, v3
	v_sub_u32_e32 v2, 30, v34
	v_cndmask_b32_e64 v0, v0, v1, s[28:29]
	v_lshlrev_b32_e32 v1, 24, v15
	v_cndmask_b32_e64 v2, v3, v2, s[28:29]
	v_and_b32_e32 v1, 0x80000000, v1
	v_lshl_add_u32 v1, v2, 23, v1
	v_lshl_or_b32 v0, v0, 21, v1
	v_add_u32_e32 v2, 0x38000000, v0
                                        ; implicit-def: $vgpr0
.LBB4_6917:                             ;   in Loop: Header=BB4_6521 Depth=3
	s_andn2_saveexec_b64 s[38:39], s[38:39]
; %bb.6918:                             ;   in Loop: Header=BB4_6521 Depth=3
	v_mov_b32_e32 v1, -1
	v_cmp_gt_i16_sdwa s[28:29], sext(v15), v1 src0_sel:BYTE_0 src1_sel:DWORD
	v_mov_b32_e32 v1, 0xff800000
	v_cndmask_b32_e64 v1, v1, v47, s[28:29]
	v_cmp_eq_u32_e64 s[28:29], 0, v0
	v_mov_b32_e32 v0, 0x7f800001
	v_cndmask_b32_e64 v2, v0, v1, s[28:29]
; %bb.6919:                             ;   in Loop: Header=BB4_6521 Depth=3
	s_or_b64 exec, exec, s[38:39]
.LBB4_6920:                             ;   in Loop: Header=BB4_6521 Depth=3
	s_or_b64 exec, exec, s[42:43]
.LBB4_6921:                             ;   in Loop: Header=BB4_6521 Depth=3
	s_or_b64 exec, exec, s[40:41]
	v_cmp_gt_i16_sdwa s[40:41], v11, s44 src0_sel:BYTE_0 src1_sel:DWORD
	s_mov_b64 s[28:29], 0
	s_and_saveexec_b64 s[42:43], s[40:41]
	s_xor_b64 s[40:41], exec, s[42:43]
	s_cbranch_execz .LBB4_6925
; %bb.6922:                             ;   in Loop: Header=BB4_6521 Depth=3
	v_cmp_eq_u16_sdwa s[38:39], v11, s81 src0_sel:BYTE_0 src1_sel:DWORD
	s_mov_b64 s[28:29], -1
	s_and_saveexec_b64 s[42:43], s[38:39]
; %bb.6923:                             ;   in Loop: Header=BB4_6521 Depth=3
	s_xor_b64 s[28:29], exec, -1
; %bb.6924:                             ;   in Loop: Header=BB4_6521 Depth=3
	s_or_b64 exec, exec, s[42:43]
	s_and_b64 s[28:29], s[28:29], exec
.LBB4_6925:                             ;   in Loop: Header=BB4_6521 Depth=3
	s_or_saveexec_b64 s[40:41], s[40:41]
	v_bfrev_b32_e32 v3, 1
	s_xor_b64 exec, exec, s[40:41]
; %bb.6926:                             ;   in Loop: Header=BB4_6521 Depth=3
	v_cmp_ne_u16_sdwa s[42:43], v11, v61 src0_sel:BYTE_0 src1_sel:DWORD
	s_andn2_b64 s[28:29], s[28:29], exec
	s_and_b64 s[42:43], s[42:43], exec
	v_mov_b32_e32 v3, 0
	s_or_b64 s[28:29], s[28:29], s[42:43]
; %bb.6927:                             ;   in Loop: Header=BB4_6521 Depth=3
	s_or_b64 exec, exec, s[40:41]
	v_mov_b32_e32 v0, v11
	v_mov_b32_e32 v1, v61
	s_and_saveexec_b64 s[38:39], s[28:29]
	s_cbranch_execz .LBB4_6929
; %bb.6928:                             ;   in Loop: Header=BB4_6521 Depth=3
	v_and_b32_e32 v3, 3, v11
	v_and_b32_e32 v34, 0x7c, v11
	v_cmp_eq_u32_e64 s[28:29], s71, v34
	v_ffbh_u32_e32 v34, v3
	v_min_u32_e32 v37, 32, v34
	v_subrev_u32_e32 v34, 29, v37
	v_lshlrev_b64 v[34:35], v34, v[0:1]
	v_bfe_u32 v36, v11, 2, 5
	v_cmp_eq_u32_e64 s[40:41], 0, v36
	v_sub_u32_e32 v1, 30, v37
	v_and_b32_e32 v34, 3, v34
	v_lshlrev_b32_e32 v35, 24, v11
	v_cndmask_b32_e64 v1, v36, v1, s[40:41]
	v_cndmask_b32_e64 v34, v3, v34, s[40:41]
	v_and_b32_e32 v35, 0x80000000, v35
	v_cmp_eq_u32_e64 s[40:41], 0, v3
	v_mov_b32_e32 v3, -1
	v_lshl_add_u32 v1, v1, 23, v35
	v_cmp_gt_i16_sdwa s[42:43], sext(v11), v3 src0_sel:BYTE_0 src1_sel:DWORD
	v_mov_b32_e32 v3, 0xff800000
	v_lshl_or_b32 v1, v34, 21, v1
	v_cndmask_b32_e64 v3, v3, v47, s[42:43]
	v_mov_b32_e32 v34, 0x7f800001
	v_add_u32_e32 v1, 0x38000000, v1
	v_cndmask_b32_e64 v3, v34, v3, s[40:41]
	v_cndmask_b32_e64 v3, v1, v3, s[28:29]
.LBB4_6929:                             ;   in Loop: Header=BB4_6521 Depth=3
	s_or_b64 exec, exec, s[38:39]
	v_mul_f32_e32 v35, v2, v3
	v_and_b32_e32 v2, 0x7f800000, v35
	v_mov_b32_e32 v3, v61
	v_cmp_ne_u64_e64 s[28:29], s[62:63], v[2:3]
	v_and_b32_e32 v1, 0x7fffff, v35
	v_mov_b32_e32 v2, v61
                                        ; implicit-def: $vgpr3
	s_and_saveexec_b64 s[40:41], s[28:29]
	s_xor_b64 s[42:43], exec, s[40:41]
	s_cbranch_execz .LBB4_6943
; %bb.6930:                             ;   in Loop: Header=BB4_6521 Depth=3
	v_and_b32_e32 v36, 0x7fffffff, v35
	v_mov_b32_e32 v37, v61
	v_cmp_gt_u64_e64 s[28:29], s[78:79], v[36:37]
	v_and_b32_sdwa v34, v35, s81 dst_sel:DWORD dst_unused:UNUSED_PAD src0_sel:BYTE_3 src1_sel:DWORD
                                        ; implicit-def: $vgpr3
	s_and_saveexec_b64 s[40:41], s[28:29]
	s_xor_b64 s[38:39], exec, s[40:41]
	s_cbranch_execz .LBB4_6940
; %bb.6931:                             ;   in Loop: Header=BB4_6521 Depth=3
	v_mov_b32_e32 v3, 0
	v_cmp_ne_u32_e64 s[28:29], 0, v35
	s_and_saveexec_b64 s[48:49], s[28:29]
	s_cbranch_execz .LBB4_6939
; %bb.6932:                             ;   in Loop: Header=BB4_6521 Depth=3
	v_bfe_u32 v35, v35, 23, 8
	v_cmp_gt_u32_e64 s[40:41], s47, v35
	v_sub_u32_e32 v3, 0x71, v35
	v_cmp_eq_u32_e64 s[28:29], 0, v35
	v_cndmask_b32_e64 v3, 0, v3, s[40:41]
	v_mov_b32_e32 v36, 0x70
	v_cndmask_b32_e64 v36, v3, v36, s[28:29]
	v_or_b32_e32 v37, 0x800000, v1
	v_add_u32_e32 v3, 21, v36
	v_cndmask_b32_e64 v1, v37, v1, s[28:29]
	v_lshlrev_b64 v[37:38], v3, -1
	v_add_u32_e32 v3, 20, v36
	v_bfi_b32 v37, v37, 0, v1
	v_lshlrev_b64 v[50:51], v3, 1
	v_lshrrev_b64 v[1:2], v36, v[1:2]
	v_bfi_b32 v38, v38, 0, 0
	v_cmp_eq_u64_e64 s[40:41], v[37:38], v[50:51]
	v_mov_b32_e32 v3, v2
	v_mov_b32_e32 v2, v1
	s_and_saveexec_b64 s[50:51], s[40:41]
; %bb.6933:                             ;   in Loop: Header=BB4_6521 Depth=3
	v_bfe_u32 v2, v1, 21, 1
	v_add_co_u32_e64 v2, s[40:41], v1, v2
	v_add_co_u32_e64 v2, s[40:41], -1, v2
; %bb.6934:                             ;   in Loop: Header=BB4_6521 Depth=3
	s_or_b64 exec, exec, s[50:51]
	v_add_u32_e32 v3, 0xffffff81, v35
	v_mov_b32_e32 v35, 0xffffff82
	v_cndmask_b32_e64 v3, v3, v35, s[28:29]
	v_lshrrev_b32_e32 v35, 23, v1
	v_add3_u32 v36, v36, v3, v35
	v_add_u32_e32 v35, 14, v36
	v_and_b32_e32 v2, 0x1fffff, v2
	v_add_u32_e32 v1, v2, v1
	v_mov_b32_e32 v2, v61
	v_cmp_ne_u32_e64 s[28:29], 0, v35
                                        ; implicit-def: $vgpr3
	s_and_saveexec_b64 s[40:41], s[28:29]
	s_xor_b64 s[40:41], exec, s[40:41]
; %bb.6935:                             ;   in Loop: Header=BB4_6521 Depth=3
	v_cmp_lt_u64_e64 s[28:29], s[88:89], v[1:2]
	v_add_u32_e32 v3, 15, v36
	v_cndmask_b32_e64 v3, v35, v3, s[28:29]
	v_cndmask_b32_e64 v35, 0, 1, s[28:29]
	v_lshrrev_b64 v[1:2], v35, v[1:2]
; %bb.6936:                             ;   in Loop: Header=BB4_6521 Depth=3
	s_andn2_saveexec_b64 s[28:29], s[40:41]
; %bb.6937:                             ;   in Loop: Header=BB4_6521 Depth=3
	v_bfe_u32 v3, v1, 23, 1
; %bb.6938:                             ;   in Loop: Header=BB4_6521 Depth=3
	s_or_b64 exec, exec, s[28:29]
	v_lshrrev_b64 v[1:2], 21, v[1:2]
	v_cmp_gt_i32_e64 s[28:29], 32, v3
	v_cndmask_b32_e64 v2, 0, v2, s[28:29]
	v_cndmask_b32_e64 v1, 3, v1, s[28:29]
	v_cmp_eq_u64_e64 s[40:41], 0, v[1:2]
	v_min_i32_e32 v2, 31, v3
	v_lshlrev_b32_e32 v2, 2, v2
	v_cmp_eq_u32_e64 s[28:29], 0, v3
	v_and_b32_e32 v2, 0xfc, v2
	v_and_or_b32 v1, v1, 3, v2
	s_and_b64 s[28:29], s[28:29], s[40:41]
	v_cndmask_b32_e64 v1, v1, 0, s[28:29]
	v_or_b32_e32 v3, v1, v34
.LBB4_6939:                             ;   in Loop: Header=BB4_6521 Depth=3
	s_or_b64 exec, exec, s[48:49]
                                        ; implicit-def: $vgpr34
.LBB4_6940:                             ;   in Loop: Header=BB4_6521 Depth=3
	s_andn2_saveexec_b64 s[28:29], s[38:39]
; %bb.6941:                             ;   in Loop: Header=BB4_6521 Depth=3
	v_or_b32_e32 v3, 0x7b, v34
; %bb.6942:                             ;   in Loop: Header=BB4_6521 Depth=3
	s_or_b64 exec, exec, s[28:29]
                                        ; implicit-def: $vgpr35
                                        ; implicit-def: $vgpr1_vgpr2
.LBB4_6943:                             ;   in Loop: Header=BB4_6521 Depth=3
	s_andn2_saveexec_b64 s[40:41], s[42:43]
	s_cbranch_execz .LBB4_6949
; %bb.6944:                             ;   in Loop: Header=BB4_6521 Depth=3
	v_cmp_ne_u64_e64 s[28:29], 0, v[1:2]
                                        ; implicit-def: $vgpr3
	s_and_saveexec_b64 s[42:43], s[28:29]
	s_xor_b64 s[28:29], exec, s[42:43]
; %bb.6945:                             ;   in Loop: Header=BB4_6521 Depth=3
	v_or_b32_sdwa v3, v35, s44 dst_sel:DWORD dst_unused:UNUSED_PAD src0_sel:BYTE_3 src1_sel:DWORD
                                        ; implicit-def: $vgpr35
; %bb.6946:                             ;   in Loop: Header=BB4_6521 Depth=3
	s_andn2_saveexec_b64 s[42:43], s[28:29]
; %bb.6947:                             ;   in Loop: Header=BB4_6521 Depth=3
	v_cmp_lt_i32_e64 s[28:29], -1, v35
	v_bfrev_b32_e32 v1, 0.5
	v_mov_b32_e32 v2, 0x7c
	v_cndmask_b32_e64 v3, v1, v2, s[28:29]
; %bb.6948:                             ;   in Loop: Header=BB4_6521 Depth=3
	s_or_b64 exec, exec, s[42:43]
.LBB4_6949:                             ;   in Loop: Header=BB4_6521 Depth=3
	s_or_b64 exec, exec, s[40:41]
	v_lshrrev_b16_e32 v1, 8, v60
	v_cmp_ne_u16_e64 s[28:29], 0, v1
	v_mov_b32_e32 v34, 0
	s_and_saveexec_b64 s[40:41], s[28:29]
	s_cbranch_execz .LBB4_6957
; %bb.6950:                             ;   in Loop: Header=BB4_6521 Depth=3
	v_cmp_ne_u16_e64 s[28:29], s81, v1
	v_bfrev_b32_e32 v34, 1
	s_and_saveexec_b64 s[42:43], s[28:29]
	s_cbranch_execz .LBB4_6956
; %bb.6951:                             ;   in Loop: Header=BB4_6521 Depth=3
	v_and_b32_e32 v2, 0x7c, v1
	v_and_b32_e32 v35, 3, v1
	v_cmp_ne_u32_e64 s[28:29], s71, v2
                                        ; implicit-def: $vgpr34
	s_and_saveexec_b64 s[38:39], s[28:29]
	s_xor_b64 s[38:39], exec, s[38:39]
	s_cbranch_execz .LBB4_6953
; %bb.6952:                             ;   in Loop: Header=BB4_6521 Depth=3
	v_ffbh_u32_e32 v36, v35
	v_min_u32_e32 v36, 32, v36
	v_mov_b32_e32 v2, v61
	v_subrev_u32_e32 v37, 29, v36
	v_bfe_u32 v34, v1, 2, 5
	v_lshlrev_b64 v[1:2], v37, v[1:2]
	v_sub_u32_e32 v2, 30, v36
	v_cmp_eq_u32_e64 s[28:29], 0, v34
	v_cndmask_b32_e64 v2, v34, v2, s[28:29]
	v_lshlrev_b32_e32 v34, 16, v60
	v_and_b32_e32 v1, 3, v1
	v_and_b32_e32 v34, 0x80000000, v34
	v_cndmask_b32_e64 v1, v35, v1, s[28:29]
	v_lshl_add_u32 v2, v2, 23, v34
	v_lshl_or_b32 v1, v1, 21, v2
	v_add_u32_e32 v34, 0x38000000, v1
                                        ; implicit-def: $vgpr35
.LBB4_6953:                             ;   in Loop: Header=BB4_6521 Depth=3
	s_andn2_saveexec_b64 s[38:39], s[38:39]
; %bb.6954:                             ;   in Loop: Header=BB4_6521 Depth=3
	v_cmp_lt_i16_e64 s[28:29], -1, v60
	v_mov_b32_e32 v1, 0xff800000
	v_cndmask_b32_e64 v1, v1, v47, s[28:29]
	v_cmp_eq_u32_e64 s[28:29], 0, v35
	v_mov_b32_e32 v2, 0x7f800001
	v_cndmask_b32_e64 v34, v2, v1, s[28:29]
; %bb.6955:                             ;   in Loop: Header=BB4_6521 Depth=3
	s_or_b64 exec, exec, s[38:39]
.LBB4_6956:                             ;   in Loop: Header=BB4_6521 Depth=3
	s_or_b64 exec, exec, s[42:43]
.LBB4_6957:                             ;   in Loop: Header=BB4_6521 Depth=3
	s_or_b64 exec, exec, s[40:41]
	v_lshrrev_b16_e32 v1, 8, v0
	v_cmp_lt_i16_e64 s[28:29], s44, v1
	s_mov_b64 s[40:41], 0
	s_and_saveexec_b64 s[42:43], s[28:29]
	s_xor_b64 s[42:43], exec, s[42:43]
	s_cbranch_execz .LBB4_7060
; %bb.6958:                             ;   in Loop: Header=BB4_6521 Depth=3
	v_cmp_eq_u16_e64 s[28:29], s81, v1
	s_mov_b64 s[40:41], -1
	s_and_saveexec_b64 s[38:39], s[28:29]
; %bb.6959:                             ;   in Loop: Header=BB4_6521 Depth=3
	s_xor_b64 s[40:41], exec, -1
; %bb.6960:                             ;   in Loop: Header=BB4_6521 Depth=3
	s_or_b64 exec, exec, s[38:39]
	s_and_b64 s[40:41], s[40:41], exec
	s_or_saveexec_b64 s[42:43], s[42:43]
	v_bfrev_b32_e32 v2, 1
	s_xor_b64 exec, exec, s[42:43]
	s_cbranch_execnz .LBB4_7061
.LBB4_6961:                             ;   in Loop: Header=BB4_6521 Depth=3
	s_or_b64 exec, exec, s[42:43]
	s_and_saveexec_b64 s[38:39], s[40:41]
	s_cbranch_execz .LBB4_6963
.LBB4_6962:                             ;   in Loop: Header=BB4_6521 Depth=3
	v_and_b32_e32 v37, 3, v1
	v_and_b32_e32 v35, 0x7c, v1
	v_cmp_eq_u32_e64 s[28:29], s71, v35
	v_ffbh_u32_e32 v35, v37
	v_min_u32_e32 v39, 32, v35
	v_mov_b32_e32 v2, v61
	v_subrev_u32_e32 v35, 29, v39
	v_bfe_u32 v38, v1, 2, 5
	v_lshlrev_b64 v[35:36], v35, v[1:2]
	v_cmp_eq_u32_e64 s[40:41], 0, v38
	v_sub_u32_e32 v2, 30, v39
	v_lshlrev_b32_e32 v1, 24, v1
	v_and_b32_e32 v35, 3, v35
	v_cndmask_b32_e64 v2, v38, v2, s[40:41]
	v_and_b32_e32 v1, 0x80000000, v1
	v_cndmask_b32_e64 v35, v37, v35, s[40:41]
	v_lshl_add_u32 v1, v2, 23, v1
	v_cmp_lt_i16_e64 s[42:43], -1, v0
	v_mov_b32_e32 v0, 0xff800000
	v_lshl_or_b32 v1, v35, 21, v1
	v_cmp_eq_u32_e64 s[40:41], 0, v37
	v_cndmask_b32_e64 v0, v0, v47, s[42:43]
	v_mov_b32_e32 v2, 0x7f800001
	v_add_u32_e32 v1, 0x38000000, v1
	v_cndmask_b32_e64 v0, v2, v0, s[40:41]
	v_cndmask_b32_e64 v2, v1, v0, s[28:29]
.LBB4_6963:                             ;   in Loop: Header=BB4_6521 Depth=3
	s_or_b64 exec, exec, s[38:39]
	v_mul_f32_e32 v0, v34, v2
	v_and_b32_e32 v1, 0x7f800000, v0
	v_mov_b32_e32 v2, v61
	v_cmp_ne_u64_e64 s[28:29], s[62:63], v[1:2]
	v_and_b32_e32 v60, 0x7fffff, v0
                                        ; implicit-def: $vgpr34
	s_and_saveexec_b64 s[40:41], s[28:29]
	s_xor_b64 s[42:43], exec, s[40:41]
	s_cbranch_execz .LBB4_6977
; %bb.6964:                             ;   in Loop: Header=BB4_6521 Depth=3
	v_and_b32_e32 v1, 0x7fffffff, v0
	v_mov_b32_e32 v2, v61
	v_cmp_gt_u64_e64 s[28:29], s[78:79], v[1:2]
	v_and_b32_sdwa v35, v0, s81 dst_sel:DWORD dst_unused:UNUSED_PAD src0_sel:BYTE_3 src1_sel:DWORD
                                        ; implicit-def: $vgpr34
	s_and_saveexec_b64 s[40:41], s[28:29]
	s_xor_b64 s[38:39], exec, s[40:41]
	s_cbranch_execz .LBB4_6974
; %bb.6965:                             ;   in Loop: Header=BB4_6521 Depth=3
	v_mov_b32_e32 v34, 0
	v_cmp_ne_u32_e64 s[28:29], 0, v0
	s_and_saveexec_b64 s[48:49], s[28:29]
	s_cbranch_execz .LBB4_6973
; %bb.6966:                             ;   in Loop: Header=BB4_6521 Depth=3
	v_bfe_u32 v34, v0, 23, 8
	v_cmp_gt_u32_e64 s[40:41], s47, v34
	v_sub_u32_e32 v0, 0x71, v34
	v_cmp_eq_u32_e64 s[28:29], 0, v34
	v_cndmask_b32_e64 v0, 0, v0, s[40:41]
	v_mov_b32_e32 v2, 0x70
	v_cndmask_b32_e64 v36, v0, v2, s[28:29]
	v_add_u32_e32 v2, 21, v36
	v_or_b32_e32 v1, 0x800000, v60
	v_lshlrev_b64 v[37:38], v2, -1
	v_cndmask_b32_e64 v0, v1, v60, s[28:29]
	v_mov_b32_e32 v1, v61
	v_add_u32_e32 v2, 20, v36
	v_bfi_b32 v37, v37, 0, v0
	v_lshlrev_b64 v[50:51], v2, 1
	v_lshrrev_b64 v[0:1], v36, v[0:1]
	v_bfi_b32 v38, v38, 0, 0
	v_cmp_eq_u64_e64 s[40:41], v[37:38], v[50:51]
	v_mov_b32_e32 v2, v1
	v_mov_b32_e32 v1, v0
	s_and_saveexec_b64 s[50:51], s[40:41]
; %bb.6967:                             ;   in Loop: Header=BB4_6521 Depth=3
	v_bfe_u32 v1, v0, 21, 1
	v_add_co_u32_e64 v1, s[40:41], v0, v1
	v_add_co_u32_e64 v1, s[40:41], -1, v1
; %bb.6968:                             ;   in Loop: Header=BB4_6521 Depth=3
	s_or_b64 exec, exec, s[50:51]
	v_add_u32_e32 v2, 0xffffff81, v34
	v_mov_b32_e32 v34, 0xffffff82
	v_cndmask_b32_e64 v2, v2, v34, s[28:29]
	v_lshrrev_b32_e32 v34, 23, v0
	v_add3_u32 v36, v36, v2, v34
	v_add_u32_e32 v34, 14, v36
	v_and_b32_e32 v1, 0x1fffff, v1
	v_add_u32_e32 v60, v1, v0
	v_cmp_ne_u32_e64 s[28:29], 0, v34
                                        ; implicit-def: $vgpr0_vgpr1
                                        ; implicit-def: $vgpr2
	s_and_saveexec_b64 s[40:41], s[28:29]
	s_xor_b64 s[40:41], exec, s[40:41]
; %bb.6969:                             ;   in Loop: Header=BB4_6521 Depth=3
	v_cmp_lt_u64_e64 s[28:29], s[88:89], v[60:61]
	v_add_u32_e32 v0, 15, v36
	v_cndmask_b32_e64 v2, v34, v0, s[28:29]
	v_cndmask_b32_e64 v0, 0, 1, s[28:29]
	v_lshrrev_b64 v[0:1], v0, v[60:61]
; %bb.6970:                             ;   in Loop: Header=BB4_6521 Depth=3
	s_andn2_saveexec_b64 s[28:29], s[40:41]
; %bb.6971:                             ;   in Loop: Header=BB4_6521 Depth=3
	v_mov_b32_e32 v0, v60
	v_mov_b32_e32 v1, v61
	v_bfe_u32 v2, v60, 23, 1
; %bb.6972:                             ;   in Loop: Header=BB4_6521 Depth=3
	s_or_b64 exec, exec, s[28:29]
	v_lshrrev_b64 v[0:1], 21, v[0:1]
	v_cmp_gt_i32_e64 s[28:29], 32, v2
	v_cndmask_b32_e64 v1, 0, v1, s[28:29]
	v_cndmask_b32_e64 v0, 3, v0, s[28:29]
	v_cmp_eq_u64_e64 s[40:41], 0, v[0:1]
	v_min_i32_e32 v1, 31, v2
	v_lshlrev_b32_e32 v1, 2, v1
	v_cmp_eq_u32_e64 s[28:29], 0, v2
	v_and_b32_e32 v1, 0xfc, v1
	v_and_or_b32 v0, v0, 3, v1
	s_and_b64 s[28:29], s[28:29], s[40:41]
	v_cndmask_b32_e64 v0, v0, 0, s[28:29]
	v_or_b32_e32 v34, v0, v35
.LBB4_6973:                             ;   in Loop: Header=BB4_6521 Depth=3
	s_or_b64 exec, exec, s[48:49]
                                        ; implicit-def: $vgpr35
.LBB4_6974:                             ;   in Loop: Header=BB4_6521 Depth=3
	s_andn2_saveexec_b64 s[28:29], s[38:39]
; %bb.6975:                             ;   in Loop: Header=BB4_6521 Depth=3
	v_or_b32_e32 v34, 0x7b, v35
; %bb.6976:                             ;   in Loop: Header=BB4_6521 Depth=3
	s_or_b64 exec, exec, s[28:29]
                                        ; implicit-def: $vgpr0
.LBB4_6977:                             ;   in Loop: Header=BB4_6521 Depth=3
	s_andn2_saveexec_b64 s[40:41], s[42:43]
	s_cbranch_execz .LBB4_6983
; %bb.6978:                             ;   in Loop: Header=BB4_6521 Depth=3
	v_cmp_ne_u64_e64 s[28:29], 0, v[60:61]
                                        ; implicit-def: $vgpr34
	s_and_saveexec_b64 s[42:43], s[28:29]
	s_xor_b64 s[28:29], exec, s[42:43]
; %bb.6979:                             ;   in Loop: Header=BB4_6521 Depth=3
	v_or_b32_sdwa v34, v0, s44 dst_sel:DWORD dst_unused:UNUSED_PAD src0_sel:BYTE_3 src1_sel:DWORD
                                        ; implicit-def: $vgpr0
; %bb.6980:                             ;   in Loop: Header=BB4_6521 Depth=3
	s_andn2_saveexec_b64 s[42:43], s[28:29]
; %bb.6981:                             ;   in Loop: Header=BB4_6521 Depth=3
	v_cmp_lt_i32_e64 s[28:29], -1, v0
	v_bfrev_b32_e32 v0, 0.5
	v_mov_b32_e32 v1, 0x7c
	v_cndmask_b32_e64 v34, v0, v1, s[28:29]
; %bb.6982:                             ;   in Loop: Header=BB4_6521 Depth=3
	s_or_b64 exec, exec, s[42:43]
.LBB4_6983:                             ;   in Loop: Header=BB4_6521 Depth=3
	s_or_b64 exec, exec, s[40:41]
	v_lshrrev_b32_e32 v0, 16, v15
	v_cmp_ne_u16_sdwa s[28:29], v0, v61 src0_sel:BYTE_0 src1_sel:DWORD
	v_mov_b32_e32 v1, 0
	s_and_saveexec_b64 s[40:41], s[28:29]
	s_cbranch_execz .LBB4_6991
; %bb.6984:                             ;   in Loop: Header=BB4_6521 Depth=3
	v_cmp_ne_u16_sdwa s[28:29], v0, s81 src0_sel:BYTE_0 src1_sel:DWORD
	v_bfrev_b32_e32 v1, 1
	s_and_saveexec_b64 s[42:43], s[28:29]
	s_cbranch_execz .LBB4_6990
; %bb.6985:                             ;   in Loop: Header=BB4_6521 Depth=3
	v_and_b32_e32 v1, 0x7c0000, v15
	v_bfe_u32 v2, v15, 16, 2
	v_cmp_ne_u32_e64 s[28:29], s45, v1
                                        ; implicit-def: $vgpr1
	s_and_saveexec_b64 s[38:39], s[28:29]
	s_xor_b64 s[38:39], exec, s[38:39]
	s_cbranch_execz .LBB4_6987
; %bb.6986:                             ;   in Loop: Header=BB4_6521 Depth=3
	v_ffbh_u32_e32 v1, v2
	v_min_u32_e32 v36, 32, v1
	v_subrev_u32_e32 v1, 29, v36
	v_lshlrev_b64 v[0:1], v1, v[0:1]
	v_bfe_u32 v35, v15, 18, 5
	v_and_b32_e32 v0, 3, v0
	v_cmp_eq_u32_e64 s[28:29], 0, v35
	v_sub_u32_e32 v1, 30, v36
	v_cndmask_b32_e64 v0, v2, v0, s[28:29]
	v_lshlrev_b32_e32 v2, 8, v15
	v_cndmask_b32_e64 v1, v35, v1, s[28:29]
	v_and_b32_e32 v2, 0x80000000, v2
	v_lshl_add_u32 v1, v1, 23, v2
	v_lshl_or_b32 v0, v0, 21, v1
	v_add_u32_e32 v1, 0x38000000, v0
                                        ; implicit-def: $vgpr2
                                        ; implicit-def: $vgpr0
.LBB4_6987:                             ;   in Loop: Header=BB4_6521 Depth=3
	s_andn2_saveexec_b64 s[38:39], s[38:39]
; %bb.6988:                             ;   in Loop: Header=BB4_6521 Depth=3
	v_mov_b32_e32 v1, -1
	v_cmp_gt_i16_sdwa s[28:29], sext(v0), v1 src0_sel:BYTE_0 src1_sel:DWORD
	v_mov_b32_e32 v0, 0xff800000
	v_cndmask_b32_e64 v0, v0, v47, s[28:29]
	v_cmp_eq_u32_e64 s[28:29], 0, v2
	v_mov_b32_e32 v1, 0x7f800001
	v_cndmask_b32_e64 v1, v1, v0, s[28:29]
; %bb.6989:                             ;   in Loop: Header=BB4_6521 Depth=3
	s_or_b64 exec, exec, s[38:39]
.LBB4_6990:                             ;   in Loop: Header=BB4_6521 Depth=3
	s_or_b64 exec, exec, s[42:43]
.LBB4_6991:                             ;   in Loop: Header=BB4_6521 Depth=3
	s_or_b64 exec, exec, s[40:41]
	v_lshrrev_b32_e32 v0, 16, v11
	v_cmp_gt_i16_sdwa s[40:41], v0, s44 src0_sel:BYTE_0 src1_sel:DWORD
	s_mov_b64 s[28:29], 0
	s_and_saveexec_b64 s[42:43], s[40:41]
	s_xor_b64 s[40:41], exec, s[42:43]
	s_cbranch_execz .LBB4_7062
; %bb.6992:                             ;   in Loop: Header=BB4_6521 Depth=3
	v_cmp_eq_u16_sdwa s[38:39], v0, s81 src0_sel:BYTE_0 src1_sel:DWORD
	s_mov_b64 s[28:29], -1
	s_and_saveexec_b64 s[42:43], s[38:39]
; %bb.6993:                             ;   in Loop: Header=BB4_6521 Depth=3
	s_xor_b64 s[28:29], exec, -1
; %bb.6994:                             ;   in Loop: Header=BB4_6521 Depth=3
	s_or_b64 exec, exec, s[42:43]
	s_and_b64 s[28:29], s[28:29], exec
	s_or_saveexec_b64 s[40:41], s[40:41]
	v_bfrev_b32_e32 v2, 1
	s_xor_b64 exec, exec, s[40:41]
	s_cbranch_execnz .LBB4_7063
.LBB4_6995:                             ;   in Loop: Header=BB4_6521 Depth=3
	s_or_b64 exec, exec, s[40:41]
	s_and_saveexec_b64 s[38:39], s[28:29]
	s_cbranch_execz .LBB4_6997
.LBB4_6996:                             ;   in Loop: Header=BB4_6521 Depth=3
	v_and_b32_e32 v2, 3, v0
	v_and_b32_e32 v35, 0x7c0000, v11
	v_cmp_eq_u32_e64 s[28:29], s45, v35
	v_ffbh_u32_e32 v35, v2
	v_min_u32_e32 v38, 32, v35
	v_subrev_u32_e32 v35, 29, v38
	v_bfe_u32 v37, v11, 18, 5
	v_lshlrev_b64 v[35:36], v35, v[0:1]
	v_cmp_eq_u32_e64 s[40:41], 0, v37
	v_sub_u32_e32 v36, 30, v38
	v_and_b32_e32 v35, 3, v35
	v_cndmask_b32_e64 v36, v37, v36, s[40:41]
	v_lshlrev_b32_e32 v37, 24, v0
	v_cndmask_b32_e64 v35, v2, v35, s[40:41]
	v_and_b32_e32 v37, 0x80000000, v37
	v_cmp_eq_u32_e64 s[40:41], 0, v2
	v_mov_b32_e32 v2, -1
	v_lshl_add_u32 v36, v36, 23, v37
	v_cmp_gt_i16_sdwa s[42:43], sext(v0), v2 src0_sel:BYTE_0 src1_sel:DWORD
	v_mov_b32_e32 v0, 0xff800000
	v_lshl_or_b32 v35, v35, 21, v36
	v_cndmask_b32_e64 v0, v0, v47, s[42:43]
	v_mov_b32_e32 v2, 0x7f800001
	v_add_u32_e32 v35, 0x38000000, v35
	v_cndmask_b32_e64 v0, v2, v0, s[40:41]
	v_cndmask_b32_e64 v2, v35, v0, s[28:29]
.LBB4_6997:                             ;   in Loop: Header=BB4_6521 Depth=3
	s_or_b64 exec, exec, s[38:39]
	v_mul_f32_e32 v0, v1, v2
	v_and_b32_e32 v1, 0x7f800000, v0
	v_mov_b32_e32 v2, v61
	v_cmp_ne_u64_e64 s[28:29], s[62:63], v[1:2]
	v_and_b32_e32 v60, 0x7fffff, v0
                                        ; implicit-def: $vgpr35
	s_and_saveexec_b64 s[40:41], s[28:29]
	s_xor_b64 s[42:43], exec, s[40:41]
	s_cbranch_execz .LBB4_7011
; %bb.6998:                             ;   in Loop: Header=BB4_6521 Depth=3
	v_and_b32_e32 v1, 0x7fffffff, v0
	v_mov_b32_e32 v2, v61
	v_cmp_gt_u64_e64 s[28:29], s[78:79], v[1:2]
	v_and_b32_sdwa v36, v0, s81 dst_sel:DWORD dst_unused:UNUSED_PAD src0_sel:BYTE_3 src1_sel:DWORD
                                        ; implicit-def: $vgpr35
	s_and_saveexec_b64 s[40:41], s[28:29]
	s_xor_b64 s[38:39], exec, s[40:41]
	s_cbranch_execz .LBB4_7008
; %bb.6999:                             ;   in Loop: Header=BB4_6521 Depth=3
	v_mov_b32_e32 v35, 0
	v_cmp_ne_u32_e64 s[28:29], 0, v0
	s_and_saveexec_b64 s[48:49], s[28:29]
	s_cbranch_execz .LBB4_7007
; %bb.7000:                             ;   in Loop: Header=BB4_6521 Depth=3
	v_bfe_u32 v35, v0, 23, 8
	v_cmp_gt_u32_e64 s[40:41], s47, v35
	v_sub_u32_e32 v0, 0x71, v35
	v_cmp_eq_u32_e64 s[28:29], 0, v35
	v_cndmask_b32_e64 v0, 0, v0, s[40:41]
	v_mov_b32_e32 v2, 0x70
	v_cndmask_b32_e64 v37, v0, v2, s[28:29]
	v_add_u32_e32 v2, 21, v37
	v_or_b32_e32 v1, 0x800000, v60
	v_lshlrev_b64 v[38:39], v2, -1
	v_cndmask_b32_e64 v0, v1, v60, s[28:29]
	v_mov_b32_e32 v1, v61
	v_add_u32_e32 v2, 20, v37
	v_bfi_b32 v38, v38, 0, v0
	v_lshlrev_b64 v[50:51], v2, 1
	v_lshrrev_b64 v[0:1], v37, v[0:1]
	v_bfi_b32 v39, v39, 0, 0
	v_cmp_eq_u64_e64 s[40:41], v[38:39], v[50:51]
	v_mov_b32_e32 v2, v1
	v_mov_b32_e32 v1, v0
	s_and_saveexec_b64 s[50:51], s[40:41]
; %bb.7001:                             ;   in Loop: Header=BB4_6521 Depth=3
	v_bfe_u32 v1, v0, 21, 1
	v_add_co_u32_e64 v1, s[40:41], v0, v1
	v_add_co_u32_e64 v1, s[40:41], -1, v1
; %bb.7002:                             ;   in Loop: Header=BB4_6521 Depth=3
	s_or_b64 exec, exec, s[50:51]
	v_add_u32_e32 v2, 0xffffff81, v35
	v_mov_b32_e32 v35, 0xffffff82
	v_cndmask_b32_e64 v2, v2, v35, s[28:29]
	v_lshrrev_b32_e32 v35, 23, v0
	v_add3_u32 v37, v37, v2, v35
	v_add_u32_e32 v35, 14, v37
	v_and_b32_e32 v1, 0x1fffff, v1
	v_add_u32_e32 v60, v1, v0
	v_cmp_ne_u32_e64 s[28:29], 0, v35
                                        ; implicit-def: $vgpr0_vgpr1
                                        ; implicit-def: $vgpr2
	s_and_saveexec_b64 s[40:41], s[28:29]
	s_xor_b64 s[40:41], exec, s[40:41]
; %bb.7003:                             ;   in Loop: Header=BB4_6521 Depth=3
	v_cmp_lt_u64_e64 s[28:29], s[88:89], v[60:61]
	v_add_u32_e32 v0, 15, v37
	v_cndmask_b32_e64 v2, v35, v0, s[28:29]
	v_cndmask_b32_e64 v0, 0, 1, s[28:29]
	v_lshrrev_b64 v[0:1], v0, v[60:61]
; %bb.7004:                             ;   in Loop: Header=BB4_6521 Depth=3
	s_andn2_saveexec_b64 s[28:29], s[40:41]
; %bb.7005:                             ;   in Loop: Header=BB4_6521 Depth=3
	v_mov_b32_e32 v0, v60
	v_mov_b32_e32 v1, v61
	v_bfe_u32 v2, v60, 23, 1
; %bb.7006:                             ;   in Loop: Header=BB4_6521 Depth=3
	s_or_b64 exec, exec, s[28:29]
	v_lshrrev_b64 v[0:1], 21, v[0:1]
	v_cmp_gt_i32_e64 s[28:29], 32, v2
	v_cndmask_b32_e64 v1, 0, v1, s[28:29]
	v_cndmask_b32_e64 v0, 3, v0, s[28:29]
	v_cmp_eq_u64_e64 s[40:41], 0, v[0:1]
	v_min_i32_e32 v1, 31, v2
	v_lshlrev_b32_e32 v1, 2, v1
	v_cmp_eq_u32_e64 s[28:29], 0, v2
	v_and_b32_e32 v1, 0xfc, v1
	v_and_or_b32 v0, v0, 3, v1
	s_and_b64 s[28:29], s[28:29], s[40:41]
	v_cndmask_b32_e64 v0, v0, 0, s[28:29]
	v_or_b32_e32 v35, v0, v36
.LBB4_7007:                             ;   in Loop: Header=BB4_6521 Depth=3
	s_or_b64 exec, exec, s[48:49]
                                        ; implicit-def: $vgpr36
.LBB4_7008:                             ;   in Loop: Header=BB4_6521 Depth=3
	s_andn2_saveexec_b64 s[28:29], s[38:39]
; %bb.7009:                             ;   in Loop: Header=BB4_6521 Depth=3
	v_or_b32_e32 v35, 0x7b, v36
; %bb.7010:                             ;   in Loop: Header=BB4_6521 Depth=3
	s_or_b64 exec, exec, s[28:29]
                                        ; implicit-def: $vgpr0
.LBB4_7011:                             ;   in Loop: Header=BB4_6521 Depth=3
	s_andn2_saveexec_b64 s[40:41], s[42:43]
	s_cbranch_execz .LBB4_7017
; %bb.7012:                             ;   in Loop: Header=BB4_6521 Depth=3
	v_cmp_ne_u64_e64 s[28:29], 0, v[60:61]
                                        ; implicit-def: $vgpr35
	s_and_saveexec_b64 s[42:43], s[28:29]
	s_xor_b64 s[28:29], exec, s[42:43]
; %bb.7013:                             ;   in Loop: Header=BB4_6521 Depth=3
	v_or_b32_sdwa v35, v0, s44 dst_sel:DWORD dst_unused:UNUSED_PAD src0_sel:BYTE_3 src1_sel:DWORD
                                        ; implicit-def: $vgpr0
; %bb.7014:                             ;   in Loop: Header=BB4_6521 Depth=3
	s_andn2_saveexec_b64 s[42:43], s[28:29]
; %bb.7015:                             ;   in Loop: Header=BB4_6521 Depth=3
	v_cmp_lt_i32_e64 s[28:29], -1, v0
	v_bfrev_b32_e32 v0, 0.5
	v_mov_b32_e32 v1, 0x7c
	v_cndmask_b32_e64 v35, v0, v1, s[28:29]
; %bb.7016:                             ;   in Loop: Header=BB4_6521 Depth=3
	s_or_b64 exec, exec, s[42:43]
.LBB4_7017:                             ;   in Loop: Header=BB4_6521 Depth=3
	s_or_b64 exec, exec, s[40:41]
	v_cmp_lt_u64_e64 s[28:29], s[56:57], v[14:15]
	v_mov_b32_e32 v1, 0
	s_and_saveexec_b64 s[40:41], s[28:29]
	s_cbranch_execz .LBB4_7025
; %bb.7018:                             ;   in Loop: Header=BB4_6521 Depth=3
	v_lshrrev_b32_e32 v0, 24, v15
	v_cmp_ne_u32_e64 s[28:29], s81, v0
	v_bfrev_b32_e32 v1, 1
	s_and_saveexec_b64 s[42:43], s[28:29]
	s_cbranch_execz .LBB4_7024
; %bb.7019:                             ;   in Loop: Header=BB4_6521 Depth=3
	v_and_b32_e32 v1, 0x7c000000, v15
	v_bfe_u32 v2, v15, 24, 2
	v_cmp_ne_u32_e64 s[28:29], s82, v1
                                        ; implicit-def: $vgpr1
	s_and_saveexec_b64 s[38:39], s[28:29]
	s_xor_b64 s[38:39], exec, s[38:39]
	s_cbranch_execz .LBB4_7021
; %bb.7020:                             ;   in Loop: Header=BB4_6521 Depth=3
	v_ffbh_u32_e32 v1, v2
	v_min_u32_e32 v36, 32, v1
	v_subrev_u32_e32 v1, 29, v36
	v_lshlrev_b64 v[0:1], v1, v[0:1]
	v_bfe_u32 v14, v15, 26, 5
	v_sub_u32_e32 v1, 30, v36
	v_and_b32_e32 v0, 3, v0
	v_cmp_eq_u32_e64 s[28:29], 0, v14
	v_cndmask_b32_e64 v1, v14, v1, s[28:29]
	v_cndmask_b32_e64 v0, v2, v0, s[28:29]
	v_and_b32_e32 v2, 0x80000000, v15
	v_lshl_add_u32 v1, v1, 23, v2
	v_lshl_or_b32 v0, v0, 21, v1
	v_add_u32_e32 v1, 0x38000000, v0
                                        ; implicit-def: $vgpr2
                                        ; implicit-def: $vgpr14_vgpr15
.LBB4_7021:                             ;   in Loop: Header=BB4_6521 Depth=3
	s_andn2_saveexec_b64 s[38:39], s[38:39]
; %bb.7022:                             ;   in Loop: Header=BB4_6521 Depth=3
	v_cmp_lt_i64_e64 s[28:29], -1, v[14:15]
	v_mov_b32_e32 v0, 0xff800000
	v_cndmask_b32_e64 v0, v0, v47, s[28:29]
	v_cmp_eq_u32_e64 s[28:29], 0, v2
	v_mov_b32_e32 v1, 0x7f800001
	v_cndmask_b32_e64 v1, v1, v0, s[28:29]
; %bb.7023:                             ;   in Loop: Header=BB4_6521 Depth=3
	s_or_b64 exec, exec, s[38:39]
.LBB4_7024:                             ;   in Loop: Header=BB4_6521 Depth=3
	s_or_b64 exec, exec, s[42:43]
.LBB4_7025:                             ;   in Loop: Header=BB4_6521 Depth=3
	s_or_b64 exec, exec, s[40:41]
	v_bfe_u32 v2, v11, 24, 2
	v_and_b32_e32 v14, 0x7c000000, v11
	v_cmp_eq_u32_e64 s[28:29], s82, v14
	v_ffbh_u32_e32 v14, v2
	v_min_u32_e32 v37, 32, v14
	v_lshrrev_b32_e32 v0, 24, v11
	v_subrev_u32_e32 v14, 29, v37
	v_bfe_u32 v36, v11, 26, 5
	v_lshlrev_b64 v[14:15], v14, v[0:1]
	v_cmp_eq_u32_e64 s[40:41], 0, v36
	v_sub_u32_e32 v15, 30, v37
	v_and_b32_e32 v14, 3, v14
	v_cndmask_b32_e64 v15, v36, v15, s[40:41]
	v_and_b32_e32 v36, 0x80000000, v11
	v_cmp_lt_i64_e64 s[42:43], -1, v[10:11]
	v_cndmask_b32_e64 v14, v2, v14, s[40:41]
	v_lshl_add_u32 v15, v15, 23, v36
	v_cmp_eq_u32_e64 s[40:41], 0, v2
	v_mov_b32_e32 v2, 0xff800000
	v_lshl_or_b32 v14, v14, 21, v15
	v_cndmask_b32_e64 v2, v2, v47, s[42:43]
	v_mov_b32_e32 v15, 0x7f800001
	v_add_u32_e32 v14, 0x38000000, v14
	v_cndmask_b32_e64 v2, v15, v2, s[40:41]
	v_cndmask_b32_e64 v2, v14, v2, s[28:29]
	v_cmp_ne_u32_e64 s[28:29], s81, v0
	v_bfrev_b32_e32 v0, 1
	v_cndmask_b32_e64 v0, v0, v2, s[28:29]
	v_cmp_lt_u64_e64 s[28:29], s[56:57], v[10:11]
	v_mov_b32_e32 v11, v61
	v_cndmask_b32_e64 v0, 0, v0, s[28:29]
	v_mul_f32_e32 v1, v0, v1
	v_and_b32_e32 v10, 0x7f800000, v1
	v_cmp_ne_u64_e64 s[28:29], s[62:63], v[10:11]
	v_and_b32_e32 v60, 0x7fffff, v1
                                        ; implicit-def: $vgpr0
	s_and_saveexec_b64 s[40:41], s[28:29]
	s_xor_b64 s[42:43], exec, s[40:41]
	s_cbranch_execz .LBB4_7039
; %bb.7026:                             ;   in Loop: Header=BB4_6521 Depth=3
	v_and_b32_e32 v10, 0x7fffffff, v1
	v_mov_b32_e32 v11, v61
	v_cmp_gt_u64_e64 s[28:29], s[78:79], v[10:11]
	v_and_b32_sdwa v10, v1, s81 dst_sel:DWORD dst_unused:UNUSED_PAD src0_sel:BYTE_3 src1_sel:DWORD
                                        ; implicit-def: $vgpr0
	s_and_saveexec_b64 s[40:41], s[28:29]
	s_xor_b64 s[38:39], exec, s[40:41]
	s_cbranch_execz .LBB4_7036
; %bb.7027:                             ;   in Loop: Header=BB4_6521 Depth=3
	v_mov_b32_e32 v0, 0
	v_cmp_ne_u32_e64 s[28:29], 0, v1
	s_and_saveexec_b64 s[48:49], s[28:29]
	s_cbranch_execz .LBB4_7035
; %bb.7028:                             ;   in Loop: Header=BB4_6521 Depth=3
	v_bfe_u32 v11, v1, 23, 8
	v_cmp_gt_u32_e64 s[40:41], s47, v11
	v_sub_u32_e32 v0, 0x71, v11
	v_cmp_eq_u32_e64 s[28:29], 0, v11
	v_cndmask_b32_e64 v0, 0, v0, s[40:41]
	v_mov_b32_e32 v2, 0x70
	v_cndmask_b32_e64 v14, v0, v2, s[28:29]
	v_add_u32_e32 v2, 21, v14
	v_or_b32_e32 v1, 0x800000, v60
	v_lshlrev_b64 v[36:37], v2, -1
	v_cndmask_b32_e64 v0, v1, v60, s[28:29]
	v_mov_b32_e32 v1, v61
	v_add_u32_e32 v2, 20, v14
	v_bfi_b32 v36, v36, 0, v0
	v_lshlrev_b64 v[38:39], v2, 1
	v_lshrrev_b64 v[0:1], v14, v[0:1]
	v_bfi_b32 v37, v37, 0, 0
	v_cmp_eq_u64_e64 s[40:41], v[36:37], v[38:39]
	v_mov_b32_e32 v2, v1
	v_mov_b32_e32 v1, v0
	s_and_saveexec_b64 s[50:51], s[40:41]
; %bb.7029:                             ;   in Loop: Header=BB4_6521 Depth=3
	v_bfe_u32 v1, v0, 21, 1
	v_add_co_u32_e64 v1, s[40:41], v0, v1
	v_add_co_u32_e64 v1, s[40:41], -1, v1
; %bb.7030:                             ;   in Loop: Header=BB4_6521 Depth=3
	s_or_b64 exec, exec, s[50:51]
	v_add_u32_e32 v2, 0xffffff81, v11
	v_mov_b32_e32 v11, 0xffffff82
	v_cndmask_b32_e64 v2, v2, v11, s[28:29]
	v_lshrrev_b32_e32 v11, 23, v0
	v_add3_u32 v14, v14, v2, v11
	v_add_u32_e32 v11, 14, v14
	v_and_b32_e32 v1, 0x1fffff, v1
	v_add_u32_e32 v60, v1, v0
	v_cmp_ne_u32_e64 s[28:29], 0, v11
                                        ; implicit-def: $vgpr0_vgpr1
                                        ; implicit-def: $vgpr2
	s_and_saveexec_b64 s[40:41], s[28:29]
	s_xor_b64 s[40:41], exec, s[40:41]
; %bb.7031:                             ;   in Loop: Header=BB4_6521 Depth=3
	v_cmp_lt_u64_e64 s[28:29], s[88:89], v[60:61]
	v_add_u32_e32 v0, 15, v14
	v_cndmask_b32_e64 v2, v11, v0, s[28:29]
	v_cndmask_b32_e64 v0, 0, 1, s[28:29]
	v_lshrrev_b64 v[0:1], v0, v[60:61]
; %bb.7032:                             ;   in Loop: Header=BB4_6521 Depth=3
	s_andn2_saveexec_b64 s[28:29], s[40:41]
; %bb.7033:                             ;   in Loop: Header=BB4_6521 Depth=3
	v_mov_b32_e32 v0, v60
	v_mov_b32_e32 v1, v61
	v_bfe_u32 v2, v60, 23, 1
; %bb.7034:                             ;   in Loop: Header=BB4_6521 Depth=3
	s_or_b64 exec, exec, s[28:29]
	v_lshrrev_b64 v[0:1], 21, v[0:1]
	v_cmp_gt_i32_e64 s[28:29], 32, v2
	v_cndmask_b32_e64 v1, 0, v1, s[28:29]
	v_cndmask_b32_e64 v0, 3, v0, s[28:29]
	v_cmp_eq_u64_e64 s[40:41], 0, v[0:1]
	v_min_i32_e32 v1, 31, v2
	v_lshlrev_b32_e32 v1, 2, v1
	v_cmp_eq_u32_e64 s[28:29], 0, v2
	v_and_b32_e32 v1, 0xfc, v1
	v_and_or_b32 v0, v0, 3, v1
	s_and_b64 s[28:29], s[28:29], s[40:41]
	v_cndmask_b32_e64 v0, v0, 0, s[28:29]
	v_or_b32_e32 v0, v0, v10
.LBB4_7035:                             ;   in Loop: Header=BB4_6521 Depth=3
	s_or_b64 exec, exec, s[48:49]
                                        ; implicit-def: $vgpr10
.LBB4_7036:                             ;   in Loop: Header=BB4_6521 Depth=3
	s_andn2_saveexec_b64 s[28:29], s[38:39]
; %bb.7037:                             ;   in Loop: Header=BB4_6521 Depth=3
	v_or_b32_e32 v0, 0x7b, v10
; %bb.7038:                             ;   in Loop: Header=BB4_6521 Depth=3
	s_or_b64 exec, exec, s[28:29]
                                        ; implicit-def: $vgpr1
.LBB4_7039:                             ;   in Loop: Header=BB4_6521 Depth=3
	s_andn2_saveexec_b64 s[40:41], s[42:43]
	s_cbranch_execz .LBB4_6520
; %bb.7040:                             ;   in Loop: Header=BB4_6521 Depth=3
	v_cmp_ne_u64_e64 s[28:29], 0, v[60:61]
                                        ; implicit-def: $vgpr0
	s_and_saveexec_b64 s[42:43], s[28:29]
	s_xor_b64 s[28:29], exec, s[42:43]
; %bb.7041:                             ;   in Loop: Header=BB4_6521 Depth=3
	v_or_b32_sdwa v0, v1, s44 dst_sel:DWORD dst_unused:UNUSED_PAD src0_sel:BYTE_3 src1_sel:DWORD
                                        ; implicit-def: $vgpr1
; %bb.7042:                             ;   in Loop: Header=BB4_6521 Depth=3
	s_andn2_saveexec_b64 s[42:43], s[28:29]
	s_cbranch_execz .LBB4_6519
; %bb.7043:                             ;   in Loop: Header=BB4_6521 Depth=3
	v_cmp_lt_i32_e64 s[28:29], -1, v1
	v_bfrev_b32_e32 v0, 0.5
	v_mov_b32_e32 v1, 0x7c
	v_cndmask_b32_e64 v0, v0, v1, s[28:29]
	s_branch .LBB4_6519
.LBB4_7044:                             ;   in Loop: Header=BB4_6521 Depth=3
	s_or_saveexec_b64 s[40:41], s[40:41]
	v_bfrev_b32_e32 v1, 1
	s_xor_b64 exec, exec, s[40:41]
	s_cbranch_execz .LBB4_6533
.LBB4_7045:                             ;   in Loop: Header=BB4_6521 Depth=3
	v_cmp_ne_u16_sdwa s[42:43], v8, v61 src0_sel:BYTE_0 src1_sel:DWORD
	s_andn2_b64 s[28:29], s[28:29], exec
	s_and_b64 s[42:43], s[42:43], exec
	v_mov_b32_e32 v1, 0
	s_or_b64 s[28:29], s[28:29], s[42:43]
	s_or_b64 exec, exec, s[40:41]
	s_and_saveexec_b64 s[38:39], s[28:29]
	s_cbranch_execnz .LBB4_6534
	s_branch .LBB4_6535
.LBB4_7046:                             ;   in Loop: Header=BB4_6521 Depth=3
	s_or_saveexec_b64 s[42:43], s[42:43]
	v_bfrev_b32_e32 v1, 1
	s_xor_b64 exec, exec, s[42:43]
	s_cbranch_execz .LBB4_6567
.LBB4_7047:                             ;   in Loop: Header=BB4_6521 Depth=3
	v_cmp_ne_u16_e64 s[28:29], 0, v0
	s_andn2_b64 s[40:41], s[40:41], exec
	s_and_b64 s[28:29], s[28:29], exec
	v_mov_b32_e32 v1, 0
	s_or_b64 s[40:41], s[40:41], s[28:29]
	s_or_b64 exec, exec, s[42:43]
	s_and_saveexec_b64 s[38:39], s[40:41]
	s_cbranch_execnz .LBB4_6568
	s_branch .LBB4_6569
.LBB4_7048:                             ;   in Loop: Header=BB4_6521 Depth=3
	s_or_saveexec_b64 s[40:41], s[40:41]
	v_bfrev_b32_e32 v2, 1
	s_xor_b64 exec, exec, s[40:41]
	s_cbranch_execz .LBB4_6601
.LBB4_7049:                             ;   in Loop: Header=BB4_6521 Depth=3
	v_cmp_ne_u16_sdwa s[42:43], v0, v61 src0_sel:BYTE_0 src1_sel:DWORD
	s_andn2_b64 s[28:29], s[28:29], exec
	s_and_b64 s[42:43], s[42:43], exec
	v_mov_b32_e32 v2, 0
	s_or_b64 s[28:29], s[28:29], s[42:43]
	s_or_b64 exec, exec, s[40:41]
	s_and_saveexec_b64 s[38:39], s[28:29]
	s_cbranch_execnz .LBB4_6602
	s_branch .LBB4_6603
.LBB4_7050:                             ;   in Loop: Header=BB4_6521 Depth=3
	s_or_saveexec_b64 s[42:43], s[42:43]
	v_bfrev_b32_e32 v2, 1
	s_xor_b64 exec, exec, s[42:43]
	s_cbranch_execz .LBB4_6699
.LBB4_7051:                             ;   in Loop: Header=BB4_6521 Depth=3
	v_cmp_ne_u16_e64 s[28:29], 0, v1
	s_andn2_b64 s[40:41], s[40:41], exec
	s_and_b64 s[28:29], s[28:29], exec
	v_mov_b32_e32 v2, 0
	s_or_b64 s[40:41], s[40:41], s[28:29]
	s_or_b64 exec, exec, s[42:43]
	s_and_saveexec_b64 s[38:39], s[40:41]
	s_cbranch_execnz .LBB4_6700
	s_branch .LBB4_6701
.LBB4_7052:                             ;   in Loop: Header=BB4_6521 Depth=3
	s_or_saveexec_b64 s[40:41], s[40:41]
	v_bfrev_b32_e32 v2, 1
	s_xor_b64 exec, exec, s[40:41]
	s_cbranch_execz .LBB4_6733
.LBB4_7053:                             ;   in Loop: Header=BB4_6521 Depth=3
	v_cmp_ne_u16_sdwa s[42:43], v0, v61 src0_sel:BYTE_0 src1_sel:DWORD
	s_andn2_b64 s[28:29], s[28:29], exec
	s_and_b64 s[42:43], s[42:43], exec
	v_mov_b32_e32 v2, 0
	s_or_b64 s[28:29], s[28:29], s[42:43]
	s_or_b64 exec, exec, s[40:41]
	s_and_saveexec_b64 s[38:39], s[28:29]
	s_cbranch_execnz .LBB4_6734
	s_branch .LBB4_6735
.LBB4_7054:                             ;   in Loop: Header=BB4_6521 Depth=3
	s_or_saveexec_b64 s[40:41], s[40:41]
	v_bfrev_b32_e32 v1, 1
	s_xor_b64 exec, exec, s[40:41]
	s_cbranch_execz .LBB4_6795
.LBB4_7055:                             ;   in Loop: Header=BB4_6521 Depth=3
	v_cmp_ne_u16_sdwa s[42:43], v10, v61 src0_sel:BYTE_0 src1_sel:DWORD
	s_andn2_b64 s[28:29], s[28:29], exec
	s_and_b64 s[42:43], s[42:43], exec
	v_mov_b32_e32 v1, 0
	s_or_b64 s[28:29], s[28:29], s[42:43]
	s_or_b64 exec, exec, s[40:41]
	s_and_saveexec_b64 s[38:39], s[28:29]
	s_cbranch_execnz .LBB4_6796
	s_branch .LBB4_6797
.LBB4_7056:                             ;   in Loop: Header=BB4_6521 Depth=3
	s_or_saveexec_b64 s[42:43], s[42:43]
	v_bfrev_b32_e32 v1, 1
	s_xor_b64 exec, exec, s[42:43]
	s_cbranch_execz .LBB4_6829
.LBB4_7057:                             ;   in Loop: Header=BB4_6521 Depth=3
	v_cmp_ne_u16_e64 s[28:29], 0, v0
	s_andn2_b64 s[40:41], s[40:41], exec
	s_and_b64 s[28:29], s[28:29], exec
	v_mov_b32_e32 v1, 0
	s_or_b64 s[40:41], s[40:41], s[28:29]
	s_or_b64 exec, exec, s[42:43]
	s_and_saveexec_b64 s[38:39], s[40:41]
	s_cbranch_execnz .LBB4_6830
	s_branch .LBB4_6831
.LBB4_7058:                             ;   in Loop: Header=BB4_6521 Depth=3
	s_or_saveexec_b64 s[40:41], s[40:41]
	v_bfrev_b32_e32 v2, 1
	s_xor_b64 exec, exec, s[40:41]
	s_cbranch_execz .LBB4_6863
.LBB4_7059:                             ;   in Loop: Header=BB4_6521 Depth=3
	v_cmp_ne_u16_sdwa s[42:43], v0, v61 src0_sel:BYTE_0 src1_sel:DWORD
	s_andn2_b64 s[28:29], s[28:29], exec
	s_and_b64 s[42:43], s[42:43], exec
	v_mov_b32_e32 v2, 0
	s_or_b64 s[28:29], s[28:29], s[42:43]
	s_or_b64 exec, exec, s[40:41]
	s_and_saveexec_b64 s[38:39], s[28:29]
	s_cbranch_execnz .LBB4_6864
	s_branch .LBB4_6865
.LBB4_7060:                             ;   in Loop: Header=BB4_6521 Depth=3
	s_or_saveexec_b64 s[42:43], s[42:43]
	v_bfrev_b32_e32 v2, 1
	s_xor_b64 exec, exec, s[42:43]
	s_cbranch_execz .LBB4_6961
.LBB4_7061:                             ;   in Loop: Header=BB4_6521 Depth=3
	v_cmp_ne_u16_e64 s[28:29], 0, v1
	s_andn2_b64 s[40:41], s[40:41], exec
	s_and_b64 s[28:29], s[28:29], exec
	v_mov_b32_e32 v2, 0
	s_or_b64 s[40:41], s[40:41], s[28:29]
	s_or_b64 exec, exec, s[42:43]
	s_and_saveexec_b64 s[38:39], s[40:41]
	s_cbranch_execnz .LBB4_6962
	s_branch .LBB4_6963
.LBB4_7062:                             ;   in Loop: Header=BB4_6521 Depth=3
	s_or_saveexec_b64 s[40:41], s[40:41]
	v_bfrev_b32_e32 v2, 1
	s_xor_b64 exec, exec, s[40:41]
	s_cbranch_execz .LBB4_6995
.LBB4_7063:                             ;   in Loop: Header=BB4_6521 Depth=3
	v_cmp_ne_u16_sdwa s[42:43], v0, v61 src0_sel:BYTE_0 src1_sel:DWORD
	s_andn2_b64 s[28:29], s[28:29], exec
	s_and_b64 s[42:43], s[42:43], exec
	v_mov_b32_e32 v2, 0
	s_or_b64 s[28:29], s[28:29], s[42:43]
	s_or_b64 exec, exec, s[40:41]
	s_and_saveexec_b64 s[38:39], s[28:29]
	s_cbranch_execnz .LBB4_6996
	s_branch .LBB4_6997
.LBB4_7064:                             ;   in Loop: Header=BB4_2871 Depth=2
	s_or_b64 exec, exec, s[36:37]
	buffer_load_dword v21, off, s[0:3], s33 offset:64 ; 4-byte Folded Reload
.LBB4_7065:                             ;   in Loop: Header=BB4_2871 Depth=2
	s_or_b64 exec, exec, s[34:35]
	buffer_load_dword v0, off, s[0:3], s33 offset:152 ; 4-byte Folded Reload
	v_mov_b32_e32 v8, 0
	s_mov_b64 s[42:43], 0
                                        ; implicit-def: $vgpr2
	s_waitcnt vmcnt(0)
	v_and_b32_e32 v1, 15, v0
	v_cndmask_b32_e32 v45, v22, v1, vcc
	v_cmp_ne_u32_e64 s[28:29], 0, v45
                                        ; implicit-def: $vgpr0
	s_and_saveexec_b64 s[40:41], s[28:29]
	s_cbranch_execz .LBB4_7067
; %bb.7066:                             ;   in Loop: Header=BB4_2871 Depth=2
	v_sub_u32_e32 v0, v22, v1
	v_cndmask_b32_e32 v0, 0, v0, vcc
	v_cmp_lt_i32_e32 vcc, 0, v7
	v_add3_u32 v8, v6, v4, v0
	v_cndmask_b32_e32 v0, 0, v21, vcc
	v_sub_u32_e32 v0, v0, v7
	v_lshl_add_u32 v2, v0, 6, v5
	v_ashrrev_i32_e32 v0, 31, v2
	v_lshrrev_b32_e32 v0, 26, v0
	v_add_u32_e32 v0, v2, v0
	v_ashrrev_i32_e32 v0, 6, v0
	s_mov_b64 s[42:43], exec
.LBB4_7067:                             ;   in Loop: Header=BB4_2871 Depth=2
	s_or_b64 exec, exec, s[40:41]
	s_and_b64 s[28:29], s[42:43], exec
.LBB4_7068:                             ;   in Loop: Header=BB4_2871 Depth=2
	s_or_b64 exec, exec, s[30:31]
	s_and_saveexec_b64 s[40:41], s[28:29]
	s_cbranch_execz .LBB4_7757
.LBB4_7069:                             ;   in Loop: Header=BB4_2871 Depth=2
	s_waitcnt vmcnt(0)
	v_ashrrev_i32_e32 v1, 31, v45
	v_lshrrev_b32_e32 v1, 22, v1
	v_add_u32_e32 v1, v45, v1
	v_ashrrev_i32_e32 v1, 10, v1
	v_sub_u32_e32 v38, v1, v0
	v_cmp_lt_i32_e32 vcc, 0, v38
	s_and_saveexec_b64 s[42:43], vcc
	s_cbranch_execz .LBB4_7713
; %bb.7070:                             ;   in Loop: Header=BB4_2871 Depth=2
	buffer_store_dword v1, off, s[0:3], s33 offset:276 ; 4-byte Folded Spill
	v_ashrrev_i32_e32 v1, 31, v2
	v_lshrrev_b32_e32 v1, 26, v1
	v_add_u32_e32 v1, v2, v1
	v_and_b32_e32 v1, 0xffffffc0, v1
	v_sub_u32_e32 v1, v2, v1
	v_lshlrev_b32_e32 v0, 10, v0
	buffer_store_dword v2, off, s[0:3], s33 offset:216 ; 4-byte Folded Spill
	buffer_store_dword v8, off, s[0:3], s33 offset:284 ; 4-byte Folded Spill
	v_add3_u32 v2, v8, v1, v0
	s_trap 2
	ds_read_b64 v[0:1], v0
	buffer_load_dword v4, off, s[0:3], s33 offset:184 ; 4-byte Folded Reload
	buffer_load_dword v5, off, s[0:3], s33 offset:188 ; 4-byte Folded Reload
	v_ashrrev_i32_e32 v3, 31, v2
	s_mov_b64 s[30:31], 0
	s_waitcnt vmcnt(0)
	v_add_co_u32_e32 v8, vcc, v2, v4
	v_addc_co_u32_e32 v9, vcc, v3, v5, vcc
	s_waitcnt lgkmcnt(0)
	v_add_co_u32_e32 v10, vcc, v0, v2
	v_addc_co_u32_e32 v11, vcc, v1, v3, vcc
	buffer_load_dword v0, off, s[0:3], s33 offset:116 ; 4-byte Folded Reload
	buffer_load_dword v1, off, s[0:3], s33 offset:120 ; 4-byte Folded Reload
	s_waitcnt vmcnt(1)
	v_add_co_u32_e32 v0, vcc, 0x3c0, v0
	s_waitcnt vmcnt(0)
	v_addc_co_u32_e32 v1, vcc, 0, v1, vcc
	v_add_co_u32_e32 v12, vcc, v0, v2
	v_addc_co_u32_e32 v13, vcc, v1, v3, vcc
	s_branch .LBB4_7073
.LBB4_7071:                             ;   in Loop: Header=BB4_7073 Depth=3
	s_or_b64 exec, exec, s[34:35]
.LBB4_7072:                             ;   in Loop: Header=BB4_7073 Depth=3
	s_or_b64 exec, exec, s[28:29]
	v_add_co_u32_e32 v17, vcc, 0xfffffc40, v12
	s_waitcnt vmcnt(0)
	v_addc_co_u32_e32 v18, vcc, -1, v13, vcc
	flat_store_byte v[17:18], v34 glc slc
	v_add_co_u32_e32 v17, vcc, 0xfffffc80, v12
	v_addc_co_u32_e32 v18, vcc, -1, v13, vcc
	flat_store_byte v[17:18], v7 glc slc
	v_add_co_u32_e32 v17, vcc, 0xfffffcc0, v12
	;; [unrolled: 3-line block ×3, first 2 shown]
	v_addc_co_u32_e32 v7, vcc, -1, v13, vcc
	v_add_co_u32_e32 v2, vcc, 0xfffffd40, v12
	flat_store_byte v[6:7], v3 glc slc
	v_addc_co_u32_e32 v3, vcc, -1, v13, vcc
	flat_store_byte v[2:3], v35 glc slc
	v_add_co_u32_e32 v2, vcc, 0xfffffd80, v12
	v_addc_co_u32_e32 v3, vcc, -1, v13, vcc
	flat_store_byte v[2:3], v36 glc slc
	v_add_co_u32_e32 v2, vcc, 0xfffffdc0, v12
	;; [unrolled: 3-line block ×10, first 2 shown]
	v_addc_co_u32_e32 v3, vcc, -1, v13, vcc
	flat_store_byte v[2:3], v16 glc slc
	flat_store_byte v[12:13], v1 glc slc
	buffer_load_dword v0, off, s[0:3], s33 offset:68 ; 4-byte Folded Reload
	buffer_load_dword v21, off, s[0:3], s33 offset:64 ; 4-byte Folded Reload
	s_waitcnt vmcnt(0)
	v_add_co_u32_e32 v8, vcc, v8, v0
	v_addc_co_u32_e32 v9, vcc, 0, v9, vcc
	v_add_co_u32_e32 v10, vcc, v10, v0
	v_addc_co_u32_e32 v11, vcc, 0, v11, vcc
	v_sub_u32_e32 v38, v38, v21
	v_cmp_gt_i32_e32 vcc, 1, v38
	s_or_b64 s[30:31], vcc, s[30:31]
	v_add_co_u32_e32 v12, vcc, v12, v0
	v_addc_co_u32_e32 v13, vcc, 0, v13, vcc
	s_andn2_b64 exec, exec, s[30:31]
	s_cbranch_execz .LBB4_7712
.LBB4_7073:                             ;   Parent Loop BB4_47 Depth=1
                                        ;     Parent Loop BB4_2871 Depth=2
                                        ; =>    This Inner Loop Header: Depth=3
	flat_load_sbyte v36, v[8:9] glc slc
	flat_load_sbyte v5, v[8:9] offset:64 glc slc
	flat_load_sbyte v0, v[8:9] offset:128 glc slc
	;; [unrolled: 1-line block ×15, first 2 shown]
	flat_load_sbyte v6, v[10:11] glc slc
	flat_load_sbyte v54, v[10:11] offset:64 glc slc
	flat_load_sbyte v43, v[10:11] offset:128 glc slc
	;; [unrolled: 1-line block ×15, first 2 shown]
	v_mov_b32_e32 v1, 0
	v_mov_b32_e32 v3, 0
	s_waitcnt vmcnt(0) lgkmcnt(0)
	buffer_store_dword v7, off, s[0:3], s33 offset:116 ; 4-byte Folded Spill
	s_nop 0
	buffer_store_dword v8, off, s[0:3], s33 offset:120 ; 4-byte Folded Spill
	v_cmp_ne_u16_e32 vcc, 0, v36
	s_and_saveexec_b64 s[28:29], vcc
	s_cbranch_execz .LBB4_7081
; %bb.7074:                             ;   in Loop: Header=BB4_7073 Depth=3
	v_cmp_ne_u16_e32 vcc, s70, v36
	v_bfrev_b32_e32 v3, 1
	s_and_saveexec_b64 s[34:35], vcc
	s_cbranch_execz .LBB4_7080
; %bb.7075:                             ;   in Loop: Header=BB4_7073 Depth=3
	v_and_b32_e32 v3, 0x7c, v36
	v_and_b32_e32 v7, 3, v36
	v_cmp_ne_u32_e32 vcc, s71, v3
                                        ; implicit-def: $vgpr3
	s_and_saveexec_b64 s[36:37], vcc
	s_xor_b64 s[36:37], exec, s[36:37]
	s_cbranch_execz .LBB4_7077
; %bb.7076:                             ;   in Loop: Header=BB4_7073 Depth=3
	v_ffbh_u32_e32 v15, v7
	v_min_u32_e32 v15, 32, v15
	v_and_b32_e32 v3, 0xff, v36
	v_mov_b32_e32 v37, v61
	v_subrev_u32_e32 v25, 29, v15
	v_bfe_u32 v3, v3, 2, 5
	v_lshlrev_b64 v[34:35], v25, v[36:37]
	v_sub_u32_e32 v15, 30, v15
	v_cmp_eq_u32_e32 vcc, 0, v3
	v_and_b32_e32 v25, 3, v34
	v_cndmask_b32_e32 v3, v3, v15, vcc
	v_and_b32_sdwa v15, sext(v36), s80 dst_sel:DWORD dst_unused:UNUSED_PAD src0_sel:WORD_0 src1_sel:DWORD
	v_cndmask_b32_e32 v7, v7, v25, vcc
	v_lshl_add_u32 v3, v3, 23, v15
	v_lshl_or_b32 v3, v7, 21, v3
	v_add_u32_e32 v3, 0x38000000, v3
                                        ; implicit-def: $vgpr7
                                        ; implicit-def: $vgpr36
.LBB4_7077:                             ;   in Loop: Header=BB4_7073 Depth=3
	s_andn2_saveexec_b64 s[36:37], s[36:37]
; %bb.7078:                             ;   in Loop: Header=BB4_7073 Depth=3
	v_cmp_lt_i16_e32 vcc, -1, v36
	v_mov_b32_e32 v3, 0xff800000
	v_cndmask_b32_e32 v3, v3, v47, vcc
	v_cmp_eq_u32_e32 vcc, 0, v7
	v_mov_b32_e32 v7, 0x7f800001
	v_cndmask_b32_e32 v3, v7, v3, vcc
; %bb.7079:                             ;   in Loop: Header=BB4_7073 Depth=3
	s_or_b64 exec, exec, s[36:37]
.LBB4_7080:                             ;   in Loop: Header=BB4_7073 Depth=3
	s_or_b64 exec, exec, s[34:35]
.LBB4_7081:                             ;   in Loop: Header=BB4_7073 Depth=3
	s_or_b64 exec, exec, s[28:29]
	v_cmp_ne_u16_e32 vcc, 0, v6
	s_and_saveexec_b64 s[28:29], vcc
	s_cbranch_execz .LBB4_7089
; %bb.7082:                             ;   in Loop: Header=BB4_7073 Depth=3
	v_cmp_ne_u16_e32 vcc, s70, v6
	v_bfrev_b32_e32 v1, 1
	s_and_saveexec_b64 s[34:35], vcc
	s_cbranch_execz .LBB4_7088
; %bb.7083:                             ;   in Loop: Header=BB4_7073 Depth=3
	v_and_b32_e32 v1, 0x7c, v6
	v_and_b32_e32 v15, 3, v6
	v_cmp_ne_u32_e32 vcc, s71, v1
                                        ; implicit-def: $vgpr1
	s_and_saveexec_b64 s[36:37], vcc
	s_xor_b64 s[36:37], exec, s[36:37]
	s_cbranch_execz .LBB4_7085
; %bb.7084:                             ;   in Loop: Header=BB4_7073 Depth=3
	v_ffbh_u32_e32 v25, v15
	v_min_u32_e32 v25, 32, v25
	v_and_b32_e32 v1, 0xff, v6
	v_mov_b32_e32 v7, v61
	v_subrev_u32_e32 v31, 29, v25
	v_bfe_u32 v1, v1, 2, 5
	v_lshlrev_b64 v[34:35], v31, v[6:7]
	v_sub_u32_e32 v7, 30, v25
	v_cmp_eq_u32_e32 vcc, 0, v1
	v_and_b32_e32 v25, 3, v34
	v_cndmask_b32_e32 v1, v1, v7, vcc
	v_and_b32_sdwa v6, sext(v6), s80 dst_sel:DWORD dst_unused:UNUSED_PAD src0_sel:WORD_0 src1_sel:DWORD
	v_cndmask_b32_e32 v7, v15, v25, vcc
	v_lshl_add_u32 v1, v1, 23, v6
	v_lshl_or_b32 v1, v7, 21, v1
	v_add_u32_e32 v1, 0x38000000, v1
                                        ; implicit-def: $vgpr15
                                        ; implicit-def: $vgpr6
.LBB4_7085:                             ;   in Loop: Header=BB4_7073 Depth=3
	s_andn2_saveexec_b64 s[36:37], s[36:37]
; %bb.7086:                             ;   in Loop: Header=BB4_7073 Depth=3
	v_cmp_lt_i16_e32 vcc, -1, v6
	v_mov_b32_e32 v1, 0xff800000
	v_cndmask_b32_e32 v1, v1, v47, vcc
	v_cmp_eq_u32_e32 vcc, 0, v15
	v_mov_b32_e32 v6, 0x7f800001
	v_cndmask_b32_e32 v1, v6, v1, vcc
; %bb.7087:                             ;   in Loop: Header=BB4_7073 Depth=3
	s_or_b64 exec, exec, s[36:37]
.LBB4_7088:                             ;   in Loop: Header=BB4_7073 Depth=3
	s_or_b64 exec, exec, s[34:35]
.LBB4_7089:                             ;   in Loop: Header=BB4_7073 Depth=3
	s_or_b64 exec, exec, s[28:29]
	v_mul_f32_e32 v3, v3, v1
	v_and_b32_e32 v6, 0x7f800000, v3
	v_mov_b32_e32 v7, v61
	v_cmp_ne_u64_e32 vcc, s[62:63], v[6:7]
	v_and_b32_e32 v60, 0x7fffff, v3
                                        ; implicit-def: $vgpr34
	s_and_saveexec_b64 s[28:29], vcc
	s_xor_b64 s[34:35], exec, s[28:29]
	s_cbranch_execz .LBB4_7107
; %bb.7090:                             ;   in Loop: Header=BB4_7073 Depth=3
	v_and_b32_e32 v6, 0x7fffffff, v3
	v_mov_b32_e32 v7, v61
	v_cmp_gt_u64_e32 vcc, s[78:79], v[6:7]
	v_and_b32_sdwa v1, v3, s81 dst_sel:DWORD dst_unused:UNUSED_PAD src0_sel:BYTE_3 src1_sel:DWORD
                                        ; implicit-def: $vgpr34
	s_and_saveexec_b64 s[28:29], vcc
	s_xor_b64 s[36:37], exec, s[28:29]
	s_cbranch_execz .LBB4_7104
; %bb.7091:                             ;   in Loop: Header=BB4_7073 Depth=3
	v_cmp_ne_u32_e32 vcc, 0, v3
	v_mov_b32_e32 v34, 0
	s_and_saveexec_b64 s[38:39], vcc
	s_cbranch_execz .LBB4_7103
; %bb.7092:                             ;   in Loop: Header=BB4_7073 Depth=3
	v_bfe_u32 v3, v3, 23, 8
	v_cmp_gt_u32_e64 s[28:29], s47, v3
	v_sub_u32_e32 v6, 0x71, v3
	v_cmp_eq_u32_e32 vcc, 0, v3
	v_cndmask_b32_e64 v6, 0, v6, s[28:29]
	v_mov_b32_e32 v15, 0x70
	v_cndmask_b32_e32 v15, v6, v15, vcc
	v_add_u32_e32 v25, 21, v15
	v_or_b32_e32 v7, 0x800000, v60
	v_lshlrev_b64 v[34:35], v25, -1
	v_cndmask_b32_e32 v6, v7, v60, vcc
	v_mov_b32_e32 v7, v61
	v_add_u32_e32 v25, 20, v15
	v_bfi_b32 v34, v34, 0, v6
	v_lshlrev_b64 v[36:37], v25, 1
	v_lshrrev_b64 v[6:7], v15, v[6:7]
	v_bfi_b32 v35, v35, 0, 0
	v_cmp_eq_u64_e64 s[28:29], v[34:35], v[36:37]
	v_mov_b32_e32 v35, v7
	v_mov_b32_e32 v34, v6
	s_and_saveexec_b64 s[48:49], s[28:29]
; %bb.7093:                             ;   in Loop: Header=BB4_7073 Depth=3
	v_bfe_u32 v7, v6, 21, 1
	v_add_co_u32_e64 v7, s[28:29], v6, v7
	v_add_co_u32_e64 v34, s[28:29], -1, v7
; %bb.7094:                             ;   in Loop: Header=BB4_7073 Depth=3
	s_or_b64 exec, exec, s[48:49]
	v_add_u32_e32 v3, 0xffffff81, v3
	v_mov_b32_e32 v7, 0xffffff82
	v_cndmask_b32_e32 v3, v3, v7, vcc
	v_lshrrev_b32_e32 v7, 23, v6
	v_add3_u32 v25, v15, v3, v7
	v_add_u32_e32 v15, 14, v25
	v_and_b32_e32 v3, 0x1fffff, v34
	v_add_u32_e32 v60, v3, v6
	v_cmp_ne_u32_e32 vcc, 0, v15
                                        ; implicit-def: $vgpr6_vgpr7
                                        ; implicit-def: $vgpr3
	s_and_saveexec_b64 s[28:29], vcc
	s_xor_b64 s[28:29], exec, s[28:29]
; %bb.7095:                             ;   in Loop: Header=BB4_7073 Depth=3
	v_cmp_lt_u64_e32 vcc, s[88:89], v[60:61]
	v_add_u32_e32 v3, 15, v25
	v_cndmask_b32_e64 v6, 0, 1, vcc
	v_cndmask_b32_e32 v3, v15, v3, vcc
	v_lshrrev_b64 v[6:7], v6, v[60:61]
; %bb.7096:                             ;   in Loop: Header=BB4_7073 Depth=3
	s_andn2_saveexec_b64 s[28:29], s[28:29]
; %bb.7097:                             ;   in Loop: Header=BB4_7073 Depth=3
	v_mov_b32_e32 v6, v60
	v_mov_b32_e32 v7, v61
	v_bfe_u32 v3, v60, 23, 1
; %bb.7098:                             ;   in Loop: Header=BB4_7073 Depth=3
	s_or_b64 exec, exec, s[28:29]
	v_lshrrev_b64 v[6:7], 21, v[6:7]
	v_cmp_gt_i32_e32 vcc, 32, v3
	v_cndmask_b32_e32 v7, 0, v7, vcc
	v_cndmask_b32_e32 v6, 3, v6, vcc
	v_cmp_ne_u64_e32 vcc, 0, v[6:7]
	v_cmp_ne_u32_e64 s[28:29], 0, v3
	s_or_b64 s[28:29], s[28:29], vcc
                                        ; implicit-def: $vgpr34
	s_and_saveexec_b64 vcc, s[28:29]
	s_xor_b64 s[28:29], exec, vcc
; %bb.7099:                             ;   in Loop: Header=BB4_7073 Depth=3
	v_min_i32_e32 v3, 31, v3
	v_lshl_or_b32 v1, v3, 2, v1
	v_and_or_b32 v34, v6, 3, v1
                                        ; implicit-def: $vgpr1
; %bb.7100:                             ;   in Loop: Header=BB4_7073 Depth=3
	s_andn2_saveexec_b64 s[28:29], s[28:29]
; %bb.7101:                             ;   in Loop: Header=BB4_7073 Depth=3
	v_mov_b32_e32 v34, v1
; %bb.7102:                             ;   in Loop: Header=BB4_7073 Depth=3
	s_or_b64 exec, exec, s[28:29]
.LBB4_7103:                             ;   in Loop: Header=BB4_7073 Depth=3
	s_or_b64 exec, exec, s[38:39]
                                        ; implicit-def: $vgpr1
.LBB4_7104:                             ;   in Loop: Header=BB4_7073 Depth=3
	s_andn2_saveexec_b64 s[28:29], s[36:37]
; %bb.7105:                             ;   in Loop: Header=BB4_7073 Depth=3
	v_or_b32_e32 v34, 0x7b, v1
; %bb.7106:                             ;   in Loop: Header=BB4_7073 Depth=3
	s_or_b64 exec, exec, s[28:29]
                                        ; implicit-def: $vgpr3
.LBB4_7107:                             ;   in Loop: Header=BB4_7073 Depth=3
	s_andn2_saveexec_b64 s[28:29], s[34:35]
	s_cbranch_execz .LBB4_7113
; %bb.7108:                             ;   in Loop: Header=BB4_7073 Depth=3
	v_cmp_ne_u64_e32 vcc, 0, v[60:61]
                                        ; implicit-def: $vgpr34
	s_and_saveexec_b64 s[34:35], vcc
	s_xor_b64 vcc, exec, s[34:35]
; %bb.7109:                             ;   in Loop: Header=BB4_7073 Depth=3
	v_or_b32_sdwa v34, v3, s44 dst_sel:DWORD dst_unused:UNUSED_PAD src0_sel:BYTE_3 src1_sel:DWORD
                                        ; implicit-def: $vgpr3
; %bb.7110:                             ;   in Loop: Header=BB4_7073 Depth=3
	s_andn2_saveexec_b64 s[34:35], vcc
; %bb.7111:                             ;   in Loop: Header=BB4_7073 Depth=3
	v_cmp_lt_i32_e32 vcc, -1, v3
	v_mov_b32_e32 v1, 0x7c
	v_cndmask_b32_e32 v34, -4, v1, vcc
; %bb.7112:                             ;   in Loop: Header=BB4_7073 Depth=3
	s_or_b64 exec, exec, s[34:35]
.LBB4_7113:                             ;   in Loop: Header=BB4_7073 Depth=3
	s_or_b64 exec, exec, s[28:29]
	v_cmp_ne_u16_e32 vcc, 0, v5
	v_mov_b32_e32 v1, 0
	v_mov_b32_e32 v3, 0
	s_and_saveexec_b64 s[28:29], vcc
	s_cbranch_execz .LBB4_7121
; %bb.7114:                             ;   in Loop: Header=BB4_7073 Depth=3
	v_cmp_ne_u16_e32 vcc, s70, v5
	v_bfrev_b32_e32 v3, 1
	s_and_saveexec_b64 s[34:35], vcc
	s_cbranch_execz .LBB4_7120
; %bb.7115:                             ;   in Loop: Header=BB4_7073 Depth=3
	v_and_b32_e32 v3, 0x7c, v5
	v_and_b32_e32 v7, 3, v5
	v_cmp_ne_u32_e32 vcc, s71, v3
                                        ; implicit-def: $vgpr3
	s_and_saveexec_b64 s[36:37], vcc
	s_xor_b64 s[36:37], exec, s[36:37]
	s_cbranch_execz .LBB4_7117
; %bb.7116:                             ;   in Loop: Header=BB4_7073 Depth=3
	v_ffbh_u32_e32 v15, v7
	v_min_u32_e32 v15, 32, v15
	v_and_b32_e32 v3, 0xff, v5
	v_mov_b32_e32 v6, v61
	v_subrev_u32_e32 v25, 29, v15
	v_bfe_u32 v3, v3, 2, 5
	v_lshlrev_b64 v[35:36], v25, v[5:6]
	v_sub_u32_e32 v6, 30, v15
	v_cmp_eq_u32_e32 vcc, 0, v3
	v_and_b32_e32 v15, 3, v35
	v_cndmask_b32_e32 v3, v3, v6, vcc
	v_and_b32_sdwa v5, sext(v5), s80 dst_sel:DWORD dst_unused:UNUSED_PAD src0_sel:WORD_0 src1_sel:DWORD
	v_cndmask_b32_e32 v6, v7, v15, vcc
	v_lshl_add_u32 v3, v3, 23, v5
	v_lshl_or_b32 v3, v6, 21, v3
	v_add_u32_e32 v3, 0x38000000, v3
                                        ; implicit-def: $vgpr7
                                        ; implicit-def: $vgpr5
.LBB4_7117:                             ;   in Loop: Header=BB4_7073 Depth=3
	s_andn2_saveexec_b64 s[36:37], s[36:37]
; %bb.7118:                             ;   in Loop: Header=BB4_7073 Depth=3
	v_cmp_lt_i16_e32 vcc, -1, v5
	v_mov_b32_e32 v3, 0xff800000
	v_cndmask_b32_e32 v3, v3, v47, vcc
	v_cmp_eq_u32_e32 vcc, 0, v7
	v_mov_b32_e32 v5, 0x7f800001
	v_cndmask_b32_e32 v3, v5, v3, vcc
; %bb.7119:                             ;   in Loop: Header=BB4_7073 Depth=3
	s_or_b64 exec, exec, s[36:37]
.LBB4_7120:                             ;   in Loop: Header=BB4_7073 Depth=3
	s_or_b64 exec, exec, s[34:35]
.LBB4_7121:                             ;   in Loop: Header=BB4_7073 Depth=3
	s_or_b64 exec, exec, s[28:29]
	v_cmp_ne_u16_e32 vcc, 0, v54
	s_and_saveexec_b64 s[28:29], vcc
	s_cbranch_execz .LBB4_7129
; %bb.7122:                             ;   in Loop: Header=BB4_7073 Depth=3
	v_cmp_ne_u16_e32 vcc, s70, v54
	v_bfrev_b32_e32 v1, 1
	s_and_saveexec_b64 s[34:35], vcc
	s_cbranch_execz .LBB4_7128
; %bb.7123:                             ;   in Loop: Header=BB4_7073 Depth=3
	v_and_b32_e32 v1, 0x7c, v54
	v_and_b32_e32 v5, 3, v54
	v_cmp_ne_u32_e32 vcc, s71, v1
                                        ; implicit-def: $vgpr1
	s_and_saveexec_b64 s[36:37], vcc
	s_xor_b64 s[36:37], exec, s[36:37]
	s_cbranch_execz .LBB4_7125
; %bb.7124:                             ;   in Loop: Header=BB4_7073 Depth=3
	v_ffbh_u32_e32 v6, v5
	v_min_u32_e32 v15, 32, v6
	v_mov_b32_e32 v55, v61
	v_subrev_u32_e32 v6, 29, v15
	v_and_b32_e32 v1, 0xff, v54
	v_lshlrev_b64 v[6:7], v6, v[54:55]
	v_bfe_u32 v1, v1, 2, 5
	v_sub_u32_e32 v7, 30, v15
	v_and_b32_e32 v6, 3, v6
	v_cmp_eq_u32_e32 vcc, 0, v1
	v_cndmask_b32_e32 v1, v1, v7, vcc
	v_cndmask_b32_e32 v5, v5, v6, vcc
	v_and_b32_sdwa v6, sext(v54), s80 dst_sel:DWORD dst_unused:UNUSED_PAD src0_sel:WORD_0 src1_sel:DWORD
	v_lshl_add_u32 v1, v1, 23, v6
	v_lshl_or_b32 v1, v5, 21, v1
	v_add_u32_e32 v1, 0x38000000, v1
                                        ; implicit-def: $vgpr5
                                        ; implicit-def: $vgpr54
.LBB4_7125:                             ;   in Loop: Header=BB4_7073 Depth=3
	s_andn2_saveexec_b64 s[36:37], s[36:37]
; %bb.7126:                             ;   in Loop: Header=BB4_7073 Depth=3
	v_cmp_lt_i16_e32 vcc, -1, v54
	v_mov_b32_e32 v1, 0xff800000
	v_cndmask_b32_e32 v1, v1, v47, vcc
	v_cmp_eq_u32_e32 vcc, 0, v5
	v_mov_b32_e32 v5, 0x7f800001
	v_cndmask_b32_e32 v1, v5, v1, vcc
; %bb.7127:                             ;   in Loop: Header=BB4_7073 Depth=3
	s_or_b64 exec, exec, s[36:37]
.LBB4_7128:                             ;   in Loop: Header=BB4_7073 Depth=3
	s_or_b64 exec, exec, s[34:35]
.LBB4_7129:                             ;   in Loop: Header=BB4_7073 Depth=3
	s_or_b64 exec, exec, s[28:29]
	v_mul_f32_e32 v3, v3, v1
	v_and_b32_e32 v5, 0x7f800000, v3
	v_mov_b32_e32 v6, v61
	v_cmp_ne_u64_e32 vcc, s[62:63], v[5:6]
	v_and_b32_e32 v60, 0x7fffff, v3
                                        ; implicit-def: $vgpr7
	s_and_saveexec_b64 s[28:29], vcc
	s_xor_b64 s[34:35], exec, s[28:29]
	s_cbranch_execz .LBB4_7147
; %bb.7130:                             ;   in Loop: Header=BB4_7073 Depth=3
	v_and_b32_e32 v5, 0x7fffffff, v3
	v_mov_b32_e32 v6, v61
	v_cmp_gt_u64_e32 vcc, s[78:79], v[5:6]
	v_and_b32_sdwa v1, v3, s81 dst_sel:DWORD dst_unused:UNUSED_PAD src0_sel:BYTE_3 src1_sel:DWORD
                                        ; implicit-def: $vgpr7
	s_and_saveexec_b64 s[28:29], vcc
	s_xor_b64 s[36:37], exec, s[28:29]
	s_cbranch_execz .LBB4_7144
; %bb.7131:                             ;   in Loop: Header=BB4_7073 Depth=3
	v_cmp_ne_u32_e32 vcc, 0, v3
	v_mov_b32_e32 v7, 0
	s_and_saveexec_b64 s[38:39], vcc
	s_cbranch_execz .LBB4_7143
; %bb.7132:                             ;   in Loop: Header=BB4_7073 Depth=3
	v_bfe_u32 v3, v3, 23, 8
	v_cmp_gt_u32_e64 s[28:29], s47, v3
	v_sub_u32_e32 v5, 0x71, v3
	v_cmp_eq_u32_e32 vcc, 0, v3
	v_cndmask_b32_e64 v5, 0, v5, s[28:29]
	v_mov_b32_e32 v7, 0x70
	v_cndmask_b32_e32 v15, v5, v7, vcc
	v_add_u32_e32 v7, 21, v15
	v_or_b32_e32 v6, 0x800000, v60
	v_lshlrev_b64 v[35:36], v7, -1
	v_cndmask_b32_e32 v5, v6, v60, vcc
	v_mov_b32_e32 v6, v61
	v_add_u32_e32 v7, 20, v15
	v_bfi_b32 v35, v35, 0, v5
	v_lshlrev_b64 v[54:55], v7, 1
	v_lshrrev_b64 v[5:6], v15, v[5:6]
	v_bfi_b32 v36, v36, 0, 0
	v_cmp_eq_u64_e64 s[28:29], v[35:36], v[54:55]
	v_mov_b32_e32 v7, v6
	v_mov_b32_e32 v6, v5
	s_and_saveexec_b64 s[48:49], s[28:29]
; %bb.7133:                             ;   in Loop: Header=BB4_7073 Depth=3
	v_bfe_u32 v6, v5, 21, 1
	v_add_co_u32_e64 v6, s[28:29], v5, v6
	v_add_co_u32_e64 v6, s[28:29], -1, v6
; %bb.7134:                             ;   in Loop: Header=BB4_7073 Depth=3
	s_or_b64 exec, exec, s[48:49]
	v_add_u32_e32 v3, 0xffffff81, v3
	v_mov_b32_e32 v7, 0xffffff82
	v_cndmask_b32_e32 v3, v3, v7, vcc
	v_lshrrev_b32_e32 v7, 23, v5
	v_add3_u32 v15, v15, v3, v7
	v_add_u32_e32 v7, 14, v15
	v_and_b32_e32 v3, 0x1fffff, v6
	v_add_u32_e32 v60, v3, v5
	v_cmp_ne_u32_e32 vcc, 0, v7
                                        ; implicit-def: $vgpr5_vgpr6
                                        ; implicit-def: $vgpr3
	s_and_saveexec_b64 s[28:29], vcc
	s_xor_b64 s[28:29], exec, s[28:29]
; %bb.7135:                             ;   in Loop: Header=BB4_7073 Depth=3
	v_cmp_lt_u64_e32 vcc, s[88:89], v[60:61]
	v_add_u32_e32 v3, 15, v15
	v_cndmask_b32_e64 v5, 0, 1, vcc
	v_lshrrev_b64 v[5:6], v5, v[60:61]
	v_cndmask_b32_e32 v3, v7, v3, vcc
; %bb.7136:                             ;   in Loop: Header=BB4_7073 Depth=3
	s_andn2_saveexec_b64 s[28:29], s[28:29]
; %bb.7137:                             ;   in Loop: Header=BB4_7073 Depth=3
	v_mov_b32_e32 v5, v60
	v_mov_b32_e32 v6, v61
	v_bfe_u32 v3, v60, 23, 1
; %bb.7138:                             ;   in Loop: Header=BB4_7073 Depth=3
	s_or_b64 exec, exec, s[28:29]
	v_lshrrev_b64 v[5:6], 21, v[5:6]
	v_cmp_gt_i32_e32 vcc, 32, v3
	v_cndmask_b32_e32 v6, 0, v6, vcc
	v_cndmask_b32_e32 v5, 3, v5, vcc
	v_cmp_ne_u64_e32 vcc, 0, v[5:6]
	v_cmp_ne_u32_e64 s[28:29], 0, v3
	s_or_b64 s[28:29], s[28:29], vcc
                                        ; implicit-def: $vgpr7
	s_and_saveexec_b64 vcc, s[28:29]
	s_xor_b64 s[28:29], exec, vcc
; %bb.7139:                             ;   in Loop: Header=BB4_7073 Depth=3
	v_min_i32_e32 v3, 31, v3
	v_lshl_or_b32 v1, v3, 2, v1
	v_and_or_b32 v7, v5, 3, v1
                                        ; implicit-def: $vgpr1
; %bb.7140:                             ;   in Loop: Header=BB4_7073 Depth=3
	s_andn2_saveexec_b64 s[28:29], s[28:29]
; %bb.7141:                             ;   in Loop: Header=BB4_7073 Depth=3
	v_mov_b32_e32 v7, v1
; %bb.7142:                             ;   in Loop: Header=BB4_7073 Depth=3
	s_or_b64 exec, exec, s[28:29]
.LBB4_7143:                             ;   in Loop: Header=BB4_7073 Depth=3
	s_or_b64 exec, exec, s[38:39]
                                        ; implicit-def: $vgpr1
.LBB4_7144:                             ;   in Loop: Header=BB4_7073 Depth=3
	s_andn2_saveexec_b64 s[28:29], s[36:37]
; %bb.7145:                             ;   in Loop: Header=BB4_7073 Depth=3
	v_or_b32_e32 v7, 0x7b, v1
; %bb.7146:                             ;   in Loop: Header=BB4_7073 Depth=3
	s_or_b64 exec, exec, s[28:29]
                                        ; implicit-def: $vgpr3
.LBB4_7147:                             ;   in Loop: Header=BB4_7073 Depth=3
	s_andn2_saveexec_b64 s[28:29], s[34:35]
	s_cbranch_execz .LBB4_7153
; %bb.7148:                             ;   in Loop: Header=BB4_7073 Depth=3
	v_cmp_ne_u64_e32 vcc, 0, v[60:61]
                                        ; implicit-def: $vgpr7
	s_and_saveexec_b64 s[34:35], vcc
	s_xor_b64 vcc, exec, s[34:35]
; %bb.7149:                             ;   in Loop: Header=BB4_7073 Depth=3
	v_or_b32_sdwa v7, v3, s44 dst_sel:DWORD dst_unused:UNUSED_PAD src0_sel:BYTE_3 src1_sel:DWORD
                                        ; implicit-def: $vgpr3
; %bb.7150:                             ;   in Loop: Header=BB4_7073 Depth=3
	s_andn2_saveexec_b64 s[34:35], vcc
; %bb.7151:                             ;   in Loop: Header=BB4_7073 Depth=3
	v_cmp_lt_i32_e32 vcc, -1, v3
	v_mov_b32_e32 v1, 0x7c
	v_cndmask_b32_e32 v7, -4, v1, vcc
; %bb.7152:                             ;   in Loop: Header=BB4_7073 Depth=3
	s_or_b64 exec, exec, s[34:35]
.LBB4_7153:                             ;   in Loop: Header=BB4_7073 Depth=3
	s_or_b64 exec, exec, s[28:29]
	v_cmp_ne_u16_e32 vcc, 0, v0
	v_mov_b32_e32 v3, 0
	v_mov_b32_e32 v1, 0
	s_and_saveexec_b64 s[28:29], vcc
	s_cbranch_execz .LBB4_7161
; %bb.7154:                             ;   in Loop: Header=BB4_7073 Depth=3
	v_cmp_ne_u16_e32 vcc, s70, v0
	v_bfrev_b32_e32 v1, 1
	s_and_saveexec_b64 s[34:35], vcc
	s_cbranch_execz .LBB4_7160
; %bb.7155:                             ;   in Loop: Header=BB4_7073 Depth=3
	v_and_b32_e32 v1, 0x7c, v0
	v_and_b32_e32 v5, 3, v0
	v_cmp_ne_u32_e32 vcc, s71, v1
                                        ; implicit-def: $vgpr1
	s_and_saveexec_b64 s[36:37], vcc
	s_xor_b64 s[36:37], exec, s[36:37]
	s_cbranch_execz .LBB4_7157
; %bb.7156:                             ;   in Loop: Header=BB4_7073 Depth=3
	v_ffbh_u32_e32 v15, v5
	v_min_u32_e32 v15, 32, v15
	v_and_b32_e32 v6, 0xff, v0
	v_mov_b32_e32 v1, v61
	v_subrev_u32_e32 v25, 29, v15
	v_bfe_u32 v6, v6, 2, 5
	v_lshlrev_b64 v[35:36], v25, v[0:1]
	v_sub_u32_e32 v1, 30, v15
	v_cmp_eq_u32_e32 vcc, 0, v6
	v_and_b32_e32 v15, 3, v35
	v_cndmask_b32_e32 v1, v6, v1, vcc
	v_and_b32_sdwa v0, sext(v0), s80 dst_sel:DWORD dst_unused:UNUSED_PAD src0_sel:WORD_0 src1_sel:DWORD
	v_cndmask_b32_e32 v5, v5, v15, vcc
	v_lshl_add_u32 v0, v1, 23, v0
	v_lshl_or_b32 v0, v5, 21, v0
	v_add_u32_e32 v1, 0x38000000, v0
                                        ; implicit-def: $vgpr5
                                        ; implicit-def: $vgpr0
.LBB4_7157:                             ;   in Loop: Header=BB4_7073 Depth=3
	s_andn2_saveexec_b64 s[36:37], s[36:37]
; %bb.7158:                             ;   in Loop: Header=BB4_7073 Depth=3
	v_cmp_lt_i16_e32 vcc, -1, v0
	v_mov_b32_e32 v0, 0xff800000
	v_cndmask_b32_e32 v0, v0, v47, vcc
	v_cmp_eq_u32_e32 vcc, 0, v5
	v_mov_b32_e32 v1, 0x7f800001
	v_cndmask_b32_e32 v1, v1, v0, vcc
; %bb.7159:                             ;   in Loop: Header=BB4_7073 Depth=3
	s_or_b64 exec, exec, s[36:37]
.LBB4_7160:                             ;   in Loop: Header=BB4_7073 Depth=3
	s_or_b64 exec, exec, s[34:35]
.LBB4_7161:                             ;   in Loop: Header=BB4_7073 Depth=3
	s_or_b64 exec, exec, s[28:29]
	v_cmp_ne_u16_e32 vcc, 0, v43
	s_and_saveexec_b64 s[28:29], vcc
	s_cbranch_execz .LBB4_7169
; %bb.7162:                             ;   in Loop: Header=BB4_7073 Depth=3
	v_cmp_ne_u16_e32 vcc, s70, v43
	v_bfrev_b32_e32 v3, 1
	s_and_saveexec_b64 s[34:35], vcc
	s_cbranch_execz .LBB4_7168
; %bb.7163:                             ;   in Loop: Header=BB4_7073 Depth=3
	v_and_b32_e32 v3, 0x7c, v43
	v_and_b32_e32 v0, 3, v43
	v_cmp_ne_u32_e32 vcc, s71, v3
                                        ; implicit-def: $vgpr3
	s_and_saveexec_b64 s[36:37], vcc
	s_xor_b64 s[36:37], exec, s[36:37]
	s_cbranch_execz .LBB4_7165
; %bb.7164:                             ;   in Loop: Header=BB4_7073 Depth=3
	v_ffbh_u32_e32 v5, v0
	v_min_u32_e32 v15, 32, v5
	v_mov_b32_e32 v44, v61
	v_subrev_u32_e32 v5, 29, v15
	v_and_b32_e32 v3, 0xff, v43
	v_lshlrev_b64 v[5:6], v5, v[43:44]
	v_bfe_u32 v3, v3, 2, 5
	v_sub_u32_e32 v6, 30, v15
	v_and_b32_e32 v5, 3, v5
	v_cmp_eq_u32_e32 vcc, 0, v3
	v_cndmask_b32_e32 v3, v3, v6, vcc
	v_cndmask_b32_e32 v0, v0, v5, vcc
	v_and_b32_sdwa v5, sext(v43), s80 dst_sel:DWORD dst_unused:UNUSED_PAD src0_sel:WORD_0 src1_sel:DWORD
	v_lshl_add_u32 v3, v3, 23, v5
	v_lshl_or_b32 v0, v0, 21, v3
	v_add_u32_e32 v3, 0x38000000, v0
                                        ; implicit-def: $vgpr0
                                        ; implicit-def: $vgpr43
.LBB4_7165:                             ;   in Loop: Header=BB4_7073 Depth=3
	s_andn2_saveexec_b64 s[36:37], s[36:37]
; %bb.7166:                             ;   in Loop: Header=BB4_7073 Depth=3
	v_cmp_lt_i16_e32 vcc, -1, v43
	v_mov_b32_e32 v3, 0xff800000
	v_cndmask_b32_e32 v3, v3, v47, vcc
	v_cmp_eq_u32_e32 vcc, 0, v0
	v_mov_b32_e32 v0, 0x7f800001
	v_cndmask_b32_e32 v3, v0, v3, vcc
; %bb.7167:                             ;   in Loop: Header=BB4_7073 Depth=3
	s_or_b64 exec, exec, s[36:37]
.LBB4_7168:                             ;   in Loop: Header=BB4_7073 Depth=3
	s_or_b64 exec, exec, s[34:35]
.LBB4_7169:                             ;   in Loop: Header=BB4_7073 Depth=3
	s_or_b64 exec, exec, s[28:29]
	v_mul_f32_e32 v0, v1, v3
	v_and_b32_e32 v5, 0x7f800000, v0
	v_mov_b32_e32 v6, v61
	v_cmp_ne_u64_e32 vcc, s[62:63], v[5:6]
	v_and_b32_e32 v60, 0x7fffff, v0
                                        ; implicit-def: $vgpr6
	s_and_saveexec_b64 s[28:29], vcc
	s_xor_b64 s[34:35], exec, s[28:29]
	s_cbranch_execz .LBB4_7187
; %bb.7170:                             ;   in Loop: Header=BB4_7073 Depth=3
	v_and_b32_e32 v5, 0x7fffffff, v0
	v_mov_b32_e32 v6, v61
	v_cmp_gt_u64_e32 vcc, s[78:79], v[5:6]
	v_and_b32_sdwa v3, v0, s81 dst_sel:DWORD dst_unused:UNUSED_PAD src0_sel:BYTE_3 src1_sel:DWORD
                                        ; implicit-def: $vgpr6
	s_and_saveexec_b64 s[28:29], vcc
	s_xor_b64 s[36:37], exec, s[28:29]
	s_cbranch_execz .LBB4_7184
; %bb.7171:                             ;   in Loop: Header=BB4_7073 Depth=3
	v_cmp_ne_u32_e32 vcc, 0, v0
	v_mov_b32_e32 v6, 0
	s_and_saveexec_b64 s[38:39], vcc
	s_cbranch_execz .LBB4_7183
; %bb.7172:                             ;   in Loop: Header=BB4_7073 Depth=3
	v_bfe_u32 v15, v0, 23, 8
	v_cmp_gt_u32_e64 s[28:29], s47, v15
	v_sub_u32_e32 v0, 0x71, v15
	v_cmp_eq_u32_e32 vcc, 0, v15
	v_cndmask_b32_e64 v0, 0, v0, s[28:29]
	v_mov_b32_e32 v5, 0x70
	v_cndmask_b32_e32 v25, v0, v5, vcc
	v_add_u32_e32 v5, 21, v25
	v_or_b32_e32 v1, 0x800000, v60
	v_lshlrev_b64 v[5:6], v5, -1
	v_cndmask_b32_e32 v0, v1, v60, vcc
	v_mov_b32_e32 v1, v61
	v_add_u32_e32 v31, 20, v25
	v_bfi_b32 v5, v5, 0, v0
	v_lshlrev_b64 v[35:36], v31, 1
	v_lshrrev_b64 v[0:1], v25, v[0:1]
	v_bfi_b32 v6, v6, 0, 0
	v_cmp_eq_u64_e64 s[28:29], v[5:6], v[35:36]
	v_mov_b32_e32 v6, v1
	v_mov_b32_e32 v5, v0
	s_and_saveexec_b64 s[48:49], s[28:29]
; %bb.7173:                             ;   in Loop: Header=BB4_7073 Depth=3
	v_bfe_u32 v1, v0, 21, 1
	v_add_co_u32_e64 v1, s[28:29], v0, v1
	v_add_co_u32_e64 v5, s[28:29], -1, v1
; %bb.7174:                             ;   in Loop: Header=BB4_7073 Depth=3
	s_or_b64 exec, exec, s[48:49]
	v_add_u32_e32 v1, 0xffffff81, v15
	v_mov_b32_e32 v6, 0xffffff82
	v_cndmask_b32_e32 v1, v1, v6, vcc
	v_lshrrev_b32_e32 v6, 23, v0
	v_add3_u32 v15, v25, v1, v6
	v_add_u32_e32 v6, 14, v15
	v_and_b32_e32 v1, 0x1fffff, v5
	v_add_u32_e32 v60, v1, v0
	v_cmp_ne_u32_e32 vcc, 0, v6
                                        ; implicit-def: $vgpr0_vgpr1
                                        ; implicit-def: $vgpr5
	s_and_saveexec_b64 s[28:29], vcc
	s_xor_b64 s[28:29], exec, s[28:29]
; %bb.7175:                             ;   in Loop: Header=BB4_7073 Depth=3
	v_cmp_lt_u64_e32 vcc, s[88:89], v[60:61]
	v_add_u32_e32 v0, 15, v15
	v_cndmask_b32_e32 v5, v6, v0, vcc
	v_cndmask_b32_e64 v0, 0, 1, vcc
	v_lshrrev_b64 v[0:1], v0, v[60:61]
; %bb.7176:                             ;   in Loop: Header=BB4_7073 Depth=3
	s_andn2_saveexec_b64 s[28:29], s[28:29]
; %bb.7177:                             ;   in Loop: Header=BB4_7073 Depth=3
	v_mov_b32_e32 v0, v60
	v_mov_b32_e32 v1, v61
	v_bfe_u32 v5, v60, 23, 1
; %bb.7178:                             ;   in Loop: Header=BB4_7073 Depth=3
	s_or_b64 exec, exec, s[28:29]
	v_lshrrev_b64 v[0:1], 21, v[0:1]
	v_cmp_gt_i32_e32 vcc, 32, v5
	v_cndmask_b32_e32 v1, 0, v1, vcc
	v_cndmask_b32_e32 v0, 3, v0, vcc
	v_cmp_ne_u64_e32 vcc, 0, v[0:1]
	v_cmp_ne_u32_e64 s[28:29], 0, v5
	s_or_b64 s[28:29], s[28:29], vcc
                                        ; implicit-def: $vgpr6
	s_and_saveexec_b64 vcc, s[28:29]
	s_xor_b64 s[28:29], exec, vcc
; %bb.7179:                             ;   in Loop: Header=BB4_7073 Depth=3
	v_min_i32_e32 v1, 31, v5
	v_lshl_or_b32 v1, v1, 2, v3
	v_and_or_b32 v6, v0, 3, v1
                                        ; implicit-def: $vgpr3
; %bb.7180:                             ;   in Loop: Header=BB4_7073 Depth=3
	s_andn2_saveexec_b64 s[28:29], s[28:29]
; %bb.7181:                             ;   in Loop: Header=BB4_7073 Depth=3
	v_mov_b32_e32 v6, v3
; %bb.7182:                             ;   in Loop: Header=BB4_7073 Depth=3
	s_or_b64 exec, exec, s[28:29]
.LBB4_7183:                             ;   in Loop: Header=BB4_7073 Depth=3
	s_or_b64 exec, exec, s[38:39]
                                        ; implicit-def: $vgpr3
.LBB4_7184:                             ;   in Loop: Header=BB4_7073 Depth=3
	s_andn2_saveexec_b64 s[28:29], s[36:37]
; %bb.7185:                             ;   in Loop: Header=BB4_7073 Depth=3
	v_or_b32_e32 v6, 0x7b, v3
; %bb.7186:                             ;   in Loop: Header=BB4_7073 Depth=3
	s_or_b64 exec, exec, s[28:29]
                                        ; implicit-def: $vgpr0
.LBB4_7187:                             ;   in Loop: Header=BB4_7073 Depth=3
	s_andn2_saveexec_b64 s[28:29], s[34:35]
	s_cbranch_execz .LBB4_7193
; %bb.7188:                             ;   in Loop: Header=BB4_7073 Depth=3
	v_cmp_ne_u64_e32 vcc, 0, v[60:61]
                                        ; implicit-def: $vgpr6
	s_and_saveexec_b64 s[34:35], vcc
	s_xor_b64 vcc, exec, s[34:35]
; %bb.7189:                             ;   in Loop: Header=BB4_7073 Depth=3
	v_or_b32_sdwa v6, v0, s44 dst_sel:DWORD dst_unused:UNUSED_PAD src0_sel:BYTE_3 src1_sel:DWORD
                                        ; implicit-def: $vgpr0
; %bb.7190:                             ;   in Loop: Header=BB4_7073 Depth=3
	s_andn2_saveexec_b64 s[34:35], vcc
; %bb.7191:                             ;   in Loop: Header=BB4_7073 Depth=3
	v_cmp_lt_i32_e32 vcc, -1, v0
	v_mov_b32_e32 v0, 0x7c
	v_cndmask_b32_e32 v6, -4, v0, vcc
; %bb.7192:                             ;   in Loop: Header=BB4_7073 Depth=3
	s_or_b64 exec, exec, s[34:35]
.LBB4_7193:                             ;   in Loop: Header=BB4_7073 Depth=3
	s_or_b64 exec, exec, s[28:29]
	v_cmp_ne_u16_e32 vcc, 0, v53
	v_mov_b32_e32 v0, 0
	v_mov_b32_e32 v1, 0
	s_and_saveexec_b64 s[28:29], vcc
	s_cbranch_execz .LBB4_7201
; %bb.7194:                             ;   in Loop: Header=BB4_7073 Depth=3
	v_cmp_ne_u16_e32 vcc, s70, v53
	v_bfrev_b32_e32 v1, 1
	s_and_saveexec_b64 s[34:35], vcc
	s_cbranch_execz .LBB4_7200
; %bb.7195:                             ;   in Loop: Header=BB4_7073 Depth=3
	v_and_b32_e32 v1, 0x7c, v53
	v_and_b32_e32 v3, 3, v53
	v_cmp_ne_u32_e32 vcc, s71, v1
                                        ; implicit-def: $vgpr1
	s_and_saveexec_b64 s[36:37], vcc
	s_xor_b64 s[36:37], exec, s[36:37]
	s_cbranch_execz .LBB4_7197
; %bb.7196:                             ;   in Loop: Header=BB4_7073 Depth=3
	v_ffbh_u32_e32 v5, v3
	v_min_u32_e32 v5, 32, v5
	v_and_b32_e32 v1, 0xff, v53
	v_mov_b32_e32 v54, v61
	v_subrev_u32_e32 v15, 29, v5
	v_bfe_u32 v1, v1, 2, 5
	v_lshlrev_b64 v[35:36], v15, v[53:54]
	v_sub_u32_e32 v5, 30, v5
	v_cmp_eq_u32_e32 vcc, 0, v1
	v_and_b32_e32 v15, 3, v35
	v_cndmask_b32_e32 v1, v1, v5, vcc
	v_and_b32_sdwa v5, sext(v53), s80 dst_sel:DWORD dst_unused:UNUSED_PAD src0_sel:WORD_0 src1_sel:DWORD
	v_cndmask_b32_e32 v3, v3, v15, vcc
	v_lshl_add_u32 v1, v1, 23, v5
	v_lshl_or_b32 v1, v3, 21, v1
	v_add_u32_e32 v1, 0x38000000, v1
                                        ; implicit-def: $vgpr3
                                        ; implicit-def: $vgpr53
.LBB4_7197:                             ;   in Loop: Header=BB4_7073 Depth=3
	s_andn2_saveexec_b64 s[36:37], s[36:37]
; %bb.7198:                             ;   in Loop: Header=BB4_7073 Depth=3
	v_cmp_lt_i16_e32 vcc, -1, v53
	v_mov_b32_e32 v1, 0xff800000
	v_cndmask_b32_e32 v1, v1, v47, vcc
	v_cmp_eq_u32_e32 vcc, 0, v3
	v_mov_b32_e32 v3, 0x7f800001
	v_cndmask_b32_e32 v1, v3, v1, vcc
; %bb.7199:                             ;   in Loop: Header=BB4_7073 Depth=3
	s_or_b64 exec, exec, s[36:37]
.LBB4_7200:                             ;   in Loop: Header=BB4_7073 Depth=3
	s_or_b64 exec, exec, s[34:35]
.LBB4_7201:                             ;   in Loop: Header=BB4_7073 Depth=3
	s_or_b64 exec, exec, s[28:29]
	v_cmp_ne_u16_e32 vcc, 0, v2
	s_and_saveexec_b64 s[28:29], vcc
	s_cbranch_execz .LBB4_7209
; %bb.7202:                             ;   in Loop: Header=BB4_7073 Depth=3
	v_cmp_ne_u16_e32 vcc, s70, v2
	v_bfrev_b32_e32 v0, 1
	s_and_saveexec_b64 s[34:35], vcc
	s_cbranch_execz .LBB4_7208
; %bb.7203:                             ;   in Loop: Header=BB4_7073 Depth=3
	v_and_b32_e32 v0, 0x7c, v2
	v_and_b32_e32 v5, 3, v2
	v_cmp_ne_u32_e32 vcc, s71, v0
                                        ; implicit-def: $vgpr0
	s_and_saveexec_b64 s[36:37], vcc
	s_xor_b64 s[36:37], exec, s[36:37]
	s_cbranch_execz .LBB4_7205
; %bb.7204:                             ;   in Loop: Header=BB4_7073 Depth=3
	v_ffbh_u32_e32 v15, v5
	v_min_u32_e32 v15, 32, v15
	v_and_b32_e32 v0, 0xff, v2
	v_mov_b32_e32 v3, v61
	v_subrev_u32_e32 v25, 29, v15
	v_bfe_u32 v0, v0, 2, 5
	v_lshlrev_b64 v[35:36], v25, v[2:3]
	v_sub_u32_e32 v3, 30, v15
	v_cmp_eq_u32_e32 vcc, 0, v0
	v_and_b32_e32 v15, 3, v35
	v_cndmask_b32_e32 v0, v0, v3, vcc
	v_and_b32_sdwa v2, sext(v2), s80 dst_sel:DWORD dst_unused:UNUSED_PAD src0_sel:WORD_0 src1_sel:DWORD
	v_cndmask_b32_e32 v3, v5, v15, vcc
	v_lshl_add_u32 v0, v0, 23, v2
	v_lshl_or_b32 v0, v3, 21, v0
	v_add_u32_e32 v0, 0x38000000, v0
                                        ; implicit-def: $vgpr5
                                        ; implicit-def: $vgpr2
.LBB4_7205:                             ;   in Loop: Header=BB4_7073 Depth=3
	s_andn2_saveexec_b64 s[36:37], s[36:37]
; %bb.7206:                             ;   in Loop: Header=BB4_7073 Depth=3
	v_cmp_lt_i16_e32 vcc, -1, v2
	v_mov_b32_e32 v0, 0xff800000
	v_cndmask_b32_e32 v0, v0, v47, vcc
	v_cmp_eq_u32_e32 vcc, 0, v5
	v_mov_b32_e32 v2, 0x7f800001
	v_cndmask_b32_e32 v0, v2, v0, vcc
; %bb.7207:                             ;   in Loop: Header=BB4_7073 Depth=3
	s_or_b64 exec, exec, s[36:37]
.LBB4_7208:                             ;   in Loop: Header=BB4_7073 Depth=3
	s_or_b64 exec, exec, s[34:35]
.LBB4_7209:                             ;   in Loop: Header=BB4_7073 Depth=3
	s_or_b64 exec, exec, s[28:29]
	v_mul_f32_e32 v0, v1, v0
	v_and_b32_e32 v1, 0x7f800000, v0
	v_mov_b32_e32 v2, v61
	v_cmp_ne_u64_e32 vcc, s[62:63], v[1:2]
	v_and_b32_e32 v60, 0x7fffff, v0
                                        ; implicit-def: $vgpr3
	s_and_saveexec_b64 s[28:29], vcc
	s_xor_b64 s[34:35], exec, s[28:29]
	s_cbranch_execz .LBB4_7227
; %bb.7210:                             ;   in Loop: Header=BB4_7073 Depth=3
	v_and_b32_e32 v1, 0x7fffffff, v0
	v_mov_b32_e32 v2, v61
	v_cmp_gt_u64_e32 vcc, s[78:79], v[1:2]
	v_and_b32_sdwa v5, v0, s81 dst_sel:DWORD dst_unused:UNUSED_PAD src0_sel:BYTE_3 src1_sel:DWORD
                                        ; implicit-def: $vgpr3
	s_and_saveexec_b64 s[28:29], vcc
	s_xor_b64 s[36:37], exec, s[28:29]
	s_cbranch_execz .LBB4_7224
; %bb.7211:                             ;   in Loop: Header=BB4_7073 Depth=3
	v_cmp_ne_u32_e32 vcc, 0, v0
	v_mov_b32_e32 v3, 0
	s_and_saveexec_b64 s[38:39], vcc
	s_cbranch_execz .LBB4_7223
; %bb.7212:                             ;   in Loop: Header=BB4_7073 Depth=3
	v_bfe_u32 v3, v0, 23, 8
	v_cmp_gt_u32_e64 s[28:29], s47, v3
	v_sub_u32_e32 v0, 0x71, v3
	v_cmp_eq_u32_e32 vcc, 0, v3
	v_cndmask_b32_e64 v0, 0, v0, s[28:29]
	v_mov_b32_e32 v2, 0x70
	v_cndmask_b32_e32 v15, v0, v2, vcc
	v_add_u32_e32 v2, 21, v15
	v_or_b32_e32 v1, 0x800000, v60
	v_lshlrev_b64 v[35:36], v2, -1
	v_cndmask_b32_e32 v0, v1, v60, vcc
	v_mov_b32_e32 v1, v61
	v_add_u32_e32 v2, 20, v15
	v_bfi_b32 v35, v35, 0, v0
	v_lshlrev_b64 v[53:54], v2, 1
	v_lshrrev_b64 v[0:1], v15, v[0:1]
	v_bfi_b32 v36, v36, 0, 0
	v_cmp_eq_u64_e64 s[28:29], v[35:36], v[53:54]
	v_mov_b32_e32 v2, v1
	v_mov_b32_e32 v1, v0
	s_and_saveexec_b64 s[48:49], s[28:29]
; %bb.7213:                             ;   in Loop: Header=BB4_7073 Depth=3
	v_bfe_u32 v1, v0, 21, 1
	v_add_co_u32_e64 v1, s[28:29], v0, v1
	v_add_co_u32_e64 v1, s[28:29], -1, v1
; %bb.7214:                             ;   in Loop: Header=BB4_7073 Depth=3
	s_or_b64 exec, exec, s[48:49]
	v_add_u32_e32 v2, 0xffffff81, v3
	v_mov_b32_e32 v3, 0xffffff82
	v_cndmask_b32_e32 v2, v2, v3, vcc
	v_lshrrev_b32_e32 v3, 23, v0
	v_add3_u32 v15, v15, v2, v3
	v_add_u32_e32 v3, 14, v15
	v_and_b32_e32 v1, 0x1fffff, v1
	v_add_u32_e32 v60, v1, v0
	v_cmp_ne_u32_e32 vcc, 0, v3
                                        ; implicit-def: $vgpr0_vgpr1
                                        ; implicit-def: $vgpr2
	s_and_saveexec_b64 s[28:29], vcc
	s_xor_b64 s[28:29], exec, s[28:29]
; %bb.7215:                             ;   in Loop: Header=BB4_7073 Depth=3
	v_cmp_lt_u64_e32 vcc, s[88:89], v[60:61]
	v_add_u32_e32 v0, 15, v15
	v_cndmask_b32_e32 v2, v3, v0, vcc
	v_cndmask_b32_e64 v0, 0, 1, vcc
	v_lshrrev_b64 v[0:1], v0, v[60:61]
; %bb.7216:                             ;   in Loop: Header=BB4_7073 Depth=3
	s_andn2_saveexec_b64 s[28:29], s[28:29]
; %bb.7217:                             ;   in Loop: Header=BB4_7073 Depth=3
	v_mov_b32_e32 v0, v60
	v_mov_b32_e32 v1, v61
	v_bfe_u32 v2, v60, 23, 1
; %bb.7218:                             ;   in Loop: Header=BB4_7073 Depth=3
	s_or_b64 exec, exec, s[28:29]
	v_lshrrev_b64 v[0:1], 21, v[0:1]
	v_cmp_gt_i32_e32 vcc, 32, v2
	v_cndmask_b32_e32 v1, 0, v1, vcc
	v_cndmask_b32_e32 v0, 3, v0, vcc
	v_cmp_ne_u64_e32 vcc, 0, v[0:1]
	v_cmp_ne_u32_e64 s[28:29], 0, v2
	s_or_b64 s[28:29], s[28:29], vcc
                                        ; implicit-def: $vgpr3
	s_and_saveexec_b64 vcc, s[28:29]
	s_xor_b64 s[28:29], exec, vcc
; %bb.7219:                             ;   in Loop: Header=BB4_7073 Depth=3
	v_min_i32_e32 v1, 31, v2
	v_lshl_or_b32 v1, v1, 2, v5
	v_and_or_b32 v3, v0, 3, v1
                                        ; implicit-def: $vgpr5
; %bb.7220:                             ;   in Loop: Header=BB4_7073 Depth=3
	s_andn2_saveexec_b64 s[28:29], s[28:29]
; %bb.7221:                             ;   in Loop: Header=BB4_7073 Depth=3
	v_mov_b32_e32 v3, v5
; %bb.7222:                             ;   in Loop: Header=BB4_7073 Depth=3
	s_or_b64 exec, exec, s[28:29]
.LBB4_7223:                             ;   in Loop: Header=BB4_7073 Depth=3
	s_or_b64 exec, exec, s[38:39]
                                        ; implicit-def: $vgpr5
.LBB4_7224:                             ;   in Loop: Header=BB4_7073 Depth=3
	s_andn2_saveexec_b64 s[28:29], s[36:37]
; %bb.7225:                             ;   in Loop: Header=BB4_7073 Depth=3
	v_or_b32_e32 v3, 0x7b, v5
; %bb.7226:                             ;   in Loop: Header=BB4_7073 Depth=3
	s_or_b64 exec, exec, s[28:29]
                                        ; implicit-def: $vgpr0
.LBB4_7227:                             ;   in Loop: Header=BB4_7073 Depth=3
	s_andn2_saveexec_b64 s[28:29], s[34:35]
	s_cbranch_execz .LBB4_7233
; %bb.7228:                             ;   in Loop: Header=BB4_7073 Depth=3
	v_cmp_ne_u64_e32 vcc, 0, v[60:61]
                                        ; implicit-def: $vgpr3
	s_and_saveexec_b64 s[34:35], vcc
	s_xor_b64 vcc, exec, s[34:35]
; %bb.7229:                             ;   in Loop: Header=BB4_7073 Depth=3
	v_or_b32_sdwa v3, v0, s44 dst_sel:DWORD dst_unused:UNUSED_PAD src0_sel:BYTE_3 src1_sel:DWORD
                                        ; implicit-def: $vgpr0
; %bb.7230:                             ;   in Loop: Header=BB4_7073 Depth=3
	s_andn2_saveexec_b64 s[34:35], vcc
; %bb.7231:                             ;   in Loop: Header=BB4_7073 Depth=3
	v_cmp_lt_i32_e32 vcc, -1, v0
	v_mov_b32_e32 v0, 0x7c
	v_cndmask_b32_e32 v3, -4, v0, vcc
; %bb.7232:                             ;   in Loop: Header=BB4_7073 Depth=3
	s_or_b64 exec, exec, s[34:35]
.LBB4_7233:                             ;   in Loop: Header=BB4_7073 Depth=3
	s_or_b64 exec, exec, s[28:29]
	v_cmp_ne_u16_e32 vcc, 0, v57
	v_mov_b32_e32 v0, 0
	v_mov_b32_e32 v1, 0
	s_and_saveexec_b64 s[28:29], vcc
	s_cbranch_execz .LBB4_7241
; %bb.7234:                             ;   in Loop: Header=BB4_7073 Depth=3
	v_cmp_ne_u16_e32 vcc, s70, v57
	v_bfrev_b32_e32 v1, 1
	s_and_saveexec_b64 s[34:35], vcc
	s_cbranch_execz .LBB4_7240
; %bb.7235:                             ;   in Loop: Header=BB4_7073 Depth=3
	v_and_b32_e32 v1, 0x7c, v57
	v_and_b32_e32 v2, 3, v57
	v_cmp_ne_u32_e32 vcc, s71, v1
                                        ; implicit-def: $vgpr1
	s_and_saveexec_b64 s[36:37], vcc
	s_xor_b64 s[36:37], exec, s[36:37]
	s_cbranch_execz .LBB4_7237
; %bb.7236:                             ;   in Loop: Header=BB4_7073 Depth=3
	v_ffbh_u32_e32 v5, v2
	v_min_u32_e32 v5, 32, v5
	v_and_b32_e32 v1, 0xff, v57
	v_mov_b32_e32 v58, v61
	v_subrev_u32_e32 v15, 29, v5
	v_bfe_u32 v1, v1, 2, 5
	v_lshlrev_b64 v[35:36], v15, v[57:58]
	v_sub_u32_e32 v5, 30, v5
	v_cmp_eq_u32_e32 vcc, 0, v1
	v_and_b32_e32 v15, 3, v35
	v_cndmask_b32_e32 v1, v1, v5, vcc
	v_and_b32_sdwa v5, sext(v57), s80 dst_sel:DWORD dst_unused:UNUSED_PAD src0_sel:WORD_0 src1_sel:DWORD
	v_cndmask_b32_e32 v2, v2, v15, vcc
	v_lshl_add_u32 v1, v1, 23, v5
	v_lshl_or_b32 v1, v2, 21, v1
	v_add_u32_e32 v1, 0x38000000, v1
                                        ; implicit-def: $vgpr2
                                        ; implicit-def: $vgpr57
.LBB4_7237:                             ;   in Loop: Header=BB4_7073 Depth=3
	s_andn2_saveexec_b64 s[36:37], s[36:37]
; %bb.7238:                             ;   in Loop: Header=BB4_7073 Depth=3
	v_cmp_lt_i16_e32 vcc, -1, v57
	v_mov_b32_e32 v1, 0xff800000
	v_cndmask_b32_e32 v1, v1, v47, vcc
	v_cmp_eq_u32_e32 vcc, 0, v2
	v_mov_b32_e32 v2, 0x7f800001
	v_cndmask_b32_e32 v1, v2, v1, vcc
; %bb.7239:                             ;   in Loop: Header=BB4_7073 Depth=3
	s_or_b64 exec, exec, s[36:37]
.LBB4_7240:                             ;   in Loop: Header=BB4_7073 Depth=3
	s_or_b64 exec, exec, s[34:35]
.LBB4_7241:                             ;   in Loop: Header=BB4_7073 Depth=3
	s_or_b64 exec, exec, s[28:29]
	v_cmp_ne_u16_e32 vcc, 0, v42
	s_and_saveexec_b64 s[28:29], vcc
	s_cbranch_execz .LBB4_7249
; %bb.7242:                             ;   in Loop: Header=BB4_7073 Depth=3
	v_cmp_ne_u16_e32 vcc, s70, v42
	v_bfrev_b32_e32 v0, 1
	s_and_saveexec_b64 s[34:35], vcc
	s_cbranch_execz .LBB4_7248
; %bb.7243:                             ;   in Loop: Header=BB4_7073 Depth=3
	v_and_b32_e32 v0, 0x7c, v42
	v_and_b32_e32 v2, 3, v42
	v_cmp_ne_u32_e32 vcc, s71, v0
                                        ; implicit-def: $vgpr0
	s_and_saveexec_b64 s[36:37], vcc
	s_xor_b64 s[36:37], exec, s[36:37]
	s_cbranch_execz .LBB4_7245
; %bb.7244:                             ;   in Loop: Header=BB4_7073 Depth=3
	v_ffbh_u32_e32 v5, v2
	v_min_u32_e32 v5, 32, v5
	v_and_b32_e32 v0, 0xff, v42
	v_mov_b32_e32 v43, v61
	v_subrev_u32_e32 v15, 29, v5
	v_bfe_u32 v0, v0, 2, 5
	v_lshlrev_b64 v[35:36], v15, v[42:43]
	v_sub_u32_e32 v5, 30, v5
	v_cmp_eq_u32_e32 vcc, 0, v0
	v_and_b32_e32 v15, 3, v35
	v_cndmask_b32_e32 v0, v0, v5, vcc
	v_and_b32_sdwa v5, sext(v42), s80 dst_sel:DWORD dst_unused:UNUSED_PAD src0_sel:WORD_0 src1_sel:DWORD
	v_cndmask_b32_e32 v2, v2, v15, vcc
	v_lshl_add_u32 v0, v0, 23, v5
	v_lshl_or_b32 v0, v2, 21, v0
	v_add_u32_e32 v0, 0x38000000, v0
                                        ; implicit-def: $vgpr2
                                        ; implicit-def: $vgpr42
.LBB4_7245:                             ;   in Loop: Header=BB4_7073 Depth=3
	s_andn2_saveexec_b64 s[36:37], s[36:37]
; %bb.7246:                             ;   in Loop: Header=BB4_7073 Depth=3
	v_cmp_lt_i16_e32 vcc, -1, v42
	v_mov_b32_e32 v0, 0xff800000
	v_cndmask_b32_e32 v0, v0, v47, vcc
	v_cmp_eq_u32_e32 vcc, 0, v2
	v_mov_b32_e32 v2, 0x7f800001
	v_cndmask_b32_e32 v0, v2, v0, vcc
; %bb.7247:                             ;   in Loop: Header=BB4_7073 Depth=3
	s_or_b64 exec, exec, s[36:37]
.LBB4_7248:                             ;   in Loop: Header=BB4_7073 Depth=3
	s_or_b64 exec, exec, s[34:35]
.LBB4_7249:                             ;   in Loop: Header=BB4_7073 Depth=3
	s_or_b64 exec, exec, s[28:29]
	v_mul_f32_e32 v0, v1, v0
	v_and_b32_e32 v1, 0x7f800000, v0
	v_mov_b32_e32 v2, v61
	v_cmp_ne_u64_e32 vcc, s[62:63], v[1:2]
	v_and_b32_e32 v60, 0x7fffff, v0
                                        ; implicit-def: $vgpr35
	s_and_saveexec_b64 s[28:29], vcc
	s_xor_b64 s[34:35], exec, s[28:29]
	s_cbranch_execz .LBB4_7267
; %bb.7250:                             ;   in Loop: Header=BB4_7073 Depth=3
	v_and_b32_e32 v1, 0x7fffffff, v0
	v_mov_b32_e32 v2, v61
	v_cmp_gt_u64_e32 vcc, s[78:79], v[1:2]
	v_and_b32_sdwa v5, v0, s81 dst_sel:DWORD dst_unused:UNUSED_PAD src0_sel:BYTE_3 src1_sel:DWORD
                                        ; implicit-def: $vgpr35
	s_and_saveexec_b64 s[28:29], vcc
	s_xor_b64 s[36:37], exec, s[28:29]
	s_cbranch_execz .LBB4_7264
; %bb.7251:                             ;   in Loop: Header=BB4_7073 Depth=3
	v_cmp_ne_u32_e32 vcc, 0, v0
	v_mov_b32_e32 v35, 0
	s_and_saveexec_b64 s[38:39], vcc
	s_cbranch_execz .LBB4_7263
; %bb.7252:                             ;   in Loop: Header=BB4_7073 Depth=3
	v_bfe_u32 v15, v0, 23, 8
	v_cmp_gt_u32_e64 s[28:29], s47, v15
	v_sub_u32_e32 v0, 0x71, v15
	v_cmp_eq_u32_e32 vcc, 0, v15
	v_cndmask_b32_e64 v0, 0, v0, s[28:29]
	v_mov_b32_e32 v2, 0x70
	v_cndmask_b32_e32 v25, v0, v2, vcc
	v_add_u32_e32 v2, 21, v25
	v_or_b32_e32 v1, 0x800000, v60
	v_lshlrev_b64 v[35:36], v2, -1
	v_cndmask_b32_e32 v0, v1, v60, vcc
	v_mov_b32_e32 v1, v61
	v_add_u32_e32 v2, 20, v25
	v_bfi_b32 v35, v35, 0, v0
	v_lshlrev_b64 v[53:54], v2, 1
	v_lshrrev_b64 v[0:1], v25, v[0:1]
	v_bfi_b32 v36, v36, 0, 0
	v_cmp_eq_u64_e64 s[28:29], v[35:36], v[53:54]
	v_mov_b32_e32 v2, v1
	v_mov_b32_e32 v1, v0
	s_and_saveexec_b64 s[48:49], s[28:29]
; %bb.7253:                             ;   in Loop: Header=BB4_7073 Depth=3
	v_bfe_u32 v1, v0, 21, 1
	v_add_co_u32_e64 v1, s[28:29], v0, v1
	v_add_co_u32_e64 v1, s[28:29], -1, v1
; %bb.7254:                             ;   in Loop: Header=BB4_7073 Depth=3
	s_or_b64 exec, exec, s[48:49]
	v_add_u32_e32 v2, 0xffffff81, v15
	v_mov_b32_e32 v15, 0xffffff82
	v_cndmask_b32_e32 v2, v2, v15, vcc
	v_lshrrev_b32_e32 v15, 23, v0
	v_add3_u32 v25, v25, v2, v15
	v_add_u32_e32 v15, 14, v25
	v_and_b32_e32 v1, 0x1fffff, v1
	v_add_u32_e32 v60, v1, v0
	v_cmp_ne_u32_e32 vcc, 0, v15
                                        ; implicit-def: $vgpr0_vgpr1
                                        ; implicit-def: $vgpr2
	s_and_saveexec_b64 s[28:29], vcc
	s_xor_b64 s[28:29], exec, s[28:29]
; %bb.7255:                             ;   in Loop: Header=BB4_7073 Depth=3
	v_cmp_lt_u64_e32 vcc, s[88:89], v[60:61]
	v_add_u32_e32 v0, 15, v25
	v_cndmask_b32_e32 v2, v15, v0, vcc
	v_cndmask_b32_e64 v0, 0, 1, vcc
	v_lshrrev_b64 v[0:1], v0, v[60:61]
; %bb.7256:                             ;   in Loop: Header=BB4_7073 Depth=3
	s_andn2_saveexec_b64 s[28:29], s[28:29]
; %bb.7257:                             ;   in Loop: Header=BB4_7073 Depth=3
	v_mov_b32_e32 v0, v60
	v_mov_b32_e32 v1, v61
	v_bfe_u32 v2, v60, 23, 1
; %bb.7258:                             ;   in Loop: Header=BB4_7073 Depth=3
	s_or_b64 exec, exec, s[28:29]
	v_lshrrev_b64 v[0:1], 21, v[0:1]
	v_cmp_gt_i32_e32 vcc, 32, v2
	v_cndmask_b32_e32 v1, 0, v1, vcc
	v_cndmask_b32_e32 v0, 3, v0, vcc
	v_cmp_ne_u64_e32 vcc, 0, v[0:1]
	v_cmp_ne_u32_e64 s[28:29], 0, v2
	s_or_b64 s[28:29], s[28:29], vcc
                                        ; implicit-def: $vgpr35
	s_and_saveexec_b64 vcc, s[28:29]
	s_xor_b64 s[28:29], exec, vcc
; %bb.7259:                             ;   in Loop: Header=BB4_7073 Depth=3
	v_min_i32_e32 v1, 31, v2
	v_lshl_or_b32 v1, v1, 2, v5
	v_and_or_b32 v35, v0, 3, v1
                                        ; implicit-def: $vgpr5
; %bb.7260:                             ;   in Loop: Header=BB4_7073 Depth=3
	s_andn2_saveexec_b64 s[28:29], s[28:29]
; %bb.7261:                             ;   in Loop: Header=BB4_7073 Depth=3
	v_mov_b32_e32 v35, v5
; %bb.7262:                             ;   in Loop: Header=BB4_7073 Depth=3
	s_or_b64 exec, exec, s[28:29]
.LBB4_7263:                             ;   in Loop: Header=BB4_7073 Depth=3
	s_or_b64 exec, exec, s[38:39]
                                        ; implicit-def: $vgpr5
.LBB4_7264:                             ;   in Loop: Header=BB4_7073 Depth=3
	s_andn2_saveexec_b64 s[28:29], s[36:37]
; %bb.7265:                             ;   in Loop: Header=BB4_7073 Depth=3
	v_or_b32_e32 v35, 0x7b, v5
; %bb.7266:                             ;   in Loop: Header=BB4_7073 Depth=3
	s_or_b64 exec, exec, s[28:29]
                                        ; implicit-def: $vgpr0
.LBB4_7267:                             ;   in Loop: Header=BB4_7073 Depth=3
	s_andn2_saveexec_b64 s[28:29], s[34:35]
	s_cbranch_execz .LBB4_7273
; %bb.7268:                             ;   in Loop: Header=BB4_7073 Depth=3
	v_cmp_ne_u64_e32 vcc, 0, v[60:61]
                                        ; implicit-def: $vgpr35
	s_and_saveexec_b64 s[34:35], vcc
	s_xor_b64 vcc, exec, s[34:35]
; %bb.7269:                             ;   in Loop: Header=BB4_7073 Depth=3
	v_or_b32_sdwa v35, v0, s44 dst_sel:DWORD dst_unused:UNUSED_PAD src0_sel:BYTE_3 src1_sel:DWORD
                                        ; implicit-def: $vgpr0
; %bb.7270:                             ;   in Loop: Header=BB4_7073 Depth=3
	s_andn2_saveexec_b64 s[34:35], vcc
; %bb.7271:                             ;   in Loop: Header=BB4_7073 Depth=3
	v_cmp_lt_i32_e32 vcc, -1, v0
	v_mov_b32_e32 v0, 0x7c
	v_cndmask_b32_e32 v35, -4, v0, vcc
; %bb.7272:                             ;   in Loop: Header=BB4_7073 Depth=3
	s_or_b64 exec, exec, s[34:35]
.LBB4_7273:                             ;   in Loop: Header=BB4_7073 Depth=3
	s_or_b64 exec, exec, s[28:29]
	v_cmp_ne_u16_e32 vcc, 0, v56
	v_mov_b32_e32 v0, 0
	v_mov_b32_e32 v1, 0
	s_and_saveexec_b64 s[28:29], vcc
	s_cbranch_execz .LBB4_7281
; %bb.7274:                             ;   in Loop: Header=BB4_7073 Depth=3
	v_cmp_ne_u16_e32 vcc, s70, v56
	v_bfrev_b32_e32 v1, 1
	s_and_saveexec_b64 s[34:35], vcc
	s_cbranch_execz .LBB4_7280
; %bb.7275:                             ;   in Loop: Header=BB4_7073 Depth=3
	v_and_b32_e32 v1, 0x7c, v56
	v_and_b32_e32 v2, 3, v56
	v_cmp_ne_u32_e32 vcc, s71, v1
                                        ; implicit-def: $vgpr1
	s_and_saveexec_b64 s[36:37], vcc
	s_xor_b64 s[36:37], exec, s[36:37]
	s_cbranch_execz .LBB4_7277
; %bb.7276:                             ;   in Loop: Header=BB4_7073 Depth=3
	v_ffbh_u32_e32 v5, v2
	v_min_u32_e32 v5, 32, v5
	v_and_b32_e32 v1, 0xff, v56
	v_mov_b32_e32 v57, v61
	v_subrev_u32_e32 v15, 29, v5
	v_bfe_u32 v1, v1, 2, 5
	v_lshlrev_b64 v[36:37], v15, v[56:57]
	v_sub_u32_e32 v5, 30, v5
	v_cmp_eq_u32_e32 vcc, 0, v1
	v_and_b32_e32 v15, 3, v36
	v_cndmask_b32_e32 v1, v1, v5, vcc
	v_and_b32_sdwa v5, sext(v56), s80 dst_sel:DWORD dst_unused:UNUSED_PAD src0_sel:WORD_0 src1_sel:DWORD
	v_cndmask_b32_e32 v2, v2, v15, vcc
	v_lshl_add_u32 v1, v1, 23, v5
	v_lshl_or_b32 v1, v2, 21, v1
	v_add_u32_e32 v1, 0x38000000, v1
                                        ; implicit-def: $vgpr2
                                        ; implicit-def: $vgpr56
.LBB4_7277:                             ;   in Loop: Header=BB4_7073 Depth=3
	s_andn2_saveexec_b64 s[36:37], s[36:37]
; %bb.7278:                             ;   in Loop: Header=BB4_7073 Depth=3
	v_cmp_lt_i16_e32 vcc, -1, v56
	v_mov_b32_e32 v1, 0xff800000
	v_cndmask_b32_e32 v1, v1, v47, vcc
	v_cmp_eq_u32_e32 vcc, 0, v2
	v_mov_b32_e32 v2, 0x7f800001
	v_cndmask_b32_e32 v1, v2, v1, vcc
; %bb.7279:                             ;   in Loop: Header=BB4_7073 Depth=3
	s_or_b64 exec, exec, s[36:37]
.LBB4_7280:                             ;   in Loop: Header=BB4_7073 Depth=3
	s_or_b64 exec, exec, s[34:35]
.LBB4_7281:                             ;   in Loop: Header=BB4_7073 Depth=3
	s_or_b64 exec, exec, s[28:29]
	v_cmp_ne_u16_e32 vcc, 0, v50
	s_and_saveexec_b64 s[28:29], vcc
	s_cbranch_execz .LBB4_7289
; %bb.7282:                             ;   in Loop: Header=BB4_7073 Depth=3
	v_cmp_ne_u16_e32 vcc, s70, v50
	v_bfrev_b32_e32 v0, 1
	s_and_saveexec_b64 s[34:35], vcc
	s_cbranch_execz .LBB4_7288
; %bb.7283:                             ;   in Loop: Header=BB4_7073 Depth=3
	v_and_b32_e32 v0, 0x7c, v50
	v_and_b32_e32 v2, 3, v50
	v_cmp_ne_u32_e32 vcc, s71, v0
                                        ; implicit-def: $vgpr0
	s_and_saveexec_b64 s[36:37], vcc
	s_xor_b64 s[36:37], exec, s[36:37]
	s_cbranch_execz .LBB4_7285
; %bb.7284:                             ;   in Loop: Header=BB4_7073 Depth=3
	v_ffbh_u32_e32 v5, v2
	v_min_u32_e32 v5, 32, v5
	v_and_b32_e32 v0, 0xff, v50
	v_mov_b32_e32 v51, v61
	v_subrev_u32_e32 v15, 29, v5
	v_bfe_u32 v0, v0, 2, 5
	v_lshlrev_b64 v[36:37], v15, v[50:51]
	v_sub_u32_e32 v5, 30, v5
	v_cmp_eq_u32_e32 vcc, 0, v0
	v_and_b32_e32 v15, 3, v36
	v_cndmask_b32_e32 v0, v0, v5, vcc
	v_and_b32_sdwa v5, sext(v50), s80 dst_sel:DWORD dst_unused:UNUSED_PAD src0_sel:WORD_0 src1_sel:DWORD
	v_cndmask_b32_e32 v2, v2, v15, vcc
	v_lshl_add_u32 v0, v0, 23, v5
	v_lshl_or_b32 v0, v2, 21, v0
	v_add_u32_e32 v0, 0x38000000, v0
                                        ; implicit-def: $vgpr2
                                        ; implicit-def: $vgpr50
.LBB4_7285:                             ;   in Loop: Header=BB4_7073 Depth=3
	s_andn2_saveexec_b64 s[36:37], s[36:37]
; %bb.7286:                             ;   in Loop: Header=BB4_7073 Depth=3
	v_cmp_lt_i16_e32 vcc, -1, v50
	v_mov_b32_e32 v0, 0xff800000
	v_cndmask_b32_e32 v0, v0, v47, vcc
	v_cmp_eq_u32_e32 vcc, 0, v2
	v_mov_b32_e32 v2, 0x7f800001
	v_cndmask_b32_e32 v0, v2, v0, vcc
; %bb.7287:                             ;   in Loop: Header=BB4_7073 Depth=3
	s_or_b64 exec, exec, s[36:37]
.LBB4_7288:                             ;   in Loop: Header=BB4_7073 Depth=3
	s_or_b64 exec, exec, s[34:35]
.LBB4_7289:                             ;   in Loop: Header=BB4_7073 Depth=3
	s_or_b64 exec, exec, s[28:29]
	v_mul_f32_e32 v0, v1, v0
	v_and_b32_e32 v1, 0x7f800000, v0
	v_mov_b32_e32 v2, v61
	v_cmp_ne_u64_e32 vcc, s[62:63], v[1:2]
	v_and_b32_e32 v60, 0x7fffff, v0
                                        ; implicit-def: $vgpr36
	s_and_saveexec_b64 s[28:29], vcc
	s_xor_b64 s[34:35], exec, s[28:29]
	s_cbranch_execz .LBB4_7307
; %bb.7290:                             ;   in Loop: Header=BB4_7073 Depth=3
	v_and_b32_e32 v1, 0x7fffffff, v0
	v_mov_b32_e32 v2, v61
	v_cmp_gt_u64_e32 vcc, s[78:79], v[1:2]
	v_and_b32_sdwa v5, v0, s81 dst_sel:DWORD dst_unused:UNUSED_PAD src0_sel:BYTE_3 src1_sel:DWORD
                                        ; implicit-def: $vgpr36
	s_and_saveexec_b64 s[28:29], vcc
	s_xor_b64 s[36:37], exec, s[28:29]
	s_cbranch_execz .LBB4_7304
; %bb.7291:                             ;   in Loop: Header=BB4_7073 Depth=3
	v_cmp_ne_u32_e32 vcc, 0, v0
	v_mov_b32_e32 v36, 0
	s_and_saveexec_b64 s[38:39], vcc
	s_cbranch_execz .LBB4_7303
; %bb.7292:                             ;   in Loop: Header=BB4_7073 Depth=3
	v_bfe_u32 v15, v0, 23, 8
	v_cmp_gt_u32_e64 s[28:29], s47, v15
	v_sub_u32_e32 v0, 0x71, v15
	v_cmp_eq_u32_e32 vcc, 0, v15
	v_cndmask_b32_e64 v0, 0, v0, s[28:29]
	v_mov_b32_e32 v2, 0x70
	v_cndmask_b32_e32 v25, v0, v2, vcc
	v_add_u32_e32 v2, 21, v25
	v_or_b32_e32 v1, 0x800000, v60
	v_lshlrev_b64 v[36:37], v2, -1
	v_cndmask_b32_e32 v0, v1, v60, vcc
	v_mov_b32_e32 v1, v61
	v_add_u32_e32 v2, 20, v25
	v_bfi_b32 v36, v36, 0, v0
	v_lshlrev_b64 v[50:51], v2, 1
	v_lshrrev_b64 v[0:1], v25, v[0:1]
	v_bfi_b32 v37, v37, 0, 0
	v_cmp_eq_u64_e64 s[28:29], v[36:37], v[50:51]
	v_mov_b32_e32 v2, v1
	v_mov_b32_e32 v1, v0
	s_and_saveexec_b64 s[48:49], s[28:29]
; %bb.7293:                             ;   in Loop: Header=BB4_7073 Depth=3
	v_bfe_u32 v1, v0, 21, 1
	v_add_co_u32_e64 v1, s[28:29], v0, v1
	v_add_co_u32_e64 v1, s[28:29], -1, v1
; %bb.7294:                             ;   in Loop: Header=BB4_7073 Depth=3
	s_or_b64 exec, exec, s[48:49]
	v_add_u32_e32 v2, 0xffffff81, v15
	v_mov_b32_e32 v15, 0xffffff82
	v_cndmask_b32_e32 v2, v2, v15, vcc
	v_lshrrev_b32_e32 v15, 23, v0
	v_add3_u32 v25, v25, v2, v15
	v_add_u32_e32 v15, 14, v25
	v_and_b32_e32 v1, 0x1fffff, v1
	v_add_u32_e32 v60, v1, v0
	v_cmp_ne_u32_e32 vcc, 0, v15
                                        ; implicit-def: $vgpr0_vgpr1
                                        ; implicit-def: $vgpr2
	s_and_saveexec_b64 s[28:29], vcc
	s_xor_b64 s[28:29], exec, s[28:29]
; %bb.7295:                             ;   in Loop: Header=BB4_7073 Depth=3
	v_cmp_lt_u64_e32 vcc, s[88:89], v[60:61]
	v_add_u32_e32 v0, 15, v25
	v_cndmask_b32_e32 v2, v15, v0, vcc
	v_cndmask_b32_e64 v0, 0, 1, vcc
	v_lshrrev_b64 v[0:1], v0, v[60:61]
; %bb.7296:                             ;   in Loop: Header=BB4_7073 Depth=3
	s_andn2_saveexec_b64 s[28:29], s[28:29]
; %bb.7297:                             ;   in Loop: Header=BB4_7073 Depth=3
	v_mov_b32_e32 v0, v60
	v_mov_b32_e32 v1, v61
	v_bfe_u32 v2, v60, 23, 1
; %bb.7298:                             ;   in Loop: Header=BB4_7073 Depth=3
	s_or_b64 exec, exec, s[28:29]
	v_lshrrev_b64 v[0:1], 21, v[0:1]
	v_cmp_gt_i32_e32 vcc, 32, v2
	v_cndmask_b32_e32 v1, 0, v1, vcc
	v_cndmask_b32_e32 v0, 3, v0, vcc
	v_cmp_ne_u64_e32 vcc, 0, v[0:1]
	v_cmp_ne_u32_e64 s[28:29], 0, v2
	s_or_b64 s[28:29], s[28:29], vcc
                                        ; implicit-def: $vgpr36
	s_and_saveexec_b64 vcc, s[28:29]
	s_xor_b64 s[28:29], exec, vcc
; %bb.7299:                             ;   in Loop: Header=BB4_7073 Depth=3
	v_min_i32_e32 v1, 31, v2
	v_lshl_or_b32 v1, v1, 2, v5
	v_and_or_b32 v36, v0, 3, v1
                                        ; implicit-def: $vgpr5
; %bb.7300:                             ;   in Loop: Header=BB4_7073 Depth=3
	s_andn2_saveexec_b64 s[28:29], s[28:29]
; %bb.7301:                             ;   in Loop: Header=BB4_7073 Depth=3
	v_mov_b32_e32 v36, v5
; %bb.7302:                             ;   in Loop: Header=BB4_7073 Depth=3
	s_or_b64 exec, exec, s[28:29]
.LBB4_7303:                             ;   in Loop: Header=BB4_7073 Depth=3
	s_or_b64 exec, exec, s[38:39]
                                        ; implicit-def: $vgpr5
.LBB4_7304:                             ;   in Loop: Header=BB4_7073 Depth=3
	s_andn2_saveexec_b64 s[28:29], s[36:37]
; %bb.7305:                             ;   in Loop: Header=BB4_7073 Depth=3
	v_or_b32_e32 v36, 0x7b, v5
; %bb.7306:                             ;   in Loop: Header=BB4_7073 Depth=3
	s_or_b64 exec, exec, s[28:29]
                                        ; implicit-def: $vgpr0
.LBB4_7307:                             ;   in Loop: Header=BB4_7073 Depth=3
	s_andn2_saveexec_b64 s[28:29], s[34:35]
	s_cbranch_execz .LBB4_7313
; %bb.7308:                             ;   in Loop: Header=BB4_7073 Depth=3
	v_cmp_ne_u64_e32 vcc, 0, v[60:61]
                                        ; implicit-def: $vgpr36
	s_and_saveexec_b64 s[34:35], vcc
	s_xor_b64 vcc, exec, s[34:35]
; %bb.7309:                             ;   in Loop: Header=BB4_7073 Depth=3
	v_or_b32_sdwa v36, v0, s44 dst_sel:DWORD dst_unused:UNUSED_PAD src0_sel:BYTE_3 src1_sel:DWORD
                                        ; implicit-def: $vgpr0
; %bb.7310:                             ;   in Loop: Header=BB4_7073 Depth=3
	s_andn2_saveexec_b64 s[34:35], vcc
; %bb.7311:                             ;   in Loop: Header=BB4_7073 Depth=3
	v_cmp_lt_i32_e32 vcc, -1, v0
	v_mov_b32_e32 v0, 0x7c
	v_cndmask_b32_e32 v36, -4, v0, vcc
; %bb.7312:                             ;   in Loop: Header=BB4_7073 Depth=3
	s_or_b64 exec, exec, s[34:35]
.LBB4_7313:                             ;   in Loop: Header=BB4_7073 Depth=3
	s_or_b64 exec, exec, s[28:29]
	v_cmp_ne_u16_e32 vcc, 0, v52
	v_mov_b32_e32 v0, 0
	v_mov_b32_e32 v1, 0
	s_and_saveexec_b64 s[28:29], vcc
	s_cbranch_execz .LBB4_7321
; %bb.7314:                             ;   in Loop: Header=BB4_7073 Depth=3
	v_cmp_ne_u16_e32 vcc, s70, v52
	v_bfrev_b32_e32 v1, 1
	s_and_saveexec_b64 s[34:35], vcc
	s_cbranch_execz .LBB4_7320
; %bb.7315:                             ;   in Loop: Header=BB4_7073 Depth=3
	v_and_b32_e32 v1, 0x7c, v52
	v_and_b32_e32 v2, 3, v52
	v_cmp_ne_u32_e32 vcc, s71, v1
                                        ; implicit-def: $vgpr1
	s_and_saveexec_b64 s[36:37], vcc
	s_xor_b64 s[36:37], exec, s[36:37]
	s_cbranch_execz .LBB4_7317
; %bb.7316:                             ;   in Loop: Header=BB4_7073 Depth=3
	v_ffbh_u32_e32 v5, v2
	v_min_u32_e32 v5, 32, v5
	v_and_b32_e32 v1, 0xff, v52
	v_mov_b32_e32 v53, v61
	v_subrev_u32_e32 v15, 29, v5
	v_bfe_u32 v1, v1, 2, 5
	v_lshlrev_b64 v[50:51], v15, v[52:53]
	v_sub_u32_e32 v5, 30, v5
	v_cmp_eq_u32_e32 vcc, 0, v1
	v_and_b32_e32 v15, 3, v50
	v_cndmask_b32_e32 v1, v1, v5, vcc
	v_and_b32_sdwa v5, sext(v52), s80 dst_sel:DWORD dst_unused:UNUSED_PAD src0_sel:WORD_0 src1_sel:DWORD
	v_cndmask_b32_e32 v2, v2, v15, vcc
	v_lshl_add_u32 v1, v1, 23, v5
	v_lshl_or_b32 v1, v2, 21, v1
	v_add_u32_e32 v1, 0x38000000, v1
                                        ; implicit-def: $vgpr2
                                        ; implicit-def: $vgpr52
.LBB4_7317:                             ;   in Loop: Header=BB4_7073 Depth=3
	s_andn2_saveexec_b64 s[36:37], s[36:37]
; %bb.7318:                             ;   in Loop: Header=BB4_7073 Depth=3
	v_cmp_lt_i16_e32 vcc, -1, v52
	v_mov_b32_e32 v1, 0xff800000
	v_cndmask_b32_e32 v1, v1, v47, vcc
	v_cmp_eq_u32_e32 vcc, 0, v2
	v_mov_b32_e32 v2, 0x7f800001
	v_cndmask_b32_e32 v1, v2, v1, vcc
; %bb.7319:                             ;   in Loop: Header=BB4_7073 Depth=3
	s_or_b64 exec, exec, s[36:37]
.LBB4_7320:                             ;   in Loop: Header=BB4_7073 Depth=3
	s_or_b64 exec, exec, s[34:35]
.LBB4_7321:                             ;   in Loop: Header=BB4_7073 Depth=3
	s_or_b64 exec, exec, s[28:29]
	v_cmp_ne_u16_e32 vcc, 0, v4
	s_and_saveexec_b64 s[28:29], vcc
	s_cbranch_execz .LBB4_7329
; %bb.7322:                             ;   in Loop: Header=BB4_7073 Depth=3
	v_cmp_ne_u16_e32 vcc, s70, v4
	v_bfrev_b32_e32 v0, 1
	s_and_saveexec_b64 s[34:35], vcc
	s_cbranch_execz .LBB4_7328
; %bb.7323:                             ;   in Loop: Header=BB4_7073 Depth=3
	v_and_b32_e32 v0, 0x7c, v4
	v_and_b32_e32 v2, 3, v4
	v_cmp_ne_u32_e32 vcc, s71, v0
                                        ; implicit-def: $vgpr0
	s_and_saveexec_b64 s[36:37], vcc
	s_xor_b64 s[36:37], exec, s[36:37]
	s_cbranch_execz .LBB4_7325
; %bb.7324:                             ;   in Loop: Header=BB4_7073 Depth=3
	v_ffbh_u32_e32 v15, v2
	v_min_u32_e32 v15, 32, v15
	v_and_b32_e32 v0, 0xff, v4
	v_mov_b32_e32 v5, v61
	v_subrev_u32_e32 v25, 29, v15
	v_bfe_u32 v0, v0, 2, 5
	v_lshlrev_b64 v[50:51], v25, v[4:5]
	v_sub_u32_e32 v5, 30, v15
	v_cmp_eq_u32_e32 vcc, 0, v0
	v_and_b32_e32 v15, 3, v50
	v_cndmask_b32_e32 v0, v0, v5, vcc
	v_and_b32_sdwa v4, sext(v4), s80 dst_sel:DWORD dst_unused:UNUSED_PAD src0_sel:WORD_0 src1_sel:DWORD
	v_cndmask_b32_e32 v2, v2, v15, vcc
	v_lshl_add_u32 v0, v0, 23, v4
	v_lshl_or_b32 v0, v2, 21, v0
	v_add_u32_e32 v0, 0x38000000, v0
                                        ; implicit-def: $vgpr2
                                        ; implicit-def: $vgpr4
.LBB4_7325:                             ;   in Loop: Header=BB4_7073 Depth=3
	s_andn2_saveexec_b64 s[36:37], s[36:37]
; %bb.7326:                             ;   in Loop: Header=BB4_7073 Depth=3
	v_cmp_lt_i16_e32 vcc, -1, v4
	v_mov_b32_e32 v0, 0xff800000
	v_cndmask_b32_e32 v0, v0, v47, vcc
	v_cmp_eq_u32_e32 vcc, 0, v2
	v_mov_b32_e32 v2, 0x7f800001
	v_cndmask_b32_e32 v0, v2, v0, vcc
; %bb.7327:                             ;   in Loop: Header=BB4_7073 Depth=3
	s_or_b64 exec, exec, s[36:37]
.LBB4_7328:                             ;   in Loop: Header=BB4_7073 Depth=3
	s_or_b64 exec, exec, s[34:35]
.LBB4_7329:                             ;   in Loop: Header=BB4_7073 Depth=3
	s_or_b64 exec, exec, s[28:29]
	v_mul_f32_e32 v0, v1, v0
	v_and_b32_e32 v1, 0x7f800000, v0
	v_mov_b32_e32 v2, v61
	v_cmp_ne_u64_e32 vcc, s[62:63], v[1:2]
	v_and_b32_e32 v60, 0x7fffff, v0
                                        ; implicit-def: $vgpr4
	s_and_saveexec_b64 s[28:29], vcc
	s_xor_b64 s[34:35], exec, s[28:29]
	s_cbranch_execz .LBB4_7347
; %bb.7330:                             ;   in Loop: Header=BB4_7073 Depth=3
	v_and_b32_e32 v1, 0x7fffffff, v0
	v_mov_b32_e32 v2, v61
	v_cmp_gt_u64_e32 vcc, s[78:79], v[1:2]
	v_and_b32_sdwa v5, v0, s81 dst_sel:DWORD dst_unused:UNUSED_PAD src0_sel:BYTE_3 src1_sel:DWORD
                                        ; implicit-def: $vgpr4
	s_and_saveexec_b64 s[28:29], vcc
	s_xor_b64 s[36:37], exec, s[28:29]
	s_cbranch_execz .LBB4_7344
; %bb.7331:                             ;   in Loop: Header=BB4_7073 Depth=3
	v_cmp_ne_u32_e32 vcc, 0, v0
	v_mov_b32_e32 v4, 0
	s_and_saveexec_b64 s[38:39], vcc
	s_cbranch_execz .LBB4_7343
; %bb.7332:                             ;   in Loop: Header=BB4_7073 Depth=3
	v_bfe_u32 v4, v0, 23, 8
	v_cmp_gt_u32_e64 s[28:29], s47, v4
	v_sub_u32_e32 v0, 0x71, v4
	v_cmp_eq_u32_e32 vcc, 0, v4
	v_cndmask_b32_e64 v0, 0, v0, s[28:29]
	v_mov_b32_e32 v2, 0x70
	v_cndmask_b32_e32 v15, v0, v2, vcc
	v_add_u32_e32 v2, 21, v15
	v_or_b32_e32 v1, 0x800000, v60
	v_lshlrev_b64 v[50:51], v2, -1
	v_cndmask_b32_e32 v0, v1, v60, vcc
	v_mov_b32_e32 v1, v61
	v_add_u32_e32 v2, 20, v15
	v_bfi_b32 v50, v50, 0, v0
	v_lshlrev_b64 v[52:53], v2, 1
	v_lshrrev_b64 v[0:1], v15, v[0:1]
	v_bfi_b32 v51, v51, 0, 0
	v_cmp_eq_u64_e64 s[28:29], v[50:51], v[52:53]
	v_mov_b32_e32 v2, v1
	v_mov_b32_e32 v1, v0
	s_and_saveexec_b64 s[48:49], s[28:29]
; %bb.7333:                             ;   in Loop: Header=BB4_7073 Depth=3
	v_bfe_u32 v1, v0, 21, 1
	v_add_co_u32_e64 v1, s[28:29], v0, v1
	v_add_co_u32_e64 v1, s[28:29], -1, v1
; %bb.7334:                             ;   in Loop: Header=BB4_7073 Depth=3
	s_or_b64 exec, exec, s[48:49]
	v_add_u32_e32 v2, 0xffffff81, v4
	v_mov_b32_e32 v4, 0xffffff82
	v_cndmask_b32_e32 v2, v2, v4, vcc
	v_lshrrev_b32_e32 v4, 23, v0
	v_add3_u32 v15, v15, v2, v4
	v_add_u32_e32 v4, 14, v15
	v_and_b32_e32 v1, 0x1fffff, v1
	v_add_u32_e32 v60, v1, v0
	v_cmp_ne_u32_e32 vcc, 0, v4
                                        ; implicit-def: $vgpr0_vgpr1
                                        ; implicit-def: $vgpr2
	s_and_saveexec_b64 s[28:29], vcc
	s_xor_b64 s[28:29], exec, s[28:29]
; %bb.7335:                             ;   in Loop: Header=BB4_7073 Depth=3
	v_cmp_lt_u64_e32 vcc, s[88:89], v[60:61]
	v_add_u32_e32 v0, 15, v15
	v_cndmask_b32_e32 v2, v4, v0, vcc
	v_cndmask_b32_e64 v0, 0, 1, vcc
	v_lshrrev_b64 v[0:1], v0, v[60:61]
; %bb.7336:                             ;   in Loop: Header=BB4_7073 Depth=3
	s_andn2_saveexec_b64 s[28:29], s[28:29]
; %bb.7337:                             ;   in Loop: Header=BB4_7073 Depth=3
	v_mov_b32_e32 v0, v60
	v_mov_b32_e32 v1, v61
	v_bfe_u32 v2, v60, 23, 1
; %bb.7338:                             ;   in Loop: Header=BB4_7073 Depth=3
	s_or_b64 exec, exec, s[28:29]
	v_lshrrev_b64 v[0:1], 21, v[0:1]
	v_cmp_gt_i32_e32 vcc, 32, v2
	v_cndmask_b32_e32 v1, 0, v1, vcc
	v_cndmask_b32_e32 v0, 3, v0, vcc
	v_cmp_ne_u64_e32 vcc, 0, v[0:1]
	v_cmp_ne_u32_e64 s[28:29], 0, v2
	s_or_b64 s[28:29], s[28:29], vcc
                                        ; implicit-def: $vgpr4
	s_and_saveexec_b64 vcc, s[28:29]
	s_xor_b64 s[28:29], exec, vcc
; %bb.7339:                             ;   in Loop: Header=BB4_7073 Depth=3
	v_min_i32_e32 v1, 31, v2
	v_lshl_or_b32 v1, v1, 2, v5
	v_and_or_b32 v4, v0, 3, v1
                                        ; implicit-def: $vgpr5
; %bb.7340:                             ;   in Loop: Header=BB4_7073 Depth=3
	s_andn2_saveexec_b64 s[28:29], s[28:29]
; %bb.7341:                             ;   in Loop: Header=BB4_7073 Depth=3
	v_mov_b32_e32 v4, v5
; %bb.7342:                             ;   in Loop: Header=BB4_7073 Depth=3
	s_or_b64 exec, exec, s[28:29]
.LBB4_7343:                             ;   in Loop: Header=BB4_7073 Depth=3
	s_or_b64 exec, exec, s[38:39]
                                        ; implicit-def: $vgpr5
.LBB4_7344:                             ;   in Loop: Header=BB4_7073 Depth=3
	s_andn2_saveexec_b64 s[28:29], s[36:37]
; %bb.7345:                             ;   in Loop: Header=BB4_7073 Depth=3
	v_or_b32_e32 v4, 0x7b, v5
; %bb.7346:                             ;   in Loop: Header=BB4_7073 Depth=3
	s_or_b64 exec, exec, s[28:29]
                                        ; implicit-def: $vgpr0
.LBB4_7347:                             ;   in Loop: Header=BB4_7073 Depth=3
	s_andn2_saveexec_b64 s[28:29], s[34:35]
	s_cbranch_execz .LBB4_7353
; %bb.7348:                             ;   in Loop: Header=BB4_7073 Depth=3
	v_cmp_ne_u64_e32 vcc, 0, v[60:61]
                                        ; implicit-def: $vgpr4
	s_and_saveexec_b64 s[34:35], vcc
	s_xor_b64 vcc, exec, s[34:35]
; %bb.7349:                             ;   in Loop: Header=BB4_7073 Depth=3
	v_or_b32_sdwa v4, v0, s44 dst_sel:DWORD dst_unused:UNUSED_PAD src0_sel:BYTE_3 src1_sel:DWORD
                                        ; implicit-def: $vgpr0
; %bb.7350:                             ;   in Loop: Header=BB4_7073 Depth=3
	s_andn2_saveexec_b64 s[34:35], vcc
; %bb.7351:                             ;   in Loop: Header=BB4_7073 Depth=3
	v_cmp_lt_i32_e32 vcc, -1, v0
	v_mov_b32_e32 v0, 0x7c
	v_cndmask_b32_e32 v4, -4, v0, vcc
; %bb.7352:                             ;   in Loop: Header=BB4_7073 Depth=3
	s_or_b64 exec, exec, s[34:35]
.LBB4_7353:                             ;   in Loop: Header=BB4_7073 Depth=3
	s_or_b64 exec, exec, s[28:29]
	v_cmp_ne_u16_e32 vcc, 0, v24
	v_mov_b32_e32 v0, 0
	v_mov_b32_e32 v1, 0
	s_and_saveexec_b64 s[28:29], vcc
	s_cbranch_execz .LBB4_7361
; %bb.7354:                             ;   in Loop: Header=BB4_7073 Depth=3
	v_cmp_ne_u16_e32 vcc, s70, v24
	v_bfrev_b32_e32 v1, 1
	s_and_saveexec_b64 s[34:35], vcc
	s_cbranch_execz .LBB4_7360
; %bb.7355:                             ;   in Loop: Header=BB4_7073 Depth=3
	v_and_b32_e32 v1, 0x7c, v24
	v_and_b32_e32 v2, 3, v24
	v_cmp_ne_u32_e32 vcc, s71, v1
                                        ; implicit-def: $vgpr1
	s_and_saveexec_b64 s[36:37], vcc
	s_xor_b64 s[36:37], exec, s[36:37]
	s_cbranch_execz .LBB4_7357
; %bb.7356:                             ;   in Loop: Header=BB4_7073 Depth=3
	v_ffbh_u32_e32 v5, v2
	v_min_u32_e32 v5, 32, v5
	v_and_b32_e32 v1, 0xff, v24
	v_mov_b32_e32 v25, v61
	v_subrev_u32_e32 v15, 29, v5
	v_bfe_u32 v1, v1, 2, 5
	v_lshlrev_b64 v[50:51], v15, v[24:25]
	v_sub_u32_e32 v5, 30, v5
	v_cmp_eq_u32_e32 vcc, 0, v1
	v_and_b32_e32 v15, 3, v50
	v_cndmask_b32_e32 v1, v1, v5, vcc
	v_and_b32_sdwa v5, sext(v24), s80 dst_sel:DWORD dst_unused:UNUSED_PAD src0_sel:WORD_0 src1_sel:DWORD
	v_cndmask_b32_e32 v2, v2, v15, vcc
	v_lshl_add_u32 v1, v1, 23, v5
	v_lshl_or_b32 v1, v2, 21, v1
	v_add_u32_e32 v1, 0x38000000, v1
                                        ; implicit-def: $vgpr2
                                        ; implicit-def: $vgpr24
.LBB4_7357:                             ;   in Loop: Header=BB4_7073 Depth=3
	s_andn2_saveexec_b64 s[36:37], s[36:37]
; %bb.7358:                             ;   in Loop: Header=BB4_7073 Depth=3
	v_cmp_lt_i16_e32 vcc, -1, v24
	v_mov_b32_e32 v1, 0xff800000
	v_cndmask_b32_e32 v1, v1, v47, vcc
	v_cmp_eq_u32_e32 vcc, 0, v2
	v_mov_b32_e32 v2, 0x7f800001
	v_cndmask_b32_e32 v1, v2, v1, vcc
; %bb.7359:                             ;   in Loop: Header=BB4_7073 Depth=3
	s_or_b64 exec, exec, s[36:37]
.LBB4_7360:                             ;   in Loop: Header=BB4_7073 Depth=3
	s_or_b64 exec, exec, s[34:35]
.LBB4_7361:                             ;   in Loop: Header=BB4_7073 Depth=3
	s_or_b64 exec, exec, s[28:29]
	v_cmp_ne_u16_e32 vcc, 0, v23
	s_and_saveexec_b64 s[28:29], vcc
	s_cbranch_execz .LBB4_7369
; %bb.7362:                             ;   in Loop: Header=BB4_7073 Depth=3
	v_cmp_ne_u16_e32 vcc, s70, v23
	v_bfrev_b32_e32 v0, 1
	s_and_saveexec_b64 s[34:35], vcc
	s_cbranch_execz .LBB4_7368
; %bb.7363:                             ;   in Loop: Header=BB4_7073 Depth=3
	v_and_b32_e32 v0, 0x7c, v23
	v_and_b32_e32 v2, 3, v23
	v_cmp_ne_u32_e32 vcc, s71, v0
                                        ; implicit-def: $vgpr0
	s_and_saveexec_b64 s[36:37], vcc
	s_xor_b64 s[36:37], exec, s[36:37]
	s_cbranch_execz .LBB4_7365
; %bb.7364:                             ;   in Loop: Header=BB4_7073 Depth=3
	v_ffbh_u32_e32 v5, v2
	v_min_u32_e32 v5, 32, v5
	v_and_b32_e32 v0, 0xff, v23
	v_mov_b32_e32 v24, v61
	v_subrev_u32_e32 v15, 29, v5
	v_bfe_u32 v0, v0, 2, 5
	v_lshlrev_b64 v[24:25], v15, v[23:24]
	v_sub_u32_e32 v5, 30, v5
	v_cmp_eq_u32_e32 vcc, 0, v0
	v_and_b32_e32 v15, 3, v24
	v_cndmask_b32_e32 v0, v0, v5, vcc
	v_and_b32_sdwa v5, sext(v23), s80 dst_sel:DWORD dst_unused:UNUSED_PAD src0_sel:WORD_0 src1_sel:DWORD
	v_cndmask_b32_e32 v2, v2, v15, vcc
	v_lshl_add_u32 v0, v0, 23, v5
	v_lshl_or_b32 v0, v2, 21, v0
	v_add_u32_e32 v0, 0x38000000, v0
                                        ; implicit-def: $vgpr2
                                        ; implicit-def: $vgpr23
.LBB4_7365:                             ;   in Loop: Header=BB4_7073 Depth=3
	s_andn2_saveexec_b64 s[36:37], s[36:37]
; %bb.7366:                             ;   in Loop: Header=BB4_7073 Depth=3
	v_cmp_lt_i16_e32 vcc, -1, v23
	v_mov_b32_e32 v0, 0xff800000
	v_cndmask_b32_e32 v0, v0, v47, vcc
	v_cmp_eq_u32_e32 vcc, 0, v2
	v_mov_b32_e32 v2, 0x7f800001
	v_cndmask_b32_e32 v0, v2, v0, vcc
; %bb.7367:                             ;   in Loop: Header=BB4_7073 Depth=3
	s_or_b64 exec, exec, s[36:37]
.LBB4_7368:                             ;   in Loop: Header=BB4_7073 Depth=3
	s_or_b64 exec, exec, s[34:35]
.LBB4_7369:                             ;   in Loop: Header=BB4_7073 Depth=3
	s_or_b64 exec, exec, s[28:29]
	v_mul_f32_e32 v0, v1, v0
	v_and_b32_e32 v1, 0x7f800000, v0
	v_mov_b32_e32 v2, v61
	v_cmp_ne_u64_e32 vcc, s[62:63], v[1:2]
	v_and_b32_e32 v60, 0x7fffff, v0
                                        ; implicit-def: $vgpr5
	s_and_saveexec_b64 s[28:29], vcc
	s_xor_b64 s[34:35], exec, s[28:29]
	s_cbranch_execz .LBB4_7387
; %bb.7370:                             ;   in Loop: Header=BB4_7073 Depth=3
	v_and_b32_e32 v1, 0x7fffffff, v0
	v_mov_b32_e32 v2, v61
	v_cmp_gt_u64_e32 vcc, s[78:79], v[1:2]
	v_and_b32_sdwa v15, v0, s81 dst_sel:DWORD dst_unused:UNUSED_PAD src0_sel:BYTE_3 src1_sel:DWORD
                                        ; implicit-def: $vgpr5
	s_and_saveexec_b64 s[28:29], vcc
	s_xor_b64 s[36:37], exec, s[28:29]
	s_cbranch_execz .LBB4_7384
; %bb.7371:                             ;   in Loop: Header=BB4_7073 Depth=3
	v_cmp_ne_u32_e32 vcc, 0, v0
	v_mov_b32_e32 v5, 0
	s_and_saveexec_b64 s[38:39], vcc
	s_cbranch_execz .LBB4_7383
; %bb.7372:                             ;   in Loop: Header=BB4_7073 Depth=3
	v_bfe_u32 v5, v0, 23, 8
	v_cmp_gt_u32_e64 s[28:29], s47, v5
	v_sub_u32_e32 v0, 0x71, v5
	v_cmp_eq_u32_e32 vcc, 0, v5
	v_cndmask_b32_e64 v0, 0, v0, s[28:29]
	v_mov_b32_e32 v2, 0x70
	v_cndmask_b32_e32 v23, v0, v2, vcc
	v_add_u32_e32 v2, 21, v23
	v_or_b32_e32 v1, 0x800000, v60
	v_lshlrev_b64 v[24:25], v2, -1
	v_cndmask_b32_e32 v0, v1, v60, vcc
	v_mov_b32_e32 v1, v61
	v_add_u32_e32 v2, 20, v23
	v_bfi_b32 v24, v24, 0, v0
	v_lshlrev_b64 v[50:51], v2, 1
	v_lshrrev_b64 v[0:1], v23, v[0:1]
	v_bfi_b32 v25, v25, 0, 0
	v_cmp_eq_u64_e64 s[28:29], v[24:25], v[50:51]
	v_mov_b32_e32 v2, v1
	v_mov_b32_e32 v1, v0
	s_and_saveexec_b64 s[48:49], s[28:29]
; %bb.7373:                             ;   in Loop: Header=BB4_7073 Depth=3
	v_bfe_u32 v1, v0, 21, 1
	v_add_co_u32_e64 v1, s[28:29], v0, v1
	v_add_co_u32_e64 v1, s[28:29], -1, v1
; %bb.7374:                             ;   in Loop: Header=BB4_7073 Depth=3
	s_or_b64 exec, exec, s[48:49]
	v_add_u32_e32 v2, 0xffffff81, v5
	v_mov_b32_e32 v5, 0xffffff82
	v_cndmask_b32_e32 v2, v2, v5, vcc
	v_lshrrev_b32_e32 v5, 23, v0
	v_add3_u32 v23, v23, v2, v5
	v_add_u32_e32 v5, 14, v23
	v_and_b32_e32 v1, 0x1fffff, v1
	v_add_u32_e32 v60, v1, v0
	v_cmp_ne_u32_e32 vcc, 0, v5
                                        ; implicit-def: $vgpr0_vgpr1
                                        ; implicit-def: $vgpr2
	s_and_saveexec_b64 s[28:29], vcc
	s_xor_b64 s[28:29], exec, s[28:29]
; %bb.7375:                             ;   in Loop: Header=BB4_7073 Depth=3
	v_cmp_lt_u64_e32 vcc, s[88:89], v[60:61]
	v_add_u32_e32 v0, 15, v23
	v_cndmask_b32_e32 v2, v5, v0, vcc
	v_cndmask_b32_e64 v0, 0, 1, vcc
	v_lshrrev_b64 v[0:1], v0, v[60:61]
; %bb.7376:                             ;   in Loop: Header=BB4_7073 Depth=3
	s_andn2_saveexec_b64 s[28:29], s[28:29]
; %bb.7377:                             ;   in Loop: Header=BB4_7073 Depth=3
	v_mov_b32_e32 v0, v60
	v_mov_b32_e32 v1, v61
	v_bfe_u32 v2, v60, 23, 1
; %bb.7378:                             ;   in Loop: Header=BB4_7073 Depth=3
	s_or_b64 exec, exec, s[28:29]
	v_lshrrev_b64 v[0:1], 21, v[0:1]
	v_cmp_gt_i32_e32 vcc, 32, v2
	v_cndmask_b32_e32 v1, 0, v1, vcc
	v_cndmask_b32_e32 v0, 3, v0, vcc
	v_cmp_ne_u64_e32 vcc, 0, v[0:1]
	v_cmp_ne_u32_e64 s[28:29], 0, v2
	s_or_b64 s[28:29], s[28:29], vcc
                                        ; implicit-def: $vgpr5
	s_and_saveexec_b64 vcc, s[28:29]
	s_xor_b64 s[28:29], exec, vcc
; %bb.7379:                             ;   in Loop: Header=BB4_7073 Depth=3
	v_min_i32_e32 v1, 31, v2
	v_lshl_or_b32 v1, v1, 2, v15
	v_and_or_b32 v5, v0, 3, v1
                                        ; implicit-def: $vgpr15
; %bb.7380:                             ;   in Loop: Header=BB4_7073 Depth=3
	s_andn2_saveexec_b64 s[28:29], s[28:29]
; %bb.7381:                             ;   in Loop: Header=BB4_7073 Depth=3
	v_mov_b32_e32 v5, v15
; %bb.7382:                             ;   in Loop: Header=BB4_7073 Depth=3
	s_or_b64 exec, exec, s[28:29]
.LBB4_7383:                             ;   in Loop: Header=BB4_7073 Depth=3
	s_or_b64 exec, exec, s[38:39]
                                        ; implicit-def: $vgpr15
.LBB4_7384:                             ;   in Loop: Header=BB4_7073 Depth=3
	s_andn2_saveexec_b64 s[28:29], s[36:37]
; %bb.7385:                             ;   in Loop: Header=BB4_7073 Depth=3
	v_or_b32_e32 v5, 0x7b, v15
; %bb.7386:                             ;   in Loop: Header=BB4_7073 Depth=3
	s_or_b64 exec, exec, s[28:29]
                                        ; implicit-def: $vgpr0
.LBB4_7387:                             ;   in Loop: Header=BB4_7073 Depth=3
	s_andn2_saveexec_b64 s[28:29], s[34:35]
	s_cbranch_execz .LBB4_7393
; %bb.7388:                             ;   in Loop: Header=BB4_7073 Depth=3
	v_cmp_ne_u64_e32 vcc, 0, v[60:61]
                                        ; implicit-def: $vgpr5
	s_and_saveexec_b64 s[34:35], vcc
	s_xor_b64 vcc, exec, s[34:35]
; %bb.7389:                             ;   in Loop: Header=BB4_7073 Depth=3
	v_or_b32_sdwa v5, v0, s44 dst_sel:DWORD dst_unused:UNUSED_PAD src0_sel:BYTE_3 src1_sel:DWORD
                                        ; implicit-def: $vgpr0
; %bb.7390:                             ;   in Loop: Header=BB4_7073 Depth=3
	s_andn2_saveexec_b64 s[34:35], vcc
; %bb.7391:                             ;   in Loop: Header=BB4_7073 Depth=3
	v_cmp_lt_i32_e32 vcc, -1, v0
	v_mov_b32_e32 v0, 0x7c
	v_cndmask_b32_e32 v5, -4, v0, vcc
; %bb.7392:                             ;   in Loop: Header=BB4_7073 Depth=3
	s_or_b64 exec, exec, s[34:35]
.LBB4_7393:                             ;   in Loop: Header=BB4_7073 Depth=3
	s_or_b64 exec, exec, s[28:29]
	v_cmp_ne_u16_e32 vcc, 0, v14
	v_mov_b32_e32 v0, 0
	v_mov_b32_e32 v1, 0
	s_and_saveexec_b64 s[28:29], vcc
	s_cbranch_execz .LBB4_7401
; %bb.7394:                             ;   in Loop: Header=BB4_7073 Depth=3
	v_cmp_ne_u16_e32 vcc, s70, v14
	v_bfrev_b32_e32 v1, 1
	s_and_saveexec_b64 s[34:35], vcc
	s_cbranch_execz .LBB4_7400
; %bb.7395:                             ;   in Loop: Header=BB4_7073 Depth=3
	v_and_b32_e32 v1, 0x7c, v14
	v_and_b32_e32 v2, 3, v14
	v_cmp_ne_u32_e32 vcc, s71, v1
                                        ; implicit-def: $vgpr1
	s_and_saveexec_b64 s[36:37], vcc
	s_xor_b64 s[36:37], exec, s[36:37]
	s_cbranch_execz .LBB4_7397
; %bb.7396:                             ;   in Loop: Header=BB4_7073 Depth=3
	v_ffbh_u32_e32 v23, v2
	v_min_u32_e32 v25, 32, v23
	v_and_b32_e32 v1, 0xff, v14
	v_mov_b32_e32 v15, v61
	v_subrev_u32_e32 v23, 29, v25
	v_bfe_u32 v1, v1, 2, 5
	v_lshlrev_b64 v[23:24], v23, v[14:15]
	v_sub_u32_e32 v15, 30, v25
	v_cmp_eq_u32_e32 vcc, 0, v1
	v_and_b32_e32 v23, 3, v23
	v_cndmask_b32_e32 v1, v1, v15, vcc
	v_and_b32_sdwa v14, sext(v14), s80 dst_sel:DWORD dst_unused:UNUSED_PAD src0_sel:WORD_0 src1_sel:DWORD
	v_cndmask_b32_e32 v2, v2, v23, vcc
	v_lshl_add_u32 v1, v1, 23, v14
	v_lshl_or_b32 v1, v2, 21, v1
	v_add_u32_e32 v1, 0x38000000, v1
                                        ; implicit-def: $vgpr2
                                        ; implicit-def: $vgpr14
.LBB4_7397:                             ;   in Loop: Header=BB4_7073 Depth=3
	s_andn2_saveexec_b64 s[36:37], s[36:37]
; %bb.7398:                             ;   in Loop: Header=BB4_7073 Depth=3
	v_cmp_lt_i16_e32 vcc, -1, v14
	v_mov_b32_e32 v1, 0xff800000
	v_cndmask_b32_e32 v1, v1, v47, vcc
	v_cmp_eq_u32_e32 vcc, 0, v2
	v_mov_b32_e32 v2, 0x7f800001
	v_cndmask_b32_e32 v1, v2, v1, vcc
; %bb.7399:                             ;   in Loop: Header=BB4_7073 Depth=3
	s_or_b64 exec, exec, s[36:37]
.LBB4_7400:                             ;   in Loop: Header=BB4_7073 Depth=3
	s_or_b64 exec, exec, s[34:35]
.LBB4_7401:                             ;   in Loop: Header=BB4_7073 Depth=3
	s_or_b64 exec, exec, s[28:29]
	v_cmp_ne_u16_e32 vcc, 0, v59
	s_and_saveexec_b64 s[28:29], vcc
	s_cbranch_execz .LBB4_7409
; %bb.7402:                             ;   in Loop: Header=BB4_7073 Depth=3
	v_cmp_ne_u16_e32 vcc, s70, v59
	v_bfrev_b32_e32 v0, 1
	s_and_saveexec_b64 s[34:35], vcc
	s_cbranch_execz .LBB4_7408
; %bb.7403:                             ;   in Loop: Header=BB4_7073 Depth=3
	v_and_b32_e32 v0, 0x7c, v59
	v_and_b32_e32 v2, 3, v59
	v_cmp_ne_u32_e32 vcc, s71, v0
                                        ; implicit-def: $vgpr0
	s_and_saveexec_b64 s[36:37], vcc
	s_xor_b64 s[36:37], exec, s[36:37]
	s_cbranch_execz .LBB4_7405
; %bb.7404:                             ;   in Loop: Header=BB4_7073 Depth=3
	v_ffbh_u32_e32 v14, v2
	v_min_u32_e32 v23, 32, v14
	v_mov_b32_e32 v60, v61
	v_subrev_u32_e32 v14, 29, v23
	v_and_b32_e32 v0, 0xff, v59
	v_lshlrev_b64 v[14:15], v14, v[59:60]
	v_bfe_u32 v0, v0, 2, 5
	v_sub_u32_e32 v15, 30, v23
	v_and_b32_e32 v14, 3, v14
	v_cmp_eq_u32_e32 vcc, 0, v0
	v_cndmask_b32_e32 v0, v0, v15, vcc
	v_cndmask_b32_e32 v2, v2, v14, vcc
	v_and_b32_sdwa v14, sext(v59), s80 dst_sel:DWORD dst_unused:UNUSED_PAD src0_sel:WORD_0 src1_sel:DWORD
	v_lshl_add_u32 v0, v0, 23, v14
	v_lshl_or_b32 v0, v2, 21, v0
	v_add_u32_e32 v0, 0x38000000, v0
                                        ; implicit-def: $vgpr2
                                        ; implicit-def: $vgpr59
.LBB4_7405:                             ;   in Loop: Header=BB4_7073 Depth=3
	s_andn2_saveexec_b64 s[36:37], s[36:37]
; %bb.7406:                             ;   in Loop: Header=BB4_7073 Depth=3
	v_cmp_lt_i16_e32 vcc, -1, v59
	v_mov_b32_e32 v0, 0xff800000
	v_cndmask_b32_e32 v0, v0, v47, vcc
	v_cmp_eq_u32_e32 vcc, 0, v2
	v_mov_b32_e32 v2, 0x7f800001
	v_cndmask_b32_e32 v0, v2, v0, vcc
; %bb.7407:                             ;   in Loop: Header=BB4_7073 Depth=3
	s_or_b64 exec, exec, s[36:37]
.LBB4_7408:                             ;   in Loop: Header=BB4_7073 Depth=3
	s_or_b64 exec, exec, s[34:35]
.LBB4_7409:                             ;   in Loop: Header=BB4_7073 Depth=3
	s_or_b64 exec, exec, s[28:29]
	v_mul_f32_e32 v0, v1, v0
	v_and_b32_e32 v1, 0x7f800000, v0
	v_mov_b32_e32 v2, v61
	v_cmp_ne_u64_e32 vcc, s[62:63], v[1:2]
	v_and_b32_e32 v60, 0x7fffff, v0
                                        ; implicit-def: $vgpr14
	s_and_saveexec_b64 s[28:29], vcc
	s_xor_b64 s[34:35], exec, s[28:29]
	s_cbranch_execz .LBB4_7427
; %bb.7410:                             ;   in Loop: Header=BB4_7073 Depth=3
	v_and_b32_e32 v1, 0x7fffffff, v0
	v_mov_b32_e32 v2, v61
	v_cmp_gt_u64_e32 vcc, s[78:79], v[1:2]
	v_and_b32_sdwa v15, v0, s81 dst_sel:DWORD dst_unused:UNUSED_PAD src0_sel:BYTE_3 src1_sel:DWORD
                                        ; implicit-def: $vgpr14
	s_and_saveexec_b64 s[28:29], vcc
	s_xor_b64 s[36:37], exec, s[28:29]
	s_cbranch_execz .LBB4_7424
; %bb.7411:                             ;   in Loop: Header=BB4_7073 Depth=3
	v_cmp_ne_u32_e32 vcc, 0, v0
	v_mov_b32_e32 v14, 0
	s_and_saveexec_b64 s[38:39], vcc
	s_cbranch_execz .LBB4_7423
; %bb.7412:                             ;   in Loop: Header=BB4_7073 Depth=3
	v_bfe_u32 v14, v0, 23, 8
	v_cmp_gt_u32_e64 s[28:29], s47, v14
	v_sub_u32_e32 v0, 0x71, v14
	v_cmp_eq_u32_e32 vcc, 0, v14
	v_cndmask_b32_e64 v0, 0, v0, s[28:29]
	v_mov_b32_e32 v2, 0x70
	v_cndmask_b32_e32 v23, v0, v2, vcc
	v_add_u32_e32 v2, 21, v23
	v_or_b32_e32 v1, 0x800000, v60
	v_lshlrev_b64 v[24:25], v2, -1
	v_cndmask_b32_e32 v0, v1, v60, vcc
	v_mov_b32_e32 v1, v61
	v_add_u32_e32 v2, 20, v23
	v_bfi_b32 v24, v24, 0, v0
	v_lshlrev_b64 v[50:51], v2, 1
	v_lshrrev_b64 v[0:1], v23, v[0:1]
	v_bfi_b32 v25, v25, 0, 0
	v_cmp_eq_u64_e64 s[28:29], v[24:25], v[50:51]
	v_mov_b32_e32 v2, v1
	v_mov_b32_e32 v1, v0
	s_and_saveexec_b64 s[48:49], s[28:29]
; %bb.7413:                             ;   in Loop: Header=BB4_7073 Depth=3
	v_bfe_u32 v1, v0, 21, 1
	v_add_co_u32_e64 v1, s[28:29], v0, v1
	v_add_co_u32_e64 v1, s[28:29], -1, v1
; %bb.7414:                             ;   in Loop: Header=BB4_7073 Depth=3
	s_or_b64 exec, exec, s[48:49]
	v_add_u32_e32 v2, 0xffffff81, v14
	v_mov_b32_e32 v14, 0xffffff82
	v_cndmask_b32_e32 v2, v2, v14, vcc
	v_lshrrev_b32_e32 v14, 23, v0
	v_add3_u32 v23, v23, v2, v14
	v_add_u32_e32 v14, 14, v23
	v_and_b32_e32 v1, 0x1fffff, v1
	v_add_u32_e32 v60, v1, v0
	v_cmp_ne_u32_e32 vcc, 0, v14
                                        ; implicit-def: $vgpr0_vgpr1
                                        ; implicit-def: $vgpr2
	s_and_saveexec_b64 s[28:29], vcc
	s_xor_b64 s[28:29], exec, s[28:29]
; %bb.7415:                             ;   in Loop: Header=BB4_7073 Depth=3
	v_cmp_lt_u64_e32 vcc, s[88:89], v[60:61]
	v_add_u32_e32 v0, 15, v23
	v_cndmask_b32_e32 v2, v14, v0, vcc
	v_cndmask_b32_e64 v0, 0, 1, vcc
	v_lshrrev_b64 v[0:1], v0, v[60:61]
; %bb.7416:                             ;   in Loop: Header=BB4_7073 Depth=3
	s_andn2_saveexec_b64 s[28:29], s[28:29]
; %bb.7417:                             ;   in Loop: Header=BB4_7073 Depth=3
	v_mov_b32_e32 v0, v60
	v_mov_b32_e32 v1, v61
	v_bfe_u32 v2, v60, 23, 1
; %bb.7418:                             ;   in Loop: Header=BB4_7073 Depth=3
	s_or_b64 exec, exec, s[28:29]
	v_lshrrev_b64 v[0:1], 21, v[0:1]
	v_cmp_gt_i32_e32 vcc, 32, v2
	v_cndmask_b32_e32 v1, 0, v1, vcc
	v_cndmask_b32_e32 v0, 3, v0, vcc
	v_cmp_ne_u64_e32 vcc, 0, v[0:1]
	v_cmp_ne_u32_e64 s[28:29], 0, v2
	s_or_b64 s[28:29], s[28:29], vcc
                                        ; implicit-def: $vgpr14
	s_and_saveexec_b64 vcc, s[28:29]
	s_xor_b64 s[28:29], exec, vcc
; %bb.7419:                             ;   in Loop: Header=BB4_7073 Depth=3
	v_min_i32_e32 v1, 31, v2
	v_lshl_or_b32 v1, v1, 2, v15
	v_and_or_b32 v14, v0, 3, v1
                                        ; implicit-def: $vgpr15
; %bb.7420:                             ;   in Loop: Header=BB4_7073 Depth=3
	s_andn2_saveexec_b64 s[28:29], s[28:29]
; %bb.7421:                             ;   in Loop: Header=BB4_7073 Depth=3
	v_mov_b32_e32 v14, v15
; %bb.7422:                             ;   in Loop: Header=BB4_7073 Depth=3
	s_or_b64 exec, exec, s[28:29]
.LBB4_7423:                             ;   in Loop: Header=BB4_7073 Depth=3
	s_or_b64 exec, exec, s[38:39]
                                        ; implicit-def: $vgpr15
.LBB4_7424:                             ;   in Loop: Header=BB4_7073 Depth=3
	s_andn2_saveexec_b64 s[28:29], s[36:37]
; %bb.7425:                             ;   in Loop: Header=BB4_7073 Depth=3
	v_or_b32_e32 v14, 0x7b, v15
; %bb.7426:                             ;   in Loop: Header=BB4_7073 Depth=3
	s_or_b64 exec, exec, s[28:29]
                                        ; implicit-def: $vgpr0
.LBB4_7427:                             ;   in Loop: Header=BB4_7073 Depth=3
	s_andn2_saveexec_b64 s[28:29], s[34:35]
	s_cbranch_execz .LBB4_7433
; %bb.7428:                             ;   in Loop: Header=BB4_7073 Depth=3
	v_cmp_ne_u64_e32 vcc, 0, v[60:61]
                                        ; implicit-def: $vgpr14
	s_and_saveexec_b64 s[34:35], vcc
	s_xor_b64 vcc, exec, s[34:35]
; %bb.7429:                             ;   in Loop: Header=BB4_7073 Depth=3
	v_or_b32_sdwa v14, v0, s44 dst_sel:DWORD dst_unused:UNUSED_PAD src0_sel:BYTE_3 src1_sel:DWORD
                                        ; implicit-def: $vgpr0
; %bb.7430:                             ;   in Loop: Header=BB4_7073 Depth=3
	s_andn2_saveexec_b64 s[34:35], vcc
; %bb.7431:                             ;   in Loop: Header=BB4_7073 Depth=3
	v_cmp_lt_i32_e32 vcc, -1, v0
	v_mov_b32_e32 v0, 0x7c
	v_cndmask_b32_e32 v14, -4, v0, vcc
; %bb.7432:                             ;   in Loop: Header=BB4_7073 Depth=3
	s_or_b64 exec, exec, s[34:35]
.LBB4_7433:                             ;   in Loop: Header=BB4_7073 Depth=3
	s_or_b64 exec, exec, s[28:29]
	v_cmp_ne_u16_e32 vcc, 0, v30
	v_mov_b32_e32 v0, 0
	v_mov_b32_e32 v1, 0
	s_and_saveexec_b64 s[28:29], vcc
	s_cbranch_execz .LBB4_7441
; %bb.7434:                             ;   in Loop: Header=BB4_7073 Depth=3
	v_cmp_ne_u16_e32 vcc, s70, v30
	v_bfrev_b32_e32 v1, 1
	s_and_saveexec_b64 s[34:35], vcc
	s_cbranch_execz .LBB4_7440
; %bb.7435:                             ;   in Loop: Header=BB4_7073 Depth=3
	v_and_b32_e32 v1, 0x7c, v30
	v_and_b32_e32 v2, 3, v30
	v_cmp_ne_u32_e32 vcc, s71, v1
                                        ; implicit-def: $vgpr1
	s_and_saveexec_b64 s[36:37], vcc
	s_xor_b64 s[36:37], exec, s[36:37]
	s_cbranch_execz .LBB4_7437
; %bb.7436:                             ;   in Loop: Header=BB4_7073 Depth=3
	v_ffbh_u32_e32 v15, v2
	v_min_u32_e32 v15, 32, v15
	v_and_b32_e32 v1, 0xff, v30
	v_mov_b32_e32 v31, v61
	v_subrev_u32_e32 v23, 29, v15
	v_bfe_u32 v1, v1, 2, 5
	v_lshlrev_b64 v[23:24], v23, v[30:31]
	v_sub_u32_e32 v15, 30, v15
	v_cmp_eq_u32_e32 vcc, 0, v1
	v_and_b32_e32 v23, 3, v23
	v_cndmask_b32_e32 v1, v1, v15, vcc
	v_and_b32_sdwa v15, sext(v30), s80 dst_sel:DWORD dst_unused:UNUSED_PAD src0_sel:WORD_0 src1_sel:DWORD
	v_cndmask_b32_e32 v2, v2, v23, vcc
	v_lshl_add_u32 v1, v1, 23, v15
	v_lshl_or_b32 v1, v2, 21, v1
	v_add_u32_e32 v1, 0x38000000, v1
                                        ; implicit-def: $vgpr2
                                        ; implicit-def: $vgpr30
.LBB4_7437:                             ;   in Loop: Header=BB4_7073 Depth=3
	s_andn2_saveexec_b64 s[36:37], s[36:37]
; %bb.7438:                             ;   in Loop: Header=BB4_7073 Depth=3
	v_cmp_lt_i16_e32 vcc, -1, v30
	v_mov_b32_e32 v1, 0xff800000
	v_cndmask_b32_e32 v1, v1, v47, vcc
	v_cmp_eq_u32_e32 vcc, 0, v2
	v_mov_b32_e32 v2, 0x7f800001
	v_cndmask_b32_e32 v1, v2, v1, vcc
; %bb.7439:                             ;   in Loop: Header=BB4_7073 Depth=3
	s_or_b64 exec, exec, s[36:37]
.LBB4_7440:                             ;   in Loop: Header=BB4_7073 Depth=3
	s_or_b64 exec, exec, s[34:35]
.LBB4_7441:                             ;   in Loop: Header=BB4_7073 Depth=3
	s_or_b64 exec, exec, s[28:29]
	v_cmp_ne_u16_e32 vcc, 0, v29
	s_and_saveexec_b64 s[28:29], vcc
	s_cbranch_execz .LBB4_7449
; %bb.7442:                             ;   in Loop: Header=BB4_7073 Depth=3
	v_cmp_ne_u16_e32 vcc, s70, v29
	v_bfrev_b32_e32 v0, 1
	s_and_saveexec_b64 s[34:35], vcc
	s_cbranch_execz .LBB4_7448
; %bb.7443:                             ;   in Loop: Header=BB4_7073 Depth=3
	v_and_b32_e32 v0, 0x7c, v29
	v_and_b32_e32 v2, 3, v29
	v_cmp_ne_u32_e32 vcc, s71, v0
                                        ; implicit-def: $vgpr0
	s_and_saveexec_b64 s[36:37], vcc
	s_xor_b64 s[36:37], exec, s[36:37]
	s_cbranch_execz .LBB4_7445
; %bb.7444:                             ;   in Loop: Header=BB4_7073 Depth=3
	v_ffbh_u32_e32 v15, v2
	v_min_u32_e32 v15, 32, v15
	v_and_b32_e32 v0, 0xff, v29
	v_mov_b32_e32 v30, v61
	v_subrev_u32_e32 v23, 29, v15
	v_bfe_u32 v0, v0, 2, 5
	v_lshlrev_b64 v[23:24], v23, v[29:30]
	v_sub_u32_e32 v15, 30, v15
	v_cmp_eq_u32_e32 vcc, 0, v0
	v_and_b32_e32 v23, 3, v23
	v_cndmask_b32_e32 v0, v0, v15, vcc
	v_and_b32_sdwa v15, sext(v29), s80 dst_sel:DWORD dst_unused:UNUSED_PAD src0_sel:WORD_0 src1_sel:DWORD
	v_cndmask_b32_e32 v2, v2, v23, vcc
	v_lshl_add_u32 v0, v0, 23, v15
	v_lshl_or_b32 v0, v2, 21, v0
	v_add_u32_e32 v0, 0x38000000, v0
                                        ; implicit-def: $vgpr2
                                        ; implicit-def: $vgpr29
.LBB4_7445:                             ;   in Loop: Header=BB4_7073 Depth=3
	s_andn2_saveexec_b64 s[36:37], s[36:37]
; %bb.7446:                             ;   in Loop: Header=BB4_7073 Depth=3
	v_cmp_lt_i16_e32 vcc, -1, v29
	v_mov_b32_e32 v0, 0xff800000
	v_cndmask_b32_e32 v0, v0, v47, vcc
	v_cmp_eq_u32_e32 vcc, 0, v2
	v_mov_b32_e32 v2, 0x7f800001
	v_cndmask_b32_e32 v0, v2, v0, vcc
; %bb.7447:                             ;   in Loop: Header=BB4_7073 Depth=3
	s_or_b64 exec, exec, s[36:37]
.LBB4_7448:                             ;   in Loop: Header=BB4_7073 Depth=3
	s_or_b64 exec, exec, s[34:35]
.LBB4_7449:                             ;   in Loop: Header=BB4_7073 Depth=3
	s_or_b64 exec, exec, s[28:29]
	v_mul_f32_e32 v0, v1, v0
	v_and_b32_e32 v1, 0x7f800000, v0
	v_mov_b32_e32 v2, v61
	v_cmp_ne_u64_e32 vcc, s[62:63], v[1:2]
	v_and_b32_e32 v60, 0x7fffff, v0
                                        ; implicit-def: $vgpr15
	s_and_saveexec_b64 s[28:29], vcc
	s_xor_b64 s[34:35], exec, s[28:29]
	s_cbranch_execz .LBB4_7467
; %bb.7450:                             ;   in Loop: Header=BB4_7073 Depth=3
	v_and_b32_e32 v1, 0x7fffffff, v0
	v_mov_b32_e32 v2, v61
	v_cmp_gt_u64_e32 vcc, s[78:79], v[1:2]
	v_and_b32_sdwa v23, v0, s81 dst_sel:DWORD dst_unused:UNUSED_PAD src0_sel:BYTE_3 src1_sel:DWORD
                                        ; implicit-def: $vgpr15
	s_and_saveexec_b64 s[28:29], vcc
	s_xor_b64 s[36:37], exec, s[28:29]
	s_cbranch_execz .LBB4_7464
; %bb.7451:                             ;   in Loop: Header=BB4_7073 Depth=3
	v_cmp_ne_u32_e32 vcc, 0, v0
	v_mov_b32_e32 v15, 0
	s_and_saveexec_b64 s[38:39], vcc
	s_cbranch_execz .LBB4_7463
; %bb.7452:                             ;   in Loop: Header=BB4_7073 Depth=3
	v_bfe_u32 v15, v0, 23, 8
	v_cmp_gt_u32_e64 s[28:29], s47, v15
	v_sub_u32_e32 v0, 0x71, v15
	v_cmp_eq_u32_e32 vcc, 0, v15
	v_cndmask_b32_e64 v0, 0, v0, s[28:29]
	v_mov_b32_e32 v2, 0x70
	v_cndmask_b32_e32 v24, v0, v2, vcc
	v_add_u32_e32 v2, 21, v24
	v_or_b32_e32 v1, 0x800000, v60
	v_lshlrev_b64 v[29:30], v2, -1
	v_cndmask_b32_e32 v0, v1, v60, vcc
	v_mov_b32_e32 v1, v61
	v_add_u32_e32 v2, 20, v24
	v_bfi_b32 v29, v29, 0, v0
	v_lshlrev_b64 v[50:51], v2, 1
	v_lshrrev_b64 v[0:1], v24, v[0:1]
	v_bfi_b32 v30, v30, 0, 0
	v_cmp_eq_u64_e64 s[28:29], v[29:30], v[50:51]
	v_mov_b32_e32 v2, v1
	v_mov_b32_e32 v1, v0
	s_and_saveexec_b64 s[48:49], s[28:29]
; %bb.7453:                             ;   in Loop: Header=BB4_7073 Depth=3
	v_bfe_u32 v1, v0, 21, 1
	v_add_co_u32_e64 v1, s[28:29], v0, v1
	v_add_co_u32_e64 v1, s[28:29], -1, v1
; %bb.7454:                             ;   in Loop: Header=BB4_7073 Depth=3
	s_or_b64 exec, exec, s[48:49]
	v_add_u32_e32 v2, 0xffffff81, v15
	v_mov_b32_e32 v15, 0xffffff82
	v_cndmask_b32_e32 v2, v2, v15, vcc
	v_lshrrev_b32_e32 v15, 23, v0
	v_add3_u32 v24, v24, v2, v15
	v_add_u32_e32 v15, 14, v24
	v_and_b32_e32 v1, 0x1fffff, v1
	v_add_u32_e32 v60, v1, v0
	v_cmp_ne_u32_e32 vcc, 0, v15
                                        ; implicit-def: $vgpr0_vgpr1
                                        ; implicit-def: $vgpr2
	s_and_saveexec_b64 s[28:29], vcc
	s_xor_b64 s[28:29], exec, s[28:29]
; %bb.7455:                             ;   in Loop: Header=BB4_7073 Depth=3
	v_cmp_lt_u64_e32 vcc, s[88:89], v[60:61]
	v_add_u32_e32 v0, 15, v24
	v_cndmask_b32_e32 v2, v15, v0, vcc
	v_cndmask_b32_e64 v0, 0, 1, vcc
	v_lshrrev_b64 v[0:1], v0, v[60:61]
; %bb.7456:                             ;   in Loop: Header=BB4_7073 Depth=3
	s_andn2_saveexec_b64 s[28:29], s[28:29]
; %bb.7457:                             ;   in Loop: Header=BB4_7073 Depth=3
	v_mov_b32_e32 v0, v60
	v_mov_b32_e32 v1, v61
	v_bfe_u32 v2, v60, 23, 1
; %bb.7458:                             ;   in Loop: Header=BB4_7073 Depth=3
	s_or_b64 exec, exec, s[28:29]
	v_lshrrev_b64 v[0:1], 21, v[0:1]
	v_cmp_gt_i32_e32 vcc, 32, v2
	v_cndmask_b32_e32 v1, 0, v1, vcc
	v_cndmask_b32_e32 v0, 3, v0, vcc
	v_cmp_ne_u64_e32 vcc, 0, v[0:1]
	v_cmp_ne_u32_e64 s[28:29], 0, v2
	s_or_b64 s[28:29], s[28:29], vcc
                                        ; implicit-def: $vgpr15
	s_and_saveexec_b64 vcc, s[28:29]
	s_xor_b64 s[28:29], exec, vcc
; %bb.7459:                             ;   in Loop: Header=BB4_7073 Depth=3
	v_min_i32_e32 v1, 31, v2
	v_lshl_or_b32 v1, v1, 2, v23
	v_and_or_b32 v15, v0, 3, v1
                                        ; implicit-def: $vgpr23
; %bb.7460:                             ;   in Loop: Header=BB4_7073 Depth=3
	s_andn2_saveexec_b64 s[28:29], s[28:29]
; %bb.7461:                             ;   in Loop: Header=BB4_7073 Depth=3
	v_mov_b32_e32 v15, v23
; %bb.7462:                             ;   in Loop: Header=BB4_7073 Depth=3
	s_or_b64 exec, exec, s[28:29]
.LBB4_7463:                             ;   in Loop: Header=BB4_7073 Depth=3
	s_or_b64 exec, exec, s[38:39]
                                        ; implicit-def: $vgpr23
.LBB4_7464:                             ;   in Loop: Header=BB4_7073 Depth=3
	s_andn2_saveexec_b64 s[28:29], s[36:37]
; %bb.7465:                             ;   in Loop: Header=BB4_7073 Depth=3
	v_or_b32_e32 v15, 0x7b, v23
; %bb.7466:                             ;   in Loop: Header=BB4_7073 Depth=3
	s_or_b64 exec, exec, s[28:29]
                                        ; implicit-def: $vgpr0
.LBB4_7467:                             ;   in Loop: Header=BB4_7073 Depth=3
	s_andn2_saveexec_b64 s[28:29], s[34:35]
	s_cbranch_execz .LBB4_7473
; %bb.7468:                             ;   in Loop: Header=BB4_7073 Depth=3
	v_cmp_ne_u64_e32 vcc, 0, v[60:61]
                                        ; implicit-def: $vgpr15
	s_and_saveexec_b64 s[34:35], vcc
	s_xor_b64 vcc, exec, s[34:35]
; %bb.7469:                             ;   in Loop: Header=BB4_7073 Depth=3
	v_or_b32_sdwa v15, v0, s44 dst_sel:DWORD dst_unused:UNUSED_PAD src0_sel:BYTE_3 src1_sel:DWORD
                                        ; implicit-def: $vgpr0
; %bb.7470:                             ;   in Loop: Header=BB4_7073 Depth=3
	s_andn2_saveexec_b64 s[34:35], vcc
; %bb.7471:                             ;   in Loop: Header=BB4_7073 Depth=3
	v_cmp_lt_i32_e32 vcc, -1, v0
	v_mov_b32_e32 v0, 0x7c
	v_cndmask_b32_e32 v15, -4, v0, vcc
; %bb.7472:                             ;   in Loop: Header=BB4_7073 Depth=3
	s_or_b64 exec, exec, s[34:35]
.LBB4_7473:                             ;   in Loop: Header=BB4_7073 Depth=3
	s_or_b64 exec, exec, s[28:29]
	v_cmp_ne_u16_e32 vcc, 0, v28
	v_mov_b32_e32 v0, 0
	v_mov_b32_e32 v1, 0
	s_and_saveexec_b64 s[28:29], vcc
	s_cbranch_execz .LBB4_7481
; %bb.7474:                             ;   in Loop: Header=BB4_7073 Depth=3
	v_cmp_ne_u16_e32 vcc, s70, v28
	v_bfrev_b32_e32 v1, 1
	s_and_saveexec_b64 s[34:35], vcc
	s_cbranch_execz .LBB4_7480
; %bb.7475:                             ;   in Loop: Header=BB4_7073 Depth=3
	v_and_b32_e32 v1, 0x7c, v28
	v_and_b32_e32 v2, 3, v28
	v_cmp_ne_u32_e32 vcc, s71, v1
                                        ; implicit-def: $vgpr1
	s_and_saveexec_b64 s[36:37], vcc
	s_xor_b64 s[36:37], exec, s[36:37]
	s_cbranch_execz .LBB4_7477
; %bb.7476:                             ;   in Loop: Header=BB4_7073 Depth=3
	v_ffbh_u32_e32 v23, v2
	v_min_u32_e32 v25, 32, v23
	v_mov_b32_e32 v29, v61
	v_subrev_u32_e32 v23, 29, v25
	v_and_b32_e32 v1, 0xff, v28
	v_lshlrev_b64 v[23:24], v23, v[28:29]
	v_bfe_u32 v1, v1, 2, 5
	v_sub_u32_e32 v24, 30, v25
	v_and_b32_e32 v23, 3, v23
	v_cmp_eq_u32_e32 vcc, 0, v1
	v_cndmask_b32_e32 v1, v1, v24, vcc
	v_cndmask_b32_e32 v2, v2, v23, vcc
	v_and_b32_sdwa v23, sext(v28), s80 dst_sel:DWORD dst_unused:UNUSED_PAD src0_sel:WORD_0 src1_sel:DWORD
	v_lshl_add_u32 v1, v1, 23, v23
	v_lshl_or_b32 v1, v2, 21, v1
	v_add_u32_e32 v1, 0x38000000, v1
                                        ; implicit-def: $vgpr2
                                        ; implicit-def: $vgpr28
.LBB4_7477:                             ;   in Loop: Header=BB4_7073 Depth=3
	s_andn2_saveexec_b64 s[36:37], s[36:37]
; %bb.7478:                             ;   in Loop: Header=BB4_7073 Depth=3
	v_cmp_lt_i16_e32 vcc, -1, v28
	v_mov_b32_e32 v1, 0xff800000
	v_cndmask_b32_e32 v1, v1, v47, vcc
	v_cmp_eq_u32_e32 vcc, 0, v2
	v_mov_b32_e32 v2, 0x7f800001
	v_cndmask_b32_e32 v1, v2, v1, vcc
; %bb.7479:                             ;   in Loop: Header=BB4_7073 Depth=3
	s_or_b64 exec, exec, s[36:37]
.LBB4_7480:                             ;   in Loop: Header=BB4_7073 Depth=3
	s_or_b64 exec, exec, s[34:35]
.LBB4_7481:                             ;   in Loop: Header=BB4_7073 Depth=3
	s_or_b64 exec, exec, s[28:29]
	v_cmp_ne_u16_e32 vcc, 0, v27
	s_and_saveexec_b64 s[28:29], vcc
	s_cbranch_execz .LBB4_7489
; %bb.7482:                             ;   in Loop: Header=BB4_7073 Depth=3
	v_cmp_ne_u16_e32 vcc, s70, v27
	v_bfrev_b32_e32 v0, 1
	s_and_saveexec_b64 s[34:35], vcc
	s_cbranch_execz .LBB4_7488
; %bb.7483:                             ;   in Loop: Header=BB4_7073 Depth=3
	v_and_b32_e32 v0, 0x7c, v27
	v_and_b32_e32 v2, 3, v27
	v_cmp_ne_u32_e32 vcc, s71, v0
                                        ; implicit-def: $vgpr0
	s_and_saveexec_b64 s[36:37], vcc
	s_xor_b64 s[36:37], exec, s[36:37]
	s_cbranch_execz .LBB4_7485
; %bb.7484:                             ;   in Loop: Header=BB4_7073 Depth=3
	v_ffbh_u32_e32 v23, v2
	v_min_u32_e32 v25, 32, v23
	v_mov_b32_e32 v28, v61
	v_subrev_u32_e32 v23, 29, v25
	v_and_b32_e32 v0, 0xff, v27
	v_lshlrev_b64 v[23:24], v23, v[27:28]
	v_bfe_u32 v0, v0, 2, 5
	v_sub_u32_e32 v24, 30, v25
	v_and_b32_e32 v23, 3, v23
	v_cmp_eq_u32_e32 vcc, 0, v0
	v_cndmask_b32_e32 v0, v0, v24, vcc
	v_cndmask_b32_e32 v2, v2, v23, vcc
	v_and_b32_sdwa v23, sext(v27), s80 dst_sel:DWORD dst_unused:UNUSED_PAD src0_sel:WORD_0 src1_sel:DWORD
	v_lshl_add_u32 v0, v0, 23, v23
	v_lshl_or_b32 v0, v2, 21, v0
	v_add_u32_e32 v0, 0x38000000, v0
                                        ; implicit-def: $vgpr2
                                        ; implicit-def: $vgpr27
.LBB4_7485:                             ;   in Loop: Header=BB4_7073 Depth=3
	s_andn2_saveexec_b64 s[36:37], s[36:37]
; %bb.7486:                             ;   in Loop: Header=BB4_7073 Depth=3
	v_cmp_lt_i16_e32 vcc, -1, v27
	v_mov_b32_e32 v0, 0xff800000
	v_cndmask_b32_e32 v0, v0, v47, vcc
	v_cmp_eq_u32_e32 vcc, 0, v2
	v_mov_b32_e32 v2, 0x7f800001
	v_cndmask_b32_e32 v0, v2, v0, vcc
; %bb.7487:                             ;   in Loop: Header=BB4_7073 Depth=3
	s_or_b64 exec, exec, s[36:37]
.LBB4_7488:                             ;   in Loop: Header=BB4_7073 Depth=3
	s_or_b64 exec, exec, s[34:35]
.LBB4_7489:                             ;   in Loop: Header=BB4_7073 Depth=3
	s_or_b64 exec, exec, s[28:29]
	v_mul_f32_e32 v0, v1, v0
	v_and_b32_e32 v1, 0x7f800000, v0
	v_mov_b32_e32 v2, v61
	v_cmp_ne_u64_e32 vcc, s[62:63], v[1:2]
	v_and_b32_e32 v60, 0x7fffff, v0
                                        ; implicit-def: $vgpr24
	s_and_saveexec_b64 s[28:29], vcc
	s_xor_b64 s[34:35], exec, s[28:29]
	s_cbranch_execz .LBB4_7507
; %bb.7490:                             ;   in Loop: Header=BB4_7073 Depth=3
	v_and_b32_e32 v1, 0x7fffffff, v0
	v_mov_b32_e32 v2, v61
	v_cmp_gt_u64_e32 vcc, s[78:79], v[1:2]
	v_and_b32_sdwa v23, v0, s81 dst_sel:DWORD dst_unused:UNUSED_PAD src0_sel:BYTE_3 src1_sel:DWORD
                                        ; implicit-def: $vgpr24
	s_and_saveexec_b64 s[28:29], vcc
	s_xor_b64 s[36:37], exec, s[28:29]
	s_cbranch_execz .LBB4_7504
; %bb.7491:                             ;   in Loop: Header=BB4_7073 Depth=3
	v_cmp_ne_u32_e32 vcc, 0, v0
	v_mov_b32_e32 v24, 0
	s_and_saveexec_b64 s[38:39], vcc
	s_cbranch_execz .LBB4_7503
; %bb.7492:                             ;   in Loop: Header=BB4_7073 Depth=3
	v_bfe_u32 v24, v0, 23, 8
	v_cmp_gt_u32_e64 s[28:29], s47, v24
	v_sub_u32_e32 v0, 0x71, v24
	v_cmp_eq_u32_e32 vcc, 0, v24
	v_cndmask_b32_e64 v0, 0, v0, s[28:29]
	v_mov_b32_e32 v2, 0x70
	v_cndmask_b32_e32 v25, v0, v2, vcc
	v_add_u32_e32 v2, 21, v25
	v_or_b32_e32 v1, 0x800000, v60
	v_lshlrev_b64 v[27:28], v2, -1
	v_cndmask_b32_e32 v0, v1, v60, vcc
	v_mov_b32_e32 v1, v61
	v_add_u32_e32 v2, 20, v25
	v_bfi_b32 v27, v27, 0, v0
	v_lshlrev_b64 v[29:30], v2, 1
	v_lshrrev_b64 v[0:1], v25, v[0:1]
	v_bfi_b32 v28, v28, 0, 0
	v_cmp_eq_u64_e64 s[28:29], v[27:28], v[29:30]
	v_mov_b32_e32 v2, v1
	v_mov_b32_e32 v1, v0
	s_and_saveexec_b64 s[48:49], s[28:29]
; %bb.7493:                             ;   in Loop: Header=BB4_7073 Depth=3
	v_bfe_u32 v1, v0, 21, 1
	v_add_co_u32_e64 v1, s[28:29], v0, v1
	v_add_co_u32_e64 v1, s[28:29], -1, v1
; %bb.7494:                             ;   in Loop: Header=BB4_7073 Depth=3
	s_or_b64 exec, exec, s[48:49]
	v_add_u32_e32 v2, 0xffffff81, v24
	v_mov_b32_e32 v24, 0xffffff82
	v_cndmask_b32_e32 v2, v2, v24, vcc
	v_lshrrev_b32_e32 v24, 23, v0
	v_add3_u32 v25, v25, v2, v24
	v_add_u32_e32 v24, 14, v25
	v_and_b32_e32 v1, 0x1fffff, v1
	v_add_u32_e32 v60, v1, v0
	v_cmp_ne_u32_e32 vcc, 0, v24
                                        ; implicit-def: $vgpr0_vgpr1
                                        ; implicit-def: $vgpr2
	s_and_saveexec_b64 s[28:29], vcc
	s_xor_b64 s[28:29], exec, s[28:29]
; %bb.7495:                             ;   in Loop: Header=BB4_7073 Depth=3
	v_cmp_lt_u64_e32 vcc, s[88:89], v[60:61]
	v_add_u32_e32 v0, 15, v25
	v_cndmask_b32_e32 v2, v24, v0, vcc
	v_cndmask_b32_e64 v0, 0, 1, vcc
	v_lshrrev_b64 v[0:1], v0, v[60:61]
; %bb.7496:                             ;   in Loop: Header=BB4_7073 Depth=3
	s_andn2_saveexec_b64 s[28:29], s[28:29]
; %bb.7497:                             ;   in Loop: Header=BB4_7073 Depth=3
	v_mov_b32_e32 v0, v60
	v_mov_b32_e32 v1, v61
	v_bfe_u32 v2, v60, 23, 1
; %bb.7498:                             ;   in Loop: Header=BB4_7073 Depth=3
	s_or_b64 exec, exec, s[28:29]
	v_lshrrev_b64 v[0:1], 21, v[0:1]
	v_cmp_gt_i32_e32 vcc, 32, v2
	v_cndmask_b32_e32 v1, 0, v1, vcc
	v_cndmask_b32_e32 v0, 3, v0, vcc
	v_cmp_ne_u64_e32 vcc, 0, v[0:1]
	v_cmp_ne_u32_e64 s[28:29], 0, v2
	s_or_b64 s[28:29], s[28:29], vcc
                                        ; implicit-def: $vgpr24
	s_and_saveexec_b64 vcc, s[28:29]
	s_xor_b64 s[28:29], exec, vcc
; %bb.7499:                             ;   in Loop: Header=BB4_7073 Depth=3
	v_min_i32_e32 v1, 31, v2
	v_lshl_or_b32 v1, v1, 2, v23
	v_and_or_b32 v24, v0, 3, v1
                                        ; implicit-def: $vgpr23
; %bb.7500:                             ;   in Loop: Header=BB4_7073 Depth=3
	s_andn2_saveexec_b64 s[28:29], s[28:29]
; %bb.7501:                             ;   in Loop: Header=BB4_7073 Depth=3
	v_mov_b32_e32 v24, v23
; %bb.7502:                             ;   in Loop: Header=BB4_7073 Depth=3
	s_or_b64 exec, exec, s[28:29]
.LBB4_7503:                             ;   in Loop: Header=BB4_7073 Depth=3
	s_or_b64 exec, exec, s[38:39]
                                        ; implicit-def: $vgpr23
.LBB4_7504:                             ;   in Loop: Header=BB4_7073 Depth=3
	s_andn2_saveexec_b64 s[28:29], s[36:37]
; %bb.7505:                             ;   in Loop: Header=BB4_7073 Depth=3
	v_or_b32_e32 v24, 0x7b, v23
; %bb.7506:                             ;   in Loop: Header=BB4_7073 Depth=3
	s_or_b64 exec, exec, s[28:29]
                                        ; implicit-def: $vgpr0
.LBB4_7507:                             ;   in Loop: Header=BB4_7073 Depth=3
	s_andn2_saveexec_b64 s[28:29], s[34:35]
	s_cbranch_execz .LBB4_7513
; %bb.7508:                             ;   in Loop: Header=BB4_7073 Depth=3
	v_cmp_ne_u64_e32 vcc, 0, v[60:61]
                                        ; implicit-def: $vgpr24
	s_and_saveexec_b64 s[34:35], vcc
	s_xor_b64 vcc, exec, s[34:35]
; %bb.7509:                             ;   in Loop: Header=BB4_7073 Depth=3
	v_or_b32_sdwa v24, v0, s44 dst_sel:DWORD dst_unused:UNUSED_PAD src0_sel:BYTE_3 src1_sel:DWORD
                                        ; implicit-def: $vgpr0
; %bb.7510:                             ;   in Loop: Header=BB4_7073 Depth=3
	s_andn2_saveexec_b64 s[34:35], vcc
; %bb.7511:                             ;   in Loop: Header=BB4_7073 Depth=3
	v_cmp_lt_i32_e32 vcc, -1, v0
	v_mov_b32_e32 v0, 0x7c
	v_cndmask_b32_e32 v24, -4, v0, vcc
; %bb.7512:                             ;   in Loop: Header=BB4_7073 Depth=3
	s_or_b64 exec, exec, s[34:35]
.LBB4_7513:                             ;   in Loop: Header=BB4_7073 Depth=3
	s_or_b64 exec, exec, s[28:29]
	v_cmp_ne_u16_e32 vcc, 0, v26
	v_mov_b32_e32 v0, 0
	v_mov_b32_e32 v1, 0
	s_and_saveexec_b64 s[28:29], vcc
	s_cbranch_execz .LBB4_7521
; %bb.7514:                             ;   in Loop: Header=BB4_7073 Depth=3
	v_cmp_ne_u16_e32 vcc, s70, v26
	v_bfrev_b32_e32 v1, 1
	s_and_saveexec_b64 s[34:35], vcc
	s_cbranch_execz .LBB4_7520
; %bb.7515:                             ;   in Loop: Header=BB4_7073 Depth=3
	v_and_b32_e32 v1, 0x7c, v26
	v_and_b32_e32 v2, 3, v26
	v_cmp_ne_u32_e32 vcc, s71, v1
                                        ; implicit-def: $vgpr1
	s_and_saveexec_b64 s[36:37], vcc
	s_xor_b64 s[36:37], exec, s[36:37]
	s_cbranch_execz .LBB4_7517
; %bb.7516:                             ;   in Loop: Header=BB4_7073 Depth=3
	v_ffbh_u32_e32 v23, v2
	v_min_u32_e32 v23, 32, v23
	v_and_b32_e32 v1, 0xff, v26
	v_mov_b32_e32 v27, v61
	v_subrev_u32_e32 v25, 29, v23
	v_bfe_u32 v1, v1, 2, 5
	v_lshlrev_b64 v[27:28], v25, v[26:27]
	v_sub_u32_e32 v23, 30, v23
	v_cmp_eq_u32_e32 vcc, 0, v1
	v_and_b32_e32 v25, 3, v27
	v_cndmask_b32_e32 v1, v1, v23, vcc
	v_and_b32_sdwa v23, sext(v26), s80 dst_sel:DWORD dst_unused:UNUSED_PAD src0_sel:WORD_0 src1_sel:DWORD
	v_cndmask_b32_e32 v2, v2, v25, vcc
	v_lshl_add_u32 v1, v1, 23, v23
	v_lshl_or_b32 v1, v2, 21, v1
	v_add_u32_e32 v1, 0x38000000, v1
                                        ; implicit-def: $vgpr2
                                        ; implicit-def: $vgpr26
.LBB4_7517:                             ;   in Loop: Header=BB4_7073 Depth=3
	s_andn2_saveexec_b64 s[36:37], s[36:37]
; %bb.7518:                             ;   in Loop: Header=BB4_7073 Depth=3
	v_cmp_lt_i16_e32 vcc, -1, v26
	v_mov_b32_e32 v1, 0xff800000
	v_cndmask_b32_e32 v1, v1, v47, vcc
	v_cmp_eq_u32_e32 vcc, 0, v2
	v_mov_b32_e32 v2, 0x7f800001
	v_cndmask_b32_e32 v1, v2, v1, vcc
; %bb.7519:                             ;   in Loop: Header=BB4_7073 Depth=3
	s_or_b64 exec, exec, s[36:37]
.LBB4_7520:                             ;   in Loop: Header=BB4_7073 Depth=3
	s_or_b64 exec, exec, s[34:35]
.LBB4_7521:                             ;   in Loop: Header=BB4_7073 Depth=3
	s_or_b64 exec, exec, s[28:29]
	v_cmp_ne_u16_e32 vcc, 0, v22
	s_and_saveexec_b64 s[28:29], vcc
	s_cbranch_execz .LBB4_7529
; %bb.7522:                             ;   in Loop: Header=BB4_7073 Depth=3
	v_cmp_ne_u16_e32 vcc, s70, v22
	v_bfrev_b32_e32 v0, 1
	s_and_saveexec_b64 s[34:35], vcc
	s_cbranch_execz .LBB4_7528
; %bb.7523:                             ;   in Loop: Header=BB4_7073 Depth=3
	v_and_b32_e32 v0, 0x7c, v22
	v_and_b32_e32 v2, 3, v22
	v_cmp_ne_u32_e32 vcc, s71, v0
                                        ; implicit-def: $vgpr0
	s_and_saveexec_b64 s[36:37], vcc
	s_xor_b64 s[36:37], exec, s[36:37]
	s_cbranch_execz .LBB4_7525
; %bb.7524:                             ;   in Loop: Header=BB4_7073 Depth=3
	v_ffbh_u32_e32 v25, v2
	v_min_u32_e32 v27, 32, v25
	v_and_b32_e32 v0, 0xff, v22
	v_mov_b32_e32 v23, v61
	v_subrev_u32_e32 v25, 29, v27
	v_bfe_u32 v0, v0, 2, 5
	v_lshlrev_b64 v[25:26], v25, v[22:23]
	v_sub_u32_e32 v23, 30, v27
	v_cmp_eq_u32_e32 vcc, 0, v0
	v_and_b32_e32 v25, 3, v25
	v_cndmask_b32_e32 v0, v0, v23, vcc
	v_and_b32_sdwa v22, sext(v22), s80 dst_sel:DWORD dst_unused:UNUSED_PAD src0_sel:WORD_0 src1_sel:DWORD
	v_cndmask_b32_e32 v2, v2, v25, vcc
	v_lshl_add_u32 v0, v0, 23, v22
	v_lshl_or_b32 v0, v2, 21, v0
	v_add_u32_e32 v0, 0x38000000, v0
                                        ; implicit-def: $vgpr2
                                        ; implicit-def: $vgpr22
.LBB4_7525:                             ;   in Loop: Header=BB4_7073 Depth=3
	s_andn2_saveexec_b64 s[36:37], s[36:37]
; %bb.7526:                             ;   in Loop: Header=BB4_7073 Depth=3
	v_cmp_lt_i16_e32 vcc, -1, v22
	v_mov_b32_e32 v0, 0xff800000
	v_cndmask_b32_e32 v0, v0, v47, vcc
	v_cmp_eq_u32_e32 vcc, 0, v2
	v_mov_b32_e32 v2, 0x7f800001
	v_cndmask_b32_e32 v0, v2, v0, vcc
; %bb.7527:                             ;   in Loop: Header=BB4_7073 Depth=3
	s_or_b64 exec, exec, s[36:37]
.LBB4_7528:                             ;   in Loop: Header=BB4_7073 Depth=3
	s_or_b64 exec, exec, s[34:35]
.LBB4_7529:                             ;   in Loop: Header=BB4_7073 Depth=3
	s_or_b64 exec, exec, s[28:29]
	v_mul_f32_e32 v0, v1, v0
	v_and_b32_e32 v1, 0x7f800000, v0
	v_mov_b32_e32 v2, v61
	v_cmp_ne_u64_e32 vcc, s[62:63], v[1:2]
	v_and_b32_e32 v60, 0x7fffff, v0
                                        ; implicit-def: $vgpr23
	s_and_saveexec_b64 s[28:29], vcc
	s_xor_b64 s[34:35], exec, s[28:29]
	s_cbranch_execz .LBB4_7547
; %bb.7530:                             ;   in Loop: Header=BB4_7073 Depth=3
	v_and_b32_e32 v1, 0x7fffffff, v0
	v_mov_b32_e32 v2, v61
	v_cmp_gt_u64_e32 vcc, s[78:79], v[1:2]
	v_and_b32_sdwa v22, v0, s81 dst_sel:DWORD dst_unused:UNUSED_PAD src0_sel:BYTE_3 src1_sel:DWORD
                                        ; implicit-def: $vgpr23
	s_and_saveexec_b64 s[28:29], vcc
	s_xor_b64 s[36:37], exec, s[28:29]
	s_cbranch_execz .LBB4_7544
; %bb.7531:                             ;   in Loop: Header=BB4_7073 Depth=3
	v_cmp_ne_u32_e32 vcc, 0, v0
	v_mov_b32_e32 v23, 0
	s_and_saveexec_b64 s[38:39], vcc
	s_cbranch_execz .LBB4_7543
; %bb.7532:                             ;   in Loop: Header=BB4_7073 Depth=3
	v_bfe_u32 v23, v0, 23, 8
	v_cmp_gt_u32_e64 s[28:29], s47, v23
	v_sub_u32_e32 v0, 0x71, v23
	v_cmp_eq_u32_e32 vcc, 0, v23
	v_cndmask_b32_e64 v0, 0, v0, s[28:29]
	v_mov_b32_e32 v2, 0x70
	v_cndmask_b32_e32 v25, v0, v2, vcc
	v_add_u32_e32 v2, 21, v25
	v_or_b32_e32 v1, 0x800000, v60
	v_lshlrev_b64 v[26:27], v2, -1
	v_cndmask_b32_e32 v0, v1, v60, vcc
	v_mov_b32_e32 v1, v61
	v_add_u32_e32 v2, 20, v25
	v_bfi_b32 v26, v26, 0, v0
	v_lshlrev_b64 v[28:29], v2, 1
	v_lshrrev_b64 v[0:1], v25, v[0:1]
	v_bfi_b32 v27, v27, 0, 0
	v_cmp_eq_u64_e64 s[28:29], v[26:27], v[28:29]
	v_mov_b32_e32 v2, v1
	v_mov_b32_e32 v1, v0
	s_and_saveexec_b64 s[48:49], s[28:29]
; %bb.7533:                             ;   in Loop: Header=BB4_7073 Depth=3
	v_bfe_u32 v1, v0, 21, 1
	v_add_co_u32_e64 v1, s[28:29], v0, v1
	v_add_co_u32_e64 v1, s[28:29], -1, v1
; %bb.7534:                             ;   in Loop: Header=BB4_7073 Depth=3
	s_or_b64 exec, exec, s[48:49]
	v_add_u32_e32 v2, 0xffffff81, v23
	v_mov_b32_e32 v23, 0xffffff82
	v_cndmask_b32_e32 v2, v2, v23, vcc
	v_lshrrev_b32_e32 v23, 23, v0
	v_add3_u32 v25, v25, v2, v23
	v_add_u32_e32 v23, 14, v25
	v_and_b32_e32 v1, 0x1fffff, v1
	v_add_u32_e32 v60, v1, v0
	v_cmp_ne_u32_e32 vcc, 0, v23
                                        ; implicit-def: $vgpr0_vgpr1
                                        ; implicit-def: $vgpr2
	s_and_saveexec_b64 s[28:29], vcc
	s_xor_b64 s[28:29], exec, s[28:29]
; %bb.7535:                             ;   in Loop: Header=BB4_7073 Depth=3
	v_cmp_lt_u64_e32 vcc, s[88:89], v[60:61]
	v_add_u32_e32 v0, 15, v25
	v_cndmask_b32_e32 v2, v23, v0, vcc
	v_cndmask_b32_e64 v0, 0, 1, vcc
	v_lshrrev_b64 v[0:1], v0, v[60:61]
; %bb.7536:                             ;   in Loop: Header=BB4_7073 Depth=3
	s_andn2_saveexec_b64 s[28:29], s[28:29]
; %bb.7537:                             ;   in Loop: Header=BB4_7073 Depth=3
	v_mov_b32_e32 v0, v60
	v_mov_b32_e32 v1, v61
	v_bfe_u32 v2, v60, 23, 1
; %bb.7538:                             ;   in Loop: Header=BB4_7073 Depth=3
	s_or_b64 exec, exec, s[28:29]
	v_lshrrev_b64 v[0:1], 21, v[0:1]
	v_cmp_gt_i32_e32 vcc, 32, v2
	v_cndmask_b32_e32 v1, 0, v1, vcc
	v_cndmask_b32_e32 v0, 3, v0, vcc
	v_cmp_ne_u64_e32 vcc, 0, v[0:1]
	v_cmp_ne_u32_e64 s[28:29], 0, v2
	s_or_b64 s[28:29], s[28:29], vcc
                                        ; implicit-def: $vgpr23
	s_and_saveexec_b64 vcc, s[28:29]
	s_xor_b64 s[28:29], exec, vcc
; %bb.7539:                             ;   in Loop: Header=BB4_7073 Depth=3
	v_min_i32_e32 v1, 31, v2
	v_lshl_or_b32 v1, v1, 2, v22
	v_and_or_b32 v23, v0, 3, v1
                                        ; implicit-def: $vgpr22
; %bb.7540:                             ;   in Loop: Header=BB4_7073 Depth=3
	s_andn2_saveexec_b64 s[28:29], s[28:29]
; %bb.7541:                             ;   in Loop: Header=BB4_7073 Depth=3
	v_mov_b32_e32 v23, v22
; %bb.7542:                             ;   in Loop: Header=BB4_7073 Depth=3
	s_or_b64 exec, exec, s[28:29]
.LBB4_7543:                             ;   in Loop: Header=BB4_7073 Depth=3
	s_or_b64 exec, exec, s[38:39]
                                        ; implicit-def: $vgpr22
.LBB4_7544:                             ;   in Loop: Header=BB4_7073 Depth=3
	s_andn2_saveexec_b64 s[28:29], s[36:37]
; %bb.7545:                             ;   in Loop: Header=BB4_7073 Depth=3
	v_or_b32_e32 v23, 0x7b, v22
; %bb.7546:                             ;   in Loop: Header=BB4_7073 Depth=3
	s_or_b64 exec, exec, s[28:29]
                                        ; implicit-def: $vgpr0
.LBB4_7547:                             ;   in Loop: Header=BB4_7073 Depth=3
	s_andn2_saveexec_b64 s[28:29], s[34:35]
	s_cbranch_execz .LBB4_7553
; %bb.7548:                             ;   in Loop: Header=BB4_7073 Depth=3
	v_cmp_ne_u64_e32 vcc, 0, v[60:61]
                                        ; implicit-def: $vgpr23
	s_and_saveexec_b64 s[34:35], vcc
	s_xor_b64 vcc, exec, s[34:35]
; %bb.7549:                             ;   in Loop: Header=BB4_7073 Depth=3
	v_or_b32_sdwa v23, v0, s44 dst_sel:DWORD dst_unused:UNUSED_PAD src0_sel:BYTE_3 src1_sel:DWORD
                                        ; implicit-def: $vgpr0
; %bb.7550:                             ;   in Loop: Header=BB4_7073 Depth=3
	s_andn2_saveexec_b64 s[34:35], vcc
; %bb.7551:                             ;   in Loop: Header=BB4_7073 Depth=3
	v_cmp_lt_i32_e32 vcc, -1, v0
	v_mov_b32_e32 v0, 0x7c
	v_cndmask_b32_e32 v23, -4, v0, vcc
; %bb.7552:                             ;   in Loop: Header=BB4_7073 Depth=3
	s_or_b64 exec, exec, s[34:35]
.LBB4_7553:                             ;   in Loop: Header=BB4_7073 Depth=3
	s_or_b64 exec, exec, s[28:29]
	v_cmp_ne_u16_e32 vcc, 0, v21
	v_mov_b32_e32 v0, 0
	v_mov_b32_e32 v1, 0
	s_and_saveexec_b64 s[28:29], vcc
	s_cbranch_execz .LBB4_7561
; %bb.7554:                             ;   in Loop: Header=BB4_7073 Depth=3
	v_cmp_ne_u16_e32 vcc, s70, v21
	v_bfrev_b32_e32 v1, 1
	s_and_saveexec_b64 s[34:35], vcc
	s_cbranch_execz .LBB4_7560
; %bb.7555:                             ;   in Loop: Header=BB4_7073 Depth=3
	v_and_b32_e32 v1, 0x7c, v21
	v_and_b32_e32 v2, 3, v21
	v_cmp_ne_u32_e32 vcc, s71, v1
                                        ; implicit-def: $vgpr1
	s_and_saveexec_b64 s[36:37], vcc
	s_xor_b64 s[36:37], exec, s[36:37]
	s_cbranch_execz .LBB4_7557
; %bb.7556:                             ;   in Loop: Header=BB4_7073 Depth=3
	v_ffbh_u32_e32 v25, v2
	v_min_u32_e32 v27, 32, v25
	v_and_b32_e32 v1, 0xff, v21
	v_mov_b32_e32 v22, v61
	v_subrev_u32_e32 v25, 29, v27
	v_bfe_u32 v1, v1, 2, 5
	v_lshlrev_b64 v[25:26], v25, v[21:22]
	v_sub_u32_e32 v22, 30, v27
	v_cmp_eq_u32_e32 vcc, 0, v1
	v_and_b32_e32 v25, 3, v25
	v_cndmask_b32_e32 v1, v1, v22, vcc
	v_and_b32_sdwa v21, sext(v21), s80 dst_sel:DWORD dst_unused:UNUSED_PAD src0_sel:WORD_0 src1_sel:DWORD
	v_cndmask_b32_e32 v2, v2, v25, vcc
	v_lshl_add_u32 v1, v1, 23, v21
	v_lshl_or_b32 v1, v2, 21, v1
	v_add_u32_e32 v1, 0x38000000, v1
                                        ; implicit-def: $vgpr2
                                        ; implicit-def: $vgpr21
.LBB4_7557:                             ;   in Loop: Header=BB4_7073 Depth=3
	s_andn2_saveexec_b64 s[36:37], s[36:37]
; %bb.7558:                             ;   in Loop: Header=BB4_7073 Depth=3
	v_cmp_lt_i16_e32 vcc, -1, v21
	v_mov_b32_e32 v1, 0xff800000
	v_cndmask_b32_e32 v1, v1, v47, vcc
	v_cmp_eq_u32_e32 vcc, 0, v2
	v_mov_b32_e32 v2, 0x7f800001
	v_cndmask_b32_e32 v1, v2, v1, vcc
; %bb.7559:                             ;   in Loop: Header=BB4_7073 Depth=3
	s_or_b64 exec, exec, s[36:37]
.LBB4_7560:                             ;   in Loop: Header=BB4_7073 Depth=3
	s_or_b64 exec, exec, s[34:35]
.LBB4_7561:                             ;   in Loop: Header=BB4_7073 Depth=3
	s_or_b64 exec, exec, s[28:29]
	v_cmp_ne_u16_e32 vcc, 0, v20
	s_and_saveexec_b64 s[28:29], vcc
	s_cbranch_execz .LBB4_7569
; %bb.7562:                             ;   in Loop: Header=BB4_7073 Depth=3
	v_cmp_ne_u16_e32 vcc, s70, v20
	v_bfrev_b32_e32 v0, 1
	s_and_saveexec_b64 s[34:35], vcc
	s_cbranch_execz .LBB4_7568
; %bb.7563:                             ;   in Loop: Header=BB4_7073 Depth=3
	v_and_b32_e32 v0, 0x7c, v20
	v_and_b32_e32 v2, 3, v20
	v_cmp_ne_u32_e32 vcc, s71, v0
                                        ; implicit-def: $vgpr0
	s_and_saveexec_b64 s[36:37], vcc
	s_xor_b64 s[36:37], exec, s[36:37]
	s_cbranch_execz .LBB4_7565
; %bb.7564:                             ;   in Loop: Header=BB4_7073 Depth=3
	v_ffbh_u32_e32 v22, v2
	v_min_u32_e32 v25, 32, v22
	v_and_b32_e32 v0, 0xff, v20
	v_mov_b32_e32 v21, v61
	v_subrev_u32_e32 v22, 29, v25
	v_bfe_u32 v0, v0, 2, 5
	v_lshlrev_b64 v[21:22], v22, v[20:21]
	v_sub_u32_e32 v22, 30, v25
	v_cmp_eq_u32_e32 vcc, 0, v0
	v_and_b32_e32 v21, 3, v21
	v_cndmask_b32_e32 v0, v0, v22, vcc
	v_and_b32_sdwa v20, sext(v20), s80 dst_sel:DWORD dst_unused:UNUSED_PAD src0_sel:WORD_0 src1_sel:DWORD
	v_cndmask_b32_e32 v2, v2, v21, vcc
	v_lshl_add_u32 v0, v0, 23, v20
	v_lshl_or_b32 v0, v2, 21, v0
	v_add_u32_e32 v0, 0x38000000, v0
                                        ; implicit-def: $vgpr2
                                        ; implicit-def: $vgpr20
.LBB4_7565:                             ;   in Loop: Header=BB4_7073 Depth=3
	s_andn2_saveexec_b64 s[36:37], s[36:37]
; %bb.7566:                             ;   in Loop: Header=BB4_7073 Depth=3
	v_cmp_lt_i16_e32 vcc, -1, v20
	v_mov_b32_e32 v0, 0xff800000
	v_cndmask_b32_e32 v0, v0, v47, vcc
	v_cmp_eq_u32_e32 vcc, 0, v2
	v_mov_b32_e32 v2, 0x7f800001
	v_cndmask_b32_e32 v0, v2, v0, vcc
; %bb.7567:                             ;   in Loop: Header=BB4_7073 Depth=3
	s_or_b64 exec, exec, s[36:37]
.LBB4_7568:                             ;   in Loop: Header=BB4_7073 Depth=3
	s_or_b64 exec, exec, s[34:35]
.LBB4_7569:                             ;   in Loop: Header=BB4_7073 Depth=3
	s_or_b64 exec, exec, s[28:29]
	v_mul_f32_e32 v0, v1, v0
	v_and_b32_e32 v1, 0x7f800000, v0
	v_mov_b32_e32 v2, v61
	v_cmp_ne_u64_e32 vcc, s[62:63], v[1:2]
	v_and_b32_e32 v60, 0x7fffff, v0
                                        ; implicit-def: $vgpr21
	s_and_saveexec_b64 s[28:29], vcc
	s_xor_b64 s[34:35], exec, s[28:29]
	s_cbranch_execz .LBB4_7587
; %bb.7570:                             ;   in Loop: Header=BB4_7073 Depth=3
	v_and_b32_e32 v1, 0x7fffffff, v0
	v_mov_b32_e32 v2, v61
	v_cmp_gt_u64_e32 vcc, s[78:79], v[1:2]
	v_and_b32_sdwa v20, v0, s81 dst_sel:DWORD dst_unused:UNUSED_PAD src0_sel:BYTE_3 src1_sel:DWORD
                                        ; implicit-def: $vgpr21
	s_and_saveexec_b64 s[28:29], vcc
	s_xor_b64 s[36:37], exec, s[28:29]
	s_cbranch_execz .LBB4_7584
; %bb.7571:                             ;   in Loop: Header=BB4_7073 Depth=3
	v_cmp_ne_u32_e32 vcc, 0, v0
	v_mov_b32_e32 v21, 0
	s_and_saveexec_b64 s[38:39], vcc
	s_cbranch_execz .LBB4_7583
; %bb.7572:                             ;   in Loop: Header=BB4_7073 Depth=3
	v_bfe_u32 v21, v0, 23, 8
	v_cmp_gt_u32_e64 s[28:29], s47, v21
	v_sub_u32_e32 v0, 0x71, v21
	v_cmp_eq_u32_e32 vcc, 0, v21
	v_cndmask_b32_e64 v0, 0, v0, s[28:29]
	v_mov_b32_e32 v2, 0x70
	v_cndmask_b32_e32 v22, v0, v2, vcc
	v_add_u32_e32 v2, 21, v22
	v_or_b32_e32 v1, 0x800000, v60
	v_lshlrev_b64 v[25:26], v2, -1
	v_cndmask_b32_e32 v0, v1, v60, vcc
	v_mov_b32_e32 v1, v61
	v_add_u32_e32 v2, 20, v22
	v_bfi_b32 v25, v25, 0, v0
	v_lshlrev_b64 v[27:28], v2, 1
	v_lshrrev_b64 v[0:1], v22, v[0:1]
	v_bfi_b32 v26, v26, 0, 0
	v_cmp_eq_u64_e64 s[28:29], v[25:26], v[27:28]
	v_mov_b32_e32 v2, v1
	v_mov_b32_e32 v1, v0
	s_and_saveexec_b64 s[48:49], s[28:29]
; %bb.7573:                             ;   in Loop: Header=BB4_7073 Depth=3
	v_bfe_u32 v1, v0, 21, 1
	v_add_co_u32_e64 v1, s[28:29], v0, v1
	v_add_co_u32_e64 v1, s[28:29], -1, v1
; %bb.7574:                             ;   in Loop: Header=BB4_7073 Depth=3
	s_or_b64 exec, exec, s[48:49]
	v_add_u32_e32 v2, 0xffffff81, v21
	v_mov_b32_e32 v21, 0xffffff82
	v_cndmask_b32_e32 v2, v2, v21, vcc
	v_lshrrev_b32_e32 v21, 23, v0
	v_add3_u32 v22, v22, v2, v21
	v_add_u32_e32 v21, 14, v22
	v_and_b32_e32 v1, 0x1fffff, v1
	v_add_u32_e32 v60, v1, v0
	v_cmp_ne_u32_e32 vcc, 0, v21
                                        ; implicit-def: $vgpr0_vgpr1
                                        ; implicit-def: $vgpr2
	s_and_saveexec_b64 s[28:29], vcc
	s_xor_b64 s[28:29], exec, s[28:29]
; %bb.7575:                             ;   in Loop: Header=BB4_7073 Depth=3
	v_cmp_lt_u64_e32 vcc, s[88:89], v[60:61]
	v_add_u32_e32 v0, 15, v22
	v_cndmask_b32_e32 v2, v21, v0, vcc
	v_cndmask_b32_e64 v0, 0, 1, vcc
	v_lshrrev_b64 v[0:1], v0, v[60:61]
; %bb.7576:                             ;   in Loop: Header=BB4_7073 Depth=3
	s_andn2_saveexec_b64 s[28:29], s[28:29]
; %bb.7577:                             ;   in Loop: Header=BB4_7073 Depth=3
	v_mov_b32_e32 v0, v60
	v_mov_b32_e32 v1, v61
	v_bfe_u32 v2, v60, 23, 1
; %bb.7578:                             ;   in Loop: Header=BB4_7073 Depth=3
	s_or_b64 exec, exec, s[28:29]
	v_lshrrev_b64 v[0:1], 21, v[0:1]
	v_cmp_gt_i32_e32 vcc, 32, v2
	v_cndmask_b32_e32 v1, 0, v1, vcc
	v_cndmask_b32_e32 v0, 3, v0, vcc
	v_cmp_ne_u64_e32 vcc, 0, v[0:1]
	v_cmp_ne_u32_e64 s[28:29], 0, v2
	s_or_b64 s[28:29], s[28:29], vcc
                                        ; implicit-def: $vgpr21
	s_and_saveexec_b64 vcc, s[28:29]
	s_xor_b64 s[28:29], exec, vcc
; %bb.7579:                             ;   in Loop: Header=BB4_7073 Depth=3
	v_min_i32_e32 v1, 31, v2
	v_lshl_or_b32 v1, v1, 2, v20
	v_and_or_b32 v21, v0, 3, v1
                                        ; implicit-def: $vgpr20
; %bb.7580:                             ;   in Loop: Header=BB4_7073 Depth=3
	s_andn2_saveexec_b64 s[28:29], s[28:29]
; %bb.7581:                             ;   in Loop: Header=BB4_7073 Depth=3
	v_mov_b32_e32 v21, v20
; %bb.7582:                             ;   in Loop: Header=BB4_7073 Depth=3
	s_or_b64 exec, exec, s[28:29]
.LBB4_7583:                             ;   in Loop: Header=BB4_7073 Depth=3
	s_or_b64 exec, exec, s[38:39]
                                        ; implicit-def: $vgpr20
.LBB4_7584:                             ;   in Loop: Header=BB4_7073 Depth=3
	s_andn2_saveexec_b64 s[28:29], s[36:37]
; %bb.7585:                             ;   in Loop: Header=BB4_7073 Depth=3
	v_or_b32_e32 v21, 0x7b, v20
; %bb.7586:                             ;   in Loop: Header=BB4_7073 Depth=3
	s_or_b64 exec, exec, s[28:29]
                                        ; implicit-def: $vgpr0
.LBB4_7587:                             ;   in Loop: Header=BB4_7073 Depth=3
	s_andn2_saveexec_b64 s[28:29], s[34:35]
	s_cbranch_execz .LBB4_7593
; %bb.7588:                             ;   in Loop: Header=BB4_7073 Depth=3
	v_cmp_ne_u64_e32 vcc, 0, v[60:61]
                                        ; implicit-def: $vgpr21
	s_and_saveexec_b64 s[34:35], vcc
	s_xor_b64 vcc, exec, s[34:35]
; %bb.7589:                             ;   in Loop: Header=BB4_7073 Depth=3
	v_or_b32_sdwa v21, v0, s44 dst_sel:DWORD dst_unused:UNUSED_PAD src0_sel:BYTE_3 src1_sel:DWORD
                                        ; implicit-def: $vgpr0
; %bb.7590:                             ;   in Loop: Header=BB4_7073 Depth=3
	s_andn2_saveexec_b64 s[34:35], vcc
; %bb.7591:                             ;   in Loop: Header=BB4_7073 Depth=3
	v_cmp_lt_i32_e32 vcc, -1, v0
	v_mov_b32_e32 v0, 0x7c
	v_cndmask_b32_e32 v21, -4, v0, vcc
; %bb.7592:                             ;   in Loop: Header=BB4_7073 Depth=3
	s_or_b64 exec, exec, s[34:35]
.LBB4_7593:                             ;   in Loop: Header=BB4_7073 Depth=3
	s_or_b64 exec, exec, s[28:29]
	v_cmp_ne_u16_e32 vcc, 0, v19
	v_mov_b32_e32 v0, 0
	v_mov_b32_e32 v1, 0
	s_and_saveexec_b64 s[28:29], vcc
	s_cbranch_execz .LBB4_7601
; %bb.7594:                             ;   in Loop: Header=BB4_7073 Depth=3
	v_cmp_ne_u16_e32 vcc, s70, v19
	v_bfrev_b32_e32 v1, 1
	s_and_saveexec_b64 s[34:35], vcc
	s_cbranch_execz .LBB4_7600
; %bb.7595:                             ;   in Loop: Header=BB4_7073 Depth=3
	v_and_b32_e32 v1, 0x7c, v19
	v_and_b32_e32 v2, 3, v19
	v_cmp_ne_u32_e32 vcc, s71, v1
                                        ; implicit-def: $vgpr1
	s_and_saveexec_b64 s[36:37], vcc
	s_xor_b64 s[36:37], exec, s[36:37]
	s_cbranch_execz .LBB4_7597
; %bb.7596:                             ;   in Loop: Header=BB4_7073 Depth=3
	v_ffbh_u32_e32 v22, v2
	v_min_u32_e32 v22, 32, v22
	v_and_b32_e32 v1, 0xff, v19
	v_mov_b32_e32 v20, v61
	v_subrev_u32_e32 v25, 29, v22
	v_bfe_u32 v1, v1, 2, 5
	v_lshlrev_b64 v[25:26], v25, v[19:20]
	v_sub_u32_e32 v20, 30, v22
	v_cmp_eq_u32_e32 vcc, 0, v1
	v_and_b32_e32 v22, 3, v25
	v_cndmask_b32_e32 v1, v1, v20, vcc
	v_and_b32_sdwa v19, sext(v19), s80 dst_sel:DWORD dst_unused:UNUSED_PAD src0_sel:WORD_0 src1_sel:DWORD
	v_cndmask_b32_e32 v2, v2, v22, vcc
	v_lshl_add_u32 v1, v1, 23, v19
	v_lshl_or_b32 v1, v2, 21, v1
	v_add_u32_e32 v1, 0x38000000, v1
                                        ; implicit-def: $vgpr2
                                        ; implicit-def: $vgpr19
.LBB4_7597:                             ;   in Loop: Header=BB4_7073 Depth=3
	s_andn2_saveexec_b64 s[36:37], s[36:37]
; %bb.7598:                             ;   in Loop: Header=BB4_7073 Depth=3
	v_cmp_lt_i16_e32 vcc, -1, v19
	v_mov_b32_e32 v1, 0xff800000
	v_cndmask_b32_e32 v1, v1, v47, vcc
	v_cmp_eq_u32_e32 vcc, 0, v2
	v_mov_b32_e32 v2, 0x7f800001
	v_cndmask_b32_e32 v1, v2, v1, vcc
; %bb.7599:                             ;   in Loop: Header=BB4_7073 Depth=3
	s_or_b64 exec, exec, s[36:37]
.LBB4_7600:                             ;   in Loop: Header=BB4_7073 Depth=3
	s_or_b64 exec, exec, s[34:35]
.LBB4_7601:                             ;   in Loop: Header=BB4_7073 Depth=3
	s_or_b64 exec, exec, s[28:29]
	v_cmp_ne_u16_e32 vcc, 0, v18
	s_and_saveexec_b64 s[28:29], vcc
	s_cbranch_execz .LBB4_7609
; %bb.7602:                             ;   in Loop: Header=BB4_7073 Depth=3
	v_cmp_ne_u16_e32 vcc, s70, v18
	v_bfrev_b32_e32 v0, 1
	s_and_saveexec_b64 s[34:35], vcc
	s_cbranch_execz .LBB4_7608
; %bb.7603:                             ;   in Loop: Header=BB4_7073 Depth=3
	v_and_b32_e32 v0, 0x7c, v18
	v_and_b32_e32 v2, 3, v18
	v_cmp_ne_u32_e32 vcc, s71, v0
                                        ; implicit-def: $vgpr0
	s_and_saveexec_b64 s[36:37], vcc
	s_xor_b64 s[36:37], exec, s[36:37]
	s_cbranch_execz .LBB4_7605
; %bb.7604:                             ;   in Loop: Header=BB4_7073 Depth=3
	v_ffbh_u32_e32 v20, v2
	v_min_u32_e32 v22, 32, v20
	v_and_b32_e32 v0, 0xff, v18
	v_mov_b32_e32 v19, v61
	v_subrev_u32_e32 v20, 29, v22
	v_bfe_u32 v0, v0, 2, 5
	v_lshlrev_b64 v[19:20], v20, v[18:19]
	v_sub_u32_e32 v20, 30, v22
	v_cmp_eq_u32_e32 vcc, 0, v0
	v_and_b32_e32 v19, 3, v19
	v_cndmask_b32_e32 v0, v0, v20, vcc
	v_and_b32_sdwa v18, sext(v18), s80 dst_sel:DWORD dst_unused:UNUSED_PAD src0_sel:WORD_0 src1_sel:DWORD
	v_cndmask_b32_e32 v2, v2, v19, vcc
	v_lshl_add_u32 v0, v0, 23, v18
	v_lshl_or_b32 v0, v2, 21, v0
	v_add_u32_e32 v0, 0x38000000, v0
                                        ; implicit-def: $vgpr2
                                        ; implicit-def: $vgpr18
.LBB4_7605:                             ;   in Loop: Header=BB4_7073 Depth=3
	s_andn2_saveexec_b64 s[36:37], s[36:37]
; %bb.7606:                             ;   in Loop: Header=BB4_7073 Depth=3
	v_cmp_lt_i16_e32 vcc, -1, v18
	v_mov_b32_e32 v0, 0xff800000
	v_cndmask_b32_e32 v0, v0, v47, vcc
	v_cmp_eq_u32_e32 vcc, 0, v2
	v_mov_b32_e32 v2, 0x7f800001
	v_cndmask_b32_e32 v0, v2, v0, vcc
; %bb.7607:                             ;   in Loop: Header=BB4_7073 Depth=3
	s_or_b64 exec, exec, s[36:37]
.LBB4_7608:                             ;   in Loop: Header=BB4_7073 Depth=3
	s_or_b64 exec, exec, s[34:35]
.LBB4_7609:                             ;   in Loop: Header=BB4_7073 Depth=3
	s_or_b64 exec, exec, s[28:29]
	v_mul_f32_e32 v0, v1, v0
	v_and_b32_e32 v1, 0x7f800000, v0
	v_mov_b32_e32 v2, v61
	v_cmp_ne_u64_e32 vcc, s[62:63], v[1:2]
	v_and_b32_e32 v60, 0x7fffff, v0
                                        ; implicit-def: $vgpr19
	s_and_saveexec_b64 s[28:29], vcc
	s_xor_b64 s[34:35], exec, s[28:29]
	s_cbranch_execz .LBB4_7627
; %bb.7610:                             ;   in Loop: Header=BB4_7073 Depth=3
	v_and_b32_e32 v1, 0x7fffffff, v0
	v_mov_b32_e32 v2, v61
	v_cmp_gt_u64_e32 vcc, s[78:79], v[1:2]
	v_and_b32_sdwa v18, v0, s81 dst_sel:DWORD dst_unused:UNUSED_PAD src0_sel:BYTE_3 src1_sel:DWORD
                                        ; implicit-def: $vgpr19
	s_and_saveexec_b64 s[28:29], vcc
	s_xor_b64 s[36:37], exec, s[28:29]
	s_cbranch_execz .LBB4_7624
; %bb.7611:                             ;   in Loop: Header=BB4_7073 Depth=3
	v_cmp_ne_u32_e32 vcc, 0, v0
	v_mov_b32_e32 v19, 0
	s_and_saveexec_b64 s[38:39], vcc
	s_cbranch_execz .LBB4_7623
; %bb.7612:                             ;   in Loop: Header=BB4_7073 Depth=3
	v_bfe_u32 v19, v0, 23, 8
	v_cmp_gt_u32_e64 s[28:29], s47, v19
	v_sub_u32_e32 v0, 0x71, v19
	v_cmp_eq_u32_e32 vcc, 0, v19
	v_cndmask_b32_e64 v0, 0, v0, s[28:29]
	v_mov_b32_e32 v2, 0x70
	v_cndmask_b32_e32 v20, v0, v2, vcc
	v_add_u32_e32 v2, 21, v20
	v_or_b32_e32 v1, 0x800000, v60
	v_lshlrev_b64 v[25:26], v2, -1
	v_cndmask_b32_e32 v0, v1, v60, vcc
	v_mov_b32_e32 v1, v61
	v_add_u32_e32 v2, 20, v20
	v_bfi_b32 v25, v25, 0, v0
	v_lshlrev_b64 v[27:28], v2, 1
	v_lshrrev_b64 v[0:1], v20, v[0:1]
	v_bfi_b32 v26, v26, 0, 0
	v_cmp_eq_u64_e64 s[28:29], v[25:26], v[27:28]
	v_mov_b32_e32 v2, v1
	v_mov_b32_e32 v1, v0
	s_and_saveexec_b64 s[48:49], s[28:29]
; %bb.7613:                             ;   in Loop: Header=BB4_7073 Depth=3
	v_bfe_u32 v1, v0, 21, 1
	v_add_co_u32_e64 v1, s[28:29], v0, v1
	v_add_co_u32_e64 v1, s[28:29], -1, v1
; %bb.7614:                             ;   in Loop: Header=BB4_7073 Depth=3
	s_or_b64 exec, exec, s[48:49]
	v_add_u32_e32 v2, 0xffffff81, v19
	v_mov_b32_e32 v19, 0xffffff82
	v_cndmask_b32_e32 v2, v2, v19, vcc
	v_lshrrev_b32_e32 v19, 23, v0
	v_add3_u32 v20, v20, v2, v19
	v_add_u32_e32 v19, 14, v20
	v_and_b32_e32 v1, 0x1fffff, v1
	v_add_u32_e32 v60, v1, v0
	v_cmp_ne_u32_e32 vcc, 0, v19
                                        ; implicit-def: $vgpr0_vgpr1
                                        ; implicit-def: $vgpr2
	s_and_saveexec_b64 s[28:29], vcc
	s_xor_b64 s[28:29], exec, s[28:29]
; %bb.7615:                             ;   in Loop: Header=BB4_7073 Depth=3
	v_cmp_lt_u64_e32 vcc, s[88:89], v[60:61]
	v_add_u32_e32 v0, 15, v20
	v_cndmask_b32_e32 v2, v19, v0, vcc
	v_cndmask_b32_e64 v0, 0, 1, vcc
	v_lshrrev_b64 v[0:1], v0, v[60:61]
; %bb.7616:                             ;   in Loop: Header=BB4_7073 Depth=3
	s_andn2_saveexec_b64 s[28:29], s[28:29]
; %bb.7617:                             ;   in Loop: Header=BB4_7073 Depth=3
	v_mov_b32_e32 v0, v60
	v_mov_b32_e32 v1, v61
	v_bfe_u32 v2, v60, 23, 1
; %bb.7618:                             ;   in Loop: Header=BB4_7073 Depth=3
	s_or_b64 exec, exec, s[28:29]
	v_lshrrev_b64 v[0:1], 21, v[0:1]
	v_cmp_gt_i32_e32 vcc, 32, v2
	v_cndmask_b32_e32 v1, 0, v1, vcc
	v_cndmask_b32_e32 v0, 3, v0, vcc
	v_cmp_ne_u64_e32 vcc, 0, v[0:1]
	v_cmp_ne_u32_e64 s[28:29], 0, v2
	s_or_b64 s[28:29], s[28:29], vcc
                                        ; implicit-def: $vgpr19
	s_and_saveexec_b64 vcc, s[28:29]
	s_xor_b64 s[28:29], exec, vcc
; %bb.7619:                             ;   in Loop: Header=BB4_7073 Depth=3
	v_min_i32_e32 v1, 31, v2
	v_lshl_or_b32 v1, v1, 2, v18
	v_and_or_b32 v19, v0, 3, v1
                                        ; implicit-def: $vgpr18
; %bb.7620:                             ;   in Loop: Header=BB4_7073 Depth=3
	s_andn2_saveexec_b64 s[28:29], s[28:29]
; %bb.7621:                             ;   in Loop: Header=BB4_7073 Depth=3
	v_mov_b32_e32 v19, v18
; %bb.7622:                             ;   in Loop: Header=BB4_7073 Depth=3
	s_or_b64 exec, exec, s[28:29]
.LBB4_7623:                             ;   in Loop: Header=BB4_7073 Depth=3
	s_or_b64 exec, exec, s[38:39]
                                        ; implicit-def: $vgpr18
.LBB4_7624:                             ;   in Loop: Header=BB4_7073 Depth=3
	s_andn2_saveexec_b64 s[28:29], s[36:37]
; %bb.7625:                             ;   in Loop: Header=BB4_7073 Depth=3
	v_or_b32_e32 v19, 0x7b, v18
; %bb.7626:                             ;   in Loop: Header=BB4_7073 Depth=3
	s_or_b64 exec, exec, s[28:29]
                                        ; implicit-def: $vgpr0
.LBB4_7627:                             ;   in Loop: Header=BB4_7073 Depth=3
	s_andn2_saveexec_b64 s[28:29], s[34:35]
	s_cbranch_execz .LBB4_7633
; %bb.7628:                             ;   in Loop: Header=BB4_7073 Depth=3
	v_cmp_ne_u64_e32 vcc, 0, v[60:61]
                                        ; implicit-def: $vgpr19
	s_and_saveexec_b64 s[34:35], vcc
	s_xor_b64 vcc, exec, s[34:35]
; %bb.7629:                             ;   in Loop: Header=BB4_7073 Depth=3
	v_or_b32_sdwa v19, v0, s44 dst_sel:DWORD dst_unused:UNUSED_PAD src0_sel:BYTE_3 src1_sel:DWORD
                                        ; implicit-def: $vgpr0
; %bb.7630:                             ;   in Loop: Header=BB4_7073 Depth=3
	s_andn2_saveexec_b64 s[34:35], vcc
; %bb.7631:                             ;   in Loop: Header=BB4_7073 Depth=3
	v_cmp_lt_i32_e32 vcc, -1, v0
	v_mov_b32_e32 v0, 0x7c
	v_cndmask_b32_e32 v19, -4, v0, vcc
; %bb.7632:                             ;   in Loop: Header=BB4_7073 Depth=3
	s_or_b64 exec, exec, s[34:35]
.LBB4_7633:                             ;   in Loop: Header=BB4_7073 Depth=3
	s_or_b64 exec, exec, s[28:29]
	v_cmp_ne_u16_e32 vcc, 0, v17
	v_mov_b32_e32 v0, 0
	v_mov_b32_e32 v1, 0
	s_and_saveexec_b64 s[28:29], vcc
	s_cbranch_execz .LBB4_7641
; %bb.7634:                             ;   in Loop: Header=BB4_7073 Depth=3
	v_cmp_ne_u16_e32 vcc, s70, v17
	v_bfrev_b32_e32 v1, 1
	s_and_saveexec_b64 s[34:35], vcc
	s_cbranch_execz .LBB4_7640
; %bb.7635:                             ;   in Loop: Header=BB4_7073 Depth=3
	v_and_b32_e32 v1, 0x7c, v17
	v_and_b32_e32 v2, 3, v17
	v_cmp_ne_u32_e32 vcc, s71, v1
                                        ; implicit-def: $vgpr1
	s_and_saveexec_b64 s[36:37], vcc
	s_xor_b64 s[36:37], exec, s[36:37]
	s_cbranch_execz .LBB4_7637
; %bb.7636:                             ;   in Loop: Header=BB4_7073 Depth=3
	v_ffbh_u32_e32 v20, v2
	v_min_u32_e32 v20, 32, v20
	v_and_b32_e32 v1, 0xff, v17
	v_mov_b32_e32 v18, v61
	v_subrev_u32_e32 v22, 29, v20
	v_bfe_u32 v1, v1, 2, 5
	v_lshlrev_b64 v[25:26], v22, v[17:18]
	v_sub_u32_e32 v18, 30, v20
	v_cmp_eq_u32_e32 vcc, 0, v1
	v_and_b32_e32 v20, 3, v25
	v_cndmask_b32_e32 v1, v1, v18, vcc
	v_and_b32_sdwa v17, sext(v17), s80 dst_sel:DWORD dst_unused:UNUSED_PAD src0_sel:WORD_0 src1_sel:DWORD
	v_cndmask_b32_e32 v2, v2, v20, vcc
	v_lshl_add_u32 v1, v1, 23, v17
	v_lshl_or_b32 v1, v2, 21, v1
	v_add_u32_e32 v1, 0x38000000, v1
                                        ; implicit-def: $vgpr2
                                        ; implicit-def: $vgpr17
.LBB4_7637:                             ;   in Loop: Header=BB4_7073 Depth=3
	s_andn2_saveexec_b64 s[36:37], s[36:37]
; %bb.7638:                             ;   in Loop: Header=BB4_7073 Depth=3
	v_cmp_lt_i16_e32 vcc, -1, v17
	v_mov_b32_e32 v1, 0xff800000
	v_cndmask_b32_e32 v1, v1, v47, vcc
	v_cmp_eq_u32_e32 vcc, 0, v2
	v_mov_b32_e32 v2, 0x7f800001
	v_cndmask_b32_e32 v1, v2, v1, vcc
; %bb.7639:                             ;   in Loop: Header=BB4_7073 Depth=3
	s_or_b64 exec, exec, s[36:37]
.LBB4_7640:                             ;   in Loop: Header=BB4_7073 Depth=3
	s_or_b64 exec, exec, s[34:35]
.LBB4_7641:                             ;   in Loop: Header=BB4_7073 Depth=3
	s_or_b64 exec, exec, s[28:29]
	v_cmp_ne_u16_e32 vcc, 0, v16
	s_and_saveexec_b64 s[28:29], vcc
	s_cbranch_execz .LBB4_7649
; %bb.7642:                             ;   in Loop: Header=BB4_7073 Depth=3
	v_cmp_ne_u16_e32 vcc, s70, v16
	v_bfrev_b32_e32 v0, 1
	s_and_saveexec_b64 s[34:35], vcc
	s_cbranch_execz .LBB4_7648
; %bb.7643:                             ;   in Loop: Header=BB4_7073 Depth=3
	v_and_b32_e32 v0, 0x7c, v16
	v_and_b32_e32 v2, 3, v16
	v_cmp_ne_u32_e32 vcc, s71, v0
                                        ; implicit-def: $vgpr0
	s_and_saveexec_b64 s[36:37], vcc
	s_xor_b64 s[36:37], exec, s[36:37]
	s_cbranch_execz .LBB4_7645
; %bb.7644:                             ;   in Loop: Header=BB4_7073 Depth=3
	v_ffbh_u32_e32 v18, v2
	v_min_u32_e32 v20, 32, v18
	v_and_b32_e32 v0, 0xff, v16
	v_mov_b32_e32 v17, v61
	v_subrev_u32_e32 v18, 29, v20
	v_bfe_u32 v0, v0, 2, 5
	v_lshlrev_b64 v[17:18], v18, v[16:17]
	v_sub_u32_e32 v18, 30, v20
	v_cmp_eq_u32_e32 vcc, 0, v0
	v_and_b32_e32 v17, 3, v17
	v_cndmask_b32_e32 v0, v0, v18, vcc
	v_and_b32_sdwa v16, sext(v16), s80 dst_sel:DWORD dst_unused:UNUSED_PAD src0_sel:WORD_0 src1_sel:DWORD
	v_cndmask_b32_e32 v2, v2, v17, vcc
	v_lshl_add_u32 v0, v0, 23, v16
	v_lshl_or_b32 v0, v2, 21, v0
	v_add_u32_e32 v0, 0x38000000, v0
                                        ; implicit-def: $vgpr2
                                        ; implicit-def: $vgpr16
.LBB4_7645:                             ;   in Loop: Header=BB4_7073 Depth=3
	s_andn2_saveexec_b64 s[36:37], s[36:37]
; %bb.7646:                             ;   in Loop: Header=BB4_7073 Depth=3
	v_cmp_lt_i16_e32 vcc, -1, v16
	v_mov_b32_e32 v0, 0xff800000
	v_cndmask_b32_e32 v0, v0, v47, vcc
	v_cmp_eq_u32_e32 vcc, 0, v2
	v_mov_b32_e32 v2, 0x7f800001
	v_cndmask_b32_e32 v0, v2, v0, vcc
; %bb.7647:                             ;   in Loop: Header=BB4_7073 Depth=3
	s_or_b64 exec, exec, s[36:37]
.LBB4_7648:                             ;   in Loop: Header=BB4_7073 Depth=3
	s_or_b64 exec, exec, s[34:35]
.LBB4_7649:                             ;   in Loop: Header=BB4_7073 Depth=3
	s_or_b64 exec, exec, s[28:29]
	v_mul_f32_e32 v0, v1, v0
	v_and_b32_e32 v1, 0x7f800000, v0
	v_mov_b32_e32 v2, v61
	v_cmp_ne_u64_e32 vcc, s[62:63], v[1:2]
	v_and_b32_e32 v60, 0x7fffff, v0
                                        ; implicit-def: $vgpr16
	s_and_saveexec_b64 s[28:29], vcc
	s_xor_b64 s[34:35], exec, s[28:29]
	s_cbranch_execz .LBB4_7667
; %bb.7650:                             ;   in Loop: Header=BB4_7073 Depth=3
	v_and_b32_e32 v1, 0x7fffffff, v0
	v_mov_b32_e32 v2, v61
	v_cmp_gt_u64_e32 vcc, s[78:79], v[1:2]
	v_and_b32_sdwa v17, v0, s81 dst_sel:DWORD dst_unused:UNUSED_PAD src0_sel:BYTE_3 src1_sel:DWORD
                                        ; implicit-def: $vgpr16
	s_and_saveexec_b64 s[28:29], vcc
	s_xor_b64 s[36:37], exec, s[28:29]
	s_cbranch_execz .LBB4_7664
; %bb.7651:                             ;   in Loop: Header=BB4_7073 Depth=3
	v_cmp_ne_u32_e32 vcc, 0, v0
	v_mov_b32_e32 v16, 0
	s_and_saveexec_b64 s[38:39], vcc
	s_cbranch_execz .LBB4_7663
; %bb.7652:                             ;   in Loop: Header=BB4_7073 Depth=3
	v_bfe_u32 v16, v0, 23, 8
	v_cmp_gt_u32_e64 s[28:29], s47, v16
	v_sub_u32_e32 v0, 0x71, v16
	v_cmp_eq_u32_e32 vcc, 0, v16
	v_cndmask_b32_e64 v0, 0, v0, s[28:29]
	v_mov_b32_e32 v2, 0x70
	v_cndmask_b32_e32 v18, v0, v2, vcc
	v_add_u32_e32 v2, 21, v18
	v_or_b32_e32 v1, 0x800000, v60
	v_lshlrev_b64 v[25:26], v2, -1
	v_cndmask_b32_e32 v0, v1, v60, vcc
	v_mov_b32_e32 v1, v61
	v_add_u32_e32 v2, 20, v18
	v_bfi_b32 v25, v25, 0, v0
	v_lshlrev_b64 v[27:28], v2, 1
	v_lshrrev_b64 v[0:1], v18, v[0:1]
	v_bfi_b32 v26, v26, 0, 0
	v_cmp_eq_u64_e64 s[28:29], v[25:26], v[27:28]
	v_mov_b32_e32 v2, v1
	v_mov_b32_e32 v1, v0
	s_and_saveexec_b64 s[48:49], s[28:29]
; %bb.7653:                             ;   in Loop: Header=BB4_7073 Depth=3
	v_bfe_u32 v1, v0, 21, 1
	v_add_co_u32_e64 v1, s[28:29], v0, v1
	v_add_co_u32_e64 v1, s[28:29], -1, v1
; %bb.7654:                             ;   in Loop: Header=BB4_7073 Depth=3
	s_or_b64 exec, exec, s[48:49]
	v_add_u32_e32 v2, 0xffffff81, v16
	v_mov_b32_e32 v16, 0xffffff82
	v_cndmask_b32_e32 v2, v2, v16, vcc
	v_lshrrev_b32_e32 v16, 23, v0
	v_add3_u32 v18, v18, v2, v16
	v_add_u32_e32 v16, 14, v18
	v_and_b32_e32 v1, 0x1fffff, v1
	v_add_u32_e32 v60, v1, v0
	v_cmp_ne_u32_e32 vcc, 0, v16
                                        ; implicit-def: $vgpr0_vgpr1
                                        ; implicit-def: $vgpr2
	s_and_saveexec_b64 s[28:29], vcc
	s_xor_b64 s[28:29], exec, s[28:29]
; %bb.7655:                             ;   in Loop: Header=BB4_7073 Depth=3
	v_cmp_lt_u64_e32 vcc, s[88:89], v[60:61]
	v_add_u32_e32 v0, 15, v18
	v_cndmask_b32_e32 v2, v16, v0, vcc
	v_cndmask_b32_e64 v0, 0, 1, vcc
	v_lshrrev_b64 v[0:1], v0, v[60:61]
; %bb.7656:                             ;   in Loop: Header=BB4_7073 Depth=3
	s_andn2_saveexec_b64 s[28:29], s[28:29]
; %bb.7657:                             ;   in Loop: Header=BB4_7073 Depth=3
	v_mov_b32_e32 v0, v60
	v_mov_b32_e32 v1, v61
	v_bfe_u32 v2, v60, 23, 1
; %bb.7658:                             ;   in Loop: Header=BB4_7073 Depth=3
	s_or_b64 exec, exec, s[28:29]
	v_lshrrev_b64 v[0:1], 21, v[0:1]
	v_cmp_gt_i32_e32 vcc, 32, v2
	v_cndmask_b32_e32 v1, 0, v1, vcc
	v_cndmask_b32_e32 v0, 3, v0, vcc
	v_cmp_ne_u64_e32 vcc, 0, v[0:1]
	v_cmp_ne_u32_e64 s[28:29], 0, v2
	s_or_b64 s[28:29], s[28:29], vcc
                                        ; implicit-def: $vgpr16
	s_and_saveexec_b64 vcc, s[28:29]
	s_xor_b64 s[28:29], exec, vcc
; %bb.7659:                             ;   in Loop: Header=BB4_7073 Depth=3
	v_min_i32_e32 v1, 31, v2
	v_lshl_or_b32 v1, v1, 2, v17
	v_and_or_b32 v16, v0, 3, v1
                                        ; implicit-def: $vgpr17
; %bb.7660:                             ;   in Loop: Header=BB4_7073 Depth=3
	s_andn2_saveexec_b64 s[28:29], s[28:29]
; %bb.7661:                             ;   in Loop: Header=BB4_7073 Depth=3
	v_mov_b32_e32 v16, v17
; %bb.7662:                             ;   in Loop: Header=BB4_7073 Depth=3
	s_or_b64 exec, exec, s[28:29]
.LBB4_7663:                             ;   in Loop: Header=BB4_7073 Depth=3
	s_or_b64 exec, exec, s[38:39]
                                        ; implicit-def: $vgpr17
.LBB4_7664:                             ;   in Loop: Header=BB4_7073 Depth=3
	s_andn2_saveexec_b64 s[28:29], s[36:37]
; %bb.7665:                             ;   in Loop: Header=BB4_7073 Depth=3
	v_or_b32_e32 v16, 0x7b, v17
; %bb.7666:                             ;   in Loop: Header=BB4_7073 Depth=3
	s_or_b64 exec, exec, s[28:29]
                                        ; implicit-def: $vgpr0
.LBB4_7667:                             ;   in Loop: Header=BB4_7073 Depth=3
	s_andn2_saveexec_b64 s[28:29], s[34:35]
	s_cbranch_execz .LBB4_7673
; %bb.7668:                             ;   in Loop: Header=BB4_7073 Depth=3
	v_cmp_ne_u64_e32 vcc, 0, v[60:61]
                                        ; implicit-def: $vgpr16
	s_and_saveexec_b64 s[34:35], vcc
	s_xor_b64 vcc, exec, s[34:35]
; %bb.7669:                             ;   in Loop: Header=BB4_7073 Depth=3
	v_or_b32_sdwa v16, v0, s44 dst_sel:DWORD dst_unused:UNUSED_PAD src0_sel:BYTE_3 src1_sel:DWORD
                                        ; implicit-def: $vgpr0
; %bb.7670:                             ;   in Loop: Header=BB4_7073 Depth=3
	s_andn2_saveexec_b64 s[34:35], vcc
; %bb.7671:                             ;   in Loop: Header=BB4_7073 Depth=3
	v_cmp_lt_i32_e32 vcc, -1, v0
	v_mov_b32_e32 v0, 0x7c
	v_cndmask_b32_e32 v16, -4, v0, vcc
; %bb.7672:                             ;   in Loop: Header=BB4_7073 Depth=3
	s_or_b64 exec, exec, s[34:35]
.LBB4_7673:                             ;   in Loop: Header=BB4_7073 Depth=3
	s_or_b64 exec, exec, s[28:29]
	v_mov_b32_e32 v17, v39
	v_cmp_ne_u16_e32 vcc, 0, v17
	v_mov_b32_e32 v0, 0
	v_mov_b32_e32 v1, 0
	s_and_saveexec_b64 s[28:29], vcc
	s_cbranch_execz .LBB4_7681
; %bb.7674:                             ;   in Loop: Header=BB4_7073 Depth=3
	v_cmp_ne_u16_e32 vcc, s70, v17
	v_bfrev_b32_e32 v1, 1
	s_and_saveexec_b64 s[34:35], vcc
	s_cbranch_execz .LBB4_7680
; %bb.7675:                             ;   in Loop: Header=BB4_7073 Depth=3
	v_and_b32_e32 v1, 0x7c, v17
	v_and_b32_e32 v2, 3, v17
	v_cmp_ne_u32_e32 vcc, s71, v1
                                        ; implicit-def: $vgpr1
	s_and_saveexec_b64 s[36:37], vcc
	s_xor_b64 s[36:37], exec, s[36:37]
	s_cbranch_execz .LBB4_7677
; %bb.7676:                             ;   in Loop: Header=BB4_7073 Depth=3
	v_ffbh_u32_e32 v17, v2
	v_min_u32_e32 v20, 32, v17
	v_mov_b32_e32 v25, v39
	v_mov_b32_e32 v26, v61
	v_subrev_u32_e32 v17, 29, v20
	v_and_b32_e32 v1, 0xff, v25
	v_lshlrev_b64 v[17:18], v17, v[25:26]
	v_bfe_u32 v1, v1, 2, 5
	v_sub_u32_e32 v18, 30, v20
	v_and_b32_e32 v17, 3, v17
	v_cmp_eq_u32_e32 vcc, 0, v1
	v_cndmask_b32_e32 v1, v1, v18, vcc
	v_cndmask_b32_e32 v2, v2, v17, vcc
	v_and_b32_sdwa v17, sext(v25), s80 dst_sel:DWORD dst_unused:UNUSED_PAD src0_sel:WORD_0 src1_sel:DWORD
	v_lshl_add_u32 v1, v1, 23, v17
	v_lshl_or_b32 v1, v2, 21, v1
	v_add_u32_e32 v1, 0x38000000, v1
                                        ; implicit-def: $vgpr2
                                        ; implicit-def: $vgpr39
.LBB4_7677:                             ;   in Loop: Header=BB4_7073 Depth=3
	s_andn2_saveexec_b64 s[36:37], s[36:37]
; %bb.7678:                             ;   in Loop: Header=BB4_7073 Depth=3
	v_cmp_lt_i16_e32 vcc, -1, v39
	v_mov_b32_e32 v1, 0xff800000
	v_cndmask_b32_e32 v1, v1, v47, vcc
	v_cmp_eq_u32_e32 vcc, 0, v2
	v_mov_b32_e32 v2, 0x7f800001
	v_cndmask_b32_e32 v1, v2, v1, vcc
; %bb.7679:                             ;   in Loop: Header=BB4_7073 Depth=3
	s_or_b64 exec, exec, s[36:37]
.LBB4_7680:                             ;   in Loop: Header=BB4_7073 Depth=3
	s_or_b64 exec, exec, s[34:35]
.LBB4_7681:                             ;   in Loop: Header=BB4_7073 Depth=3
	s_or_b64 exec, exec, s[28:29]
	buffer_load_dword v17, off, s[0:3], s33 offset:116 ; 4-byte Folded Reload
	buffer_load_dword v18, off, s[0:3], s33 offset:120 ; 4-byte Folded Reload
	s_waitcnt vmcnt(1)
	v_cmp_ne_u16_e32 vcc, 0, v17
	s_and_saveexec_b64 s[28:29], vcc
	s_cbranch_execz .LBB4_7689
; %bb.7682:                             ;   in Loop: Header=BB4_7073 Depth=3
	v_cmp_ne_u16_e32 vcc, s70, v17
	v_bfrev_b32_e32 v0, 1
	s_and_saveexec_b64 s[34:35], vcc
	s_cbranch_execz .LBB4_7688
; %bb.7683:                             ;   in Loop: Header=BB4_7073 Depth=3
	v_and_b32_e32 v0, 0x7c, v17
	v_and_b32_e32 v2, 3, v17
	v_cmp_ne_u32_e32 vcc, s71, v0
                                        ; implicit-def: $vgpr0
	s_and_saveexec_b64 s[36:37], vcc
	s_xor_b64 s[36:37], exec, s[36:37]
	s_cbranch_execz .LBB4_7685
; %bb.7684:                             ;   in Loop: Header=BB4_7073 Depth=3
	buffer_load_dword v25, off, s[0:3], s33 offset:116 ; 4-byte Folded Reload
	buffer_load_dword v26, off, s[0:3], s33 offset:120 ; 4-byte Folded Reload
	v_ffbh_u32_e32 v17, v2
	v_min_u32_e32 v20, 32, v17
	s_waitcnt vmcnt(0)
	v_mov_b32_e32 v26, v61
	v_subrev_u32_e32 v17, 29, v20
	v_and_b32_e32 v0, 0xff, v25
	v_lshlrev_b64 v[17:18], v17, v[25:26]
	v_bfe_u32 v0, v0, 2, 5
	v_sub_u32_e32 v18, 30, v20
	v_and_b32_e32 v17, 3, v17
	v_cmp_eq_u32_e32 vcc, 0, v0
	v_cndmask_b32_e32 v0, v0, v18, vcc
	v_cndmask_b32_e32 v2, v2, v17, vcc
	v_and_b32_sdwa v17, sext(v25), s80 dst_sel:DWORD dst_unused:UNUSED_PAD src0_sel:WORD_0 src1_sel:DWORD
	v_lshl_add_u32 v0, v0, 23, v17
	v_lshl_or_b32 v0, v2, 21, v0
	v_add_u32_e32 v0, 0x38000000, v0
                                        ; implicit-def: $vgpr17
                                        ; implicit-def: $vgpr2
	buffer_store_dword v17, off, s[0:3], s33 offset:116 ; 4-byte Folded Spill
	s_nop 0
	buffer_store_dword v18, off, s[0:3], s33 offset:120 ; 4-byte Folded Spill
.LBB4_7685:                             ;   in Loop: Header=BB4_7073 Depth=3
	s_andn2_saveexec_b64 s[36:37], s[36:37]
	s_cbranch_execz .LBB4_7687
; %bb.7686:                             ;   in Loop: Header=BB4_7073 Depth=3
	buffer_load_dword v17, off, s[0:3], s33 offset:116 ; 4-byte Folded Reload
	buffer_load_dword v18, off, s[0:3], s33 offset:120 ; 4-byte Folded Reload
	v_mov_b32_e32 v0, 0xff800000
	s_waitcnt vmcnt(1)
	v_cmp_lt_i16_e32 vcc, -1, v17
	v_cndmask_b32_e32 v0, v0, v47, vcc
	v_cmp_eq_u32_e32 vcc, 0, v2
	v_mov_b32_e32 v2, 0x7f800001
	v_cndmask_b32_e32 v0, v2, v0, vcc
.LBB4_7687:                             ;   in Loop: Header=BB4_7073 Depth=3
	s_or_b64 exec, exec, s[36:37]
.LBB4_7688:                             ;   in Loop: Header=BB4_7073 Depth=3
	s_or_b64 exec, exec, s[34:35]
.LBB4_7689:                             ;   in Loop: Header=BB4_7073 Depth=3
	s_or_b64 exec, exec, s[28:29]
	v_mul_f32_e32 v0, v1, v0
	v_and_b32_e32 v1, 0x7f800000, v0
	v_mov_b32_e32 v2, v61
	v_cmp_ne_u64_e32 vcc, s[62:63], v[1:2]
	v_and_b32_e32 v60, 0x7fffff, v0
                                        ; implicit-def: $vgpr1
	s_and_saveexec_b64 s[28:29], vcc
	s_xor_b64 s[34:35], exec, s[28:29]
	s_cbranch_execz .LBB4_7707
; %bb.7690:                             ;   in Loop: Header=BB4_7073 Depth=3
	v_and_b32_e32 v1, 0x7fffffff, v0
	v_mov_b32_e32 v2, v61
	v_cmp_gt_u64_e32 vcc, s[78:79], v[1:2]
	v_and_b32_sdwa v17, v0, s81 dst_sel:DWORD dst_unused:UNUSED_PAD src0_sel:BYTE_3 src1_sel:DWORD
                                        ; implicit-def: $vgpr1
	s_and_saveexec_b64 s[28:29], vcc
	s_xor_b64 s[36:37], exec, s[28:29]
	s_cbranch_execz .LBB4_7704
; %bb.7691:                             ;   in Loop: Header=BB4_7073 Depth=3
	v_cmp_ne_u32_e32 vcc, 0, v0
	v_mov_b32_e32 v1, 0
	s_and_saveexec_b64 s[38:39], vcc
	s_cbranch_execz .LBB4_7703
; %bb.7692:                             ;   in Loop: Header=BB4_7073 Depth=3
	s_waitcnt vmcnt(0)
	v_bfe_u32 v18, v0, 23, 8
	v_cmp_gt_u32_e64 s[28:29], s47, v18
	v_sub_u32_e32 v0, 0x71, v18
	v_cmp_eq_u32_e32 vcc, 0, v18
	v_cndmask_b32_e64 v0, 0, v0, s[28:29]
	v_mov_b32_e32 v2, 0x70
	v_cndmask_b32_e32 v20, v0, v2, vcc
	v_add_u32_e32 v2, 21, v20
	v_or_b32_e32 v1, 0x800000, v60
	v_lshlrev_b64 v[25:26], v2, -1
	v_cndmask_b32_e32 v0, v1, v60, vcc
	v_mov_b32_e32 v1, v61
	v_add_u32_e32 v2, 20, v20
	v_bfi_b32 v25, v25, 0, v0
	v_lshlrev_b64 v[27:28], v2, 1
	v_lshrrev_b64 v[0:1], v20, v[0:1]
	v_bfi_b32 v26, v26, 0, 0
	v_cmp_eq_u64_e64 s[28:29], v[25:26], v[27:28]
	v_mov_b32_e32 v2, v1
	v_mov_b32_e32 v1, v0
	s_and_saveexec_b64 s[48:49], s[28:29]
; %bb.7693:                             ;   in Loop: Header=BB4_7073 Depth=3
	v_bfe_u32 v1, v0, 21, 1
	v_add_co_u32_e64 v1, s[28:29], v0, v1
	v_add_co_u32_e64 v1, s[28:29], -1, v1
; %bb.7694:                             ;   in Loop: Header=BB4_7073 Depth=3
	s_or_b64 exec, exec, s[48:49]
	v_add_u32_e32 v2, 0xffffff81, v18
	v_mov_b32_e32 v18, 0xffffff82
	v_cndmask_b32_e32 v2, v2, v18, vcc
	v_lshrrev_b32_e32 v18, 23, v0
	v_add3_u32 v20, v20, v2, v18
	v_add_u32_e32 v18, 14, v20
	v_and_b32_e32 v1, 0x1fffff, v1
	v_add_u32_e32 v60, v1, v0
	v_cmp_ne_u32_e32 vcc, 0, v18
                                        ; implicit-def: $vgpr0_vgpr1
                                        ; implicit-def: $vgpr2
	s_and_saveexec_b64 s[28:29], vcc
	s_xor_b64 s[28:29], exec, s[28:29]
; %bb.7695:                             ;   in Loop: Header=BB4_7073 Depth=3
	v_cmp_lt_u64_e32 vcc, s[88:89], v[60:61]
	v_add_u32_e32 v0, 15, v20
	v_cndmask_b32_e32 v2, v18, v0, vcc
	v_cndmask_b32_e64 v0, 0, 1, vcc
	v_lshrrev_b64 v[0:1], v0, v[60:61]
; %bb.7696:                             ;   in Loop: Header=BB4_7073 Depth=3
	s_andn2_saveexec_b64 s[28:29], s[28:29]
; %bb.7697:                             ;   in Loop: Header=BB4_7073 Depth=3
	v_mov_b32_e32 v0, v60
	v_mov_b32_e32 v1, v61
	v_bfe_u32 v2, v60, 23, 1
; %bb.7698:                             ;   in Loop: Header=BB4_7073 Depth=3
	s_or_b64 exec, exec, s[28:29]
	v_lshrrev_b64 v[0:1], 21, v[0:1]
	v_cmp_gt_i32_e32 vcc, 32, v2
	v_cndmask_b32_e32 v1, 0, v1, vcc
	v_cndmask_b32_e32 v0, 3, v0, vcc
	v_cmp_ne_u64_e32 vcc, 0, v[0:1]
	v_cmp_ne_u32_e64 s[28:29], 0, v2
	s_or_b64 s[28:29], s[28:29], vcc
                                        ; implicit-def: $vgpr1
	s_and_saveexec_b64 vcc, s[28:29]
	s_xor_b64 s[28:29], exec, vcc
; %bb.7699:                             ;   in Loop: Header=BB4_7073 Depth=3
	v_min_i32_e32 v1, 31, v2
	v_lshl_or_b32 v1, v1, 2, v17
	v_and_or_b32 v1, v0, 3, v1
                                        ; implicit-def: $vgpr17
; %bb.7700:                             ;   in Loop: Header=BB4_7073 Depth=3
	s_andn2_saveexec_b64 s[28:29], s[28:29]
; %bb.7701:                             ;   in Loop: Header=BB4_7073 Depth=3
	v_mov_b32_e32 v1, v17
; %bb.7702:                             ;   in Loop: Header=BB4_7073 Depth=3
	s_or_b64 exec, exec, s[28:29]
.LBB4_7703:                             ;   in Loop: Header=BB4_7073 Depth=3
	s_or_b64 exec, exec, s[38:39]
                                        ; implicit-def: $vgpr17
.LBB4_7704:                             ;   in Loop: Header=BB4_7073 Depth=3
	s_andn2_saveexec_b64 s[28:29], s[36:37]
; %bb.7705:                             ;   in Loop: Header=BB4_7073 Depth=3
	v_or_b32_e32 v1, 0x7b, v17
; %bb.7706:                             ;   in Loop: Header=BB4_7073 Depth=3
	s_or_b64 exec, exec, s[28:29]
                                        ; implicit-def: $vgpr0
.LBB4_7707:                             ;   in Loop: Header=BB4_7073 Depth=3
	s_andn2_saveexec_b64 s[28:29], s[34:35]
	s_cbranch_execz .LBB4_7072
; %bb.7708:                             ;   in Loop: Header=BB4_7073 Depth=3
	v_cmp_ne_u64_e32 vcc, 0, v[60:61]
                                        ; implicit-def: $vgpr1
	s_and_saveexec_b64 s[34:35], vcc
	s_xor_b64 vcc, exec, s[34:35]
; %bb.7709:                             ;   in Loop: Header=BB4_7073 Depth=3
	v_or_b32_sdwa v1, v0, s44 dst_sel:DWORD dst_unused:UNUSED_PAD src0_sel:BYTE_3 src1_sel:DWORD
                                        ; implicit-def: $vgpr0
; %bb.7710:                             ;   in Loop: Header=BB4_7073 Depth=3
	s_andn2_saveexec_b64 s[34:35], vcc
	s_cbranch_execz .LBB4_7071
; %bb.7711:                             ;   in Loop: Header=BB4_7073 Depth=3
	v_cmp_lt_i32_e32 vcc, -1, v0
	v_mov_b32_e32 v0, 0x7c
	v_cndmask_b32_e32 v1, -4, v0, vcc
	s_branch .LBB4_7071
.LBB4_7712:                             ;   in Loop: Header=BB4_2871 Depth=2
	s_or_b64 exec, exec, s[30:31]
	buffer_load_dword v2, off, s[0:3], s33 offset:216 ; 4-byte Folded Reload
	buffer_load_dword v1, off, s[0:3], s33 offset:276 ; 4-byte Folded Reload
	;; [unrolled: 1-line block ×3, first 2 shown]
.LBB4_7713:                             ;   in Loop: Header=BB4_2871 Depth=2
	s_or_b64 exec, exec, s[42:43]
	s_waitcnt vmcnt(0)
	v_lshlrev_b32_e32 v0, 10, v1
	v_cmp_ne_u32_e32 vcc, v45, v0
	s_and_b64 exec, exec, vcc
	s_cbranch_execz .LBB4_7757
; %bb.7714:                             ;   in Loop: Header=BB4_2871 Depth=2
	v_ashrrev_i32_e32 v1, 31, v2
	v_lshrrev_b32_e32 v1, 26, v1
	v_add_u32_e32 v1, v2, v1
	v_and_b32_e32 v1, 0xffffffc0, v1
	v_sub_u32_e32 v1, v2, v1
	v_lshlrev_b32_e32 v2, 6, v38
	v_sub_u32_e32 v1, v1, v2
	v_add_u32_e32 v0, v0, v1
	v_sub_u32_e32 v9, v45, v0
	v_cmp_lt_i32_e32 vcc, 0, v9
	s_and_b64 exec, exec, vcc
	s_cbranch_execz .LBB4_7757
; %bb.7715:                             ;   in Loop: Header=BB4_2871 Depth=2
	v_add_u32_e32 v6, v0, v8
	s_trap 2
	ds_read_b128 v[0:3], v0
	v_ashrrev_i32_e32 v7, 31, v6
	s_mov_b64 s[42:43], 0
	s_waitcnt lgkmcnt(0)
	v_add_co_u32_e32 v0, vcc, v0, v6
	ds_read_b64 v[4:5], v0
	v_addc_co_u32_e32 v1, vcc, v1, v7, vcc
	v_add_co_u32_e32 v2, vcc, v2, v6
	v_addc_co_u32_e32 v3, vcc, v3, v7, vcc
	s_waitcnt lgkmcnt(0)
	v_add_co_u32_e32 v4, vcc, v4, v6
	v_addc_co_u32_e32 v5, vcc, v5, v7, vcc
	s_branch .LBB4_7718
.LBB4_7716:                             ;   in Loop: Header=BB4_7718 Depth=3
	s_or_b64 exec, exec, s[30:31]
.LBB4_7717:                             ;   in Loop: Header=BB4_7718 Depth=3
	s_or_b64 exec, exec, s[28:29]
	buffer_load_dword v6, off, s[0:3], s33 offset:72 ; 4-byte Folded Reload
	s_waitcnt vmcnt(0)
	v_add_co_u32_e32 v0, vcc, v0, v6
	v_addc_co_u32_e32 v1, vcc, 0, v1, vcc
	v_add_co_u32_e32 v2, vcc, v2, v6
	v_addc_co_u32_e32 v3, vcc, 0, v3, vcc
	v_sub_u32_e32 v9, v9, v6
	v_cmp_gt_i32_e32 vcc, 1, v9
	flat_store_byte v[4:5], v7 glc slc
	s_or_b64 s[42:43], vcc, s[42:43]
	v_add_co_u32_e32 v4, vcc, v4, v6
	v_addc_co_u32_e32 v5, vcc, 0, v5, vcc
	s_andn2_b64 exec, exec, s[42:43]
	s_cbranch_execz .LBB4_7757
.LBB4_7718:                             ;   Parent Loop BB4_47 Depth=1
                                        ;     Parent Loop BB4_2871 Depth=2
                                        ; =>    This Inner Loop Header: Depth=3
	flat_load_sbyte v7, v[0:1] glc slc
	flat_load_sbyte v6, v[2:3] glc slc
	v_mov_b32_e32 v10, 0
	v_mov_b32_e32 v8, 0
	s_waitcnt vmcnt(0) lgkmcnt(0)
	v_cmp_ne_u16_e32 vcc, 0, v7
	s_and_saveexec_b64 s[28:29], vcc
	s_cbranch_execz .LBB4_7726
; %bb.7719:                             ;   in Loop: Header=BB4_7718 Depth=3
	v_cmp_ne_u16_e32 vcc, s70, v7
	v_bfrev_b32_e32 v8, 1
	s_and_saveexec_b64 s[30:31], vcc
	s_cbranch_execz .LBB4_7725
; %bb.7720:                             ;   in Loop: Header=BB4_7718 Depth=3
	v_and_b32_e32 v8, 0x7c, v7
	v_and_b32_e32 v11, 3, v7
	v_cmp_ne_u32_e32 vcc, s71, v8
                                        ; implicit-def: $vgpr8
	s_and_saveexec_b64 s[34:35], vcc
	s_xor_b64 s[34:35], exec, s[34:35]
	s_cbranch_execz .LBB4_7722
; %bb.7721:                             ;   in Loop: Header=BB4_7718 Depth=3
	v_and_b32_e32 v12, 0xff, v7
	v_bfe_u32 v14, v12, 2, 5
	v_ffbh_u32_e32 v12, v11
	v_min_u32_e32 v15, 32, v12
	v_mov_b32_e32 v8, v61
	v_subrev_u32_e32 v12, 29, v15
	v_lshlrev_b64 v[12:13], v12, v[7:8]
	v_sub_u32_e32 v8, 30, v15
	v_cmp_eq_u32_e32 vcc, 0, v14
	v_and_b32_e32 v12, 3, v12
	v_cndmask_b32_e32 v8, v14, v8, vcc
	v_and_b32_sdwa v7, sext(v7), s80 dst_sel:DWORD dst_unused:UNUSED_PAD src0_sel:WORD_0 src1_sel:DWORD
	v_cndmask_b32_e32 v11, v11, v12, vcc
	v_lshl_add_u32 v7, v8, 23, v7
	v_lshl_or_b32 v7, v11, 21, v7
	v_add_u32_e32 v8, 0x38000000, v7
                                        ; implicit-def: $vgpr11
                                        ; implicit-def: $vgpr7
.LBB4_7722:                             ;   in Loop: Header=BB4_7718 Depth=3
	s_andn2_saveexec_b64 s[34:35], s[34:35]
; %bb.7723:                             ;   in Loop: Header=BB4_7718 Depth=3
	v_cmp_lt_i16_e32 vcc, -1, v7
	v_mov_b32_e32 v7, 0xff800000
	v_cndmask_b32_e32 v7, v7, v47, vcc
	v_cmp_eq_u32_e32 vcc, 0, v11
	v_mov_b32_e32 v8, 0x7f800001
	v_cndmask_b32_e32 v8, v8, v7, vcc
; %bb.7724:                             ;   in Loop: Header=BB4_7718 Depth=3
	s_or_b64 exec, exec, s[34:35]
.LBB4_7725:                             ;   in Loop: Header=BB4_7718 Depth=3
	s_or_b64 exec, exec, s[30:31]
.LBB4_7726:                             ;   in Loop: Header=BB4_7718 Depth=3
	s_or_b64 exec, exec, s[28:29]
	v_cmp_ne_u16_e32 vcc, 0, v6
	s_and_saveexec_b64 s[28:29], vcc
	s_cbranch_execz .LBB4_7734
; %bb.7727:                             ;   in Loop: Header=BB4_7718 Depth=3
	v_cmp_ne_u16_e32 vcc, s70, v6
	v_bfrev_b32_e32 v10, 1
	s_and_saveexec_b64 s[30:31], vcc
	s_cbranch_execz .LBB4_7733
; %bb.7728:                             ;   in Loop: Header=BB4_7718 Depth=3
	v_and_b32_e32 v7, 0x7c, v6
	v_and_b32_e32 v11, 3, v6
	v_cmp_ne_u32_e32 vcc, s71, v7
                                        ; implicit-def: $vgpr10
	s_and_saveexec_b64 s[34:35], vcc
	s_xor_b64 s[34:35], exec, s[34:35]
	s_cbranch_execz .LBB4_7730
; %bb.7729:                             ;   in Loop: Header=BB4_7718 Depth=3
	v_ffbh_u32_e32 v13, v11
	v_and_b32_e32 v7, 0xff, v6
	v_min_u32_e32 v13, 32, v13
	v_bfe_u32 v10, v7, 2, 5
	v_mov_b32_e32 v7, v61
	v_subrev_u32_e32 v14, 29, v13
	v_and_b32_sdwa v12, sext(v6), s80 dst_sel:DWORD dst_unused:UNUSED_PAD src0_sel:WORD_0 src1_sel:DWORD
	v_lshlrev_b64 v[6:7], v14, v[6:7]
	v_sub_u32_e32 v7, 30, v13
	v_cmp_eq_u32_e32 vcc, 0, v10
	v_and_b32_e32 v6, 3, v6
	v_cndmask_b32_e32 v7, v10, v7, vcc
	v_cndmask_b32_e32 v6, v11, v6, vcc
	v_lshl_add_u32 v7, v7, 23, v12
	v_lshl_or_b32 v6, v6, 21, v7
	v_add_u32_e32 v10, 0x38000000, v6
                                        ; implicit-def: $vgpr6
                                        ; implicit-def: $vgpr11
.LBB4_7730:                             ;   in Loop: Header=BB4_7718 Depth=3
	s_andn2_saveexec_b64 s[34:35], s[34:35]
; %bb.7731:                             ;   in Loop: Header=BB4_7718 Depth=3
	v_cmp_lt_i16_e32 vcc, -1, v6
	v_mov_b32_e32 v6, 0xff800000
	v_cndmask_b32_e32 v6, v6, v47, vcc
	v_cmp_eq_u32_e32 vcc, 0, v11
	v_mov_b32_e32 v7, 0x7f800001
	v_cndmask_b32_e32 v10, v7, v6, vcc
; %bb.7732:                             ;   in Loop: Header=BB4_7718 Depth=3
	s_or_b64 exec, exec, s[34:35]
.LBB4_7733:                             ;   in Loop: Header=BB4_7718 Depth=3
	s_or_b64 exec, exec, s[30:31]
.LBB4_7734:                             ;   in Loop: Header=BB4_7718 Depth=3
	s_or_b64 exec, exec, s[28:29]
	v_mul_f32_e32 v6, v8, v10
	v_and_b32_e32 v7, 0x7f800000, v6
	v_mov_b32_e32 v8, v61
	v_cmp_ne_u64_e32 vcc, s[62:63], v[7:8]
	v_and_b32_e32 v60, 0x7fffff, v6
                                        ; implicit-def: $vgpr7
	s_and_saveexec_b64 s[28:29], vcc
	s_xor_b64 s[30:31], exec, s[28:29]
	s_cbranch_execz .LBB4_7752
; %bb.7735:                             ;   in Loop: Header=BB4_7718 Depth=3
	v_and_b32_e32 v7, 0x7fffffff, v6
	v_mov_b32_e32 v8, v61
	v_cmp_gt_u64_e32 vcc, s[78:79], v[7:8]
	v_and_b32_sdwa v10, v6, s81 dst_sel:DWORD dst_unused:UNUSED_PAD src0_sel:BYTE_3 src1_sel:DWORD
                                        ; implicit-def: $vgpr7
	s_and_saveexec_b64 s[28:29], vcc
	s_xor_b64 s[34:35], exec, s[28:29]
	s_cbranch_execz .LBB4_7749
; %bb.7736:                             ;   in Loop: Header=BB4_7718 Depth=3
	v_cmp_ne_u32_e32 vcc, 0, v6
	v_mov_b32_e32 v7, 0
	s_and_saveexec_b64 s[36:37], vcc
	s_cbranch_execz .LBB4_7748
; %bb.7737:                             ;   in Loop: Header=BB4_7718 Depth=3
	v_bfe_u32 v11, v6, 23, 8
	v_cmp_gt_u32_e64 s[28:29], s47, v11
	v_sub_u32_e32 v6, 0x71, v11
	v_cmp_eq_u32_e32 vcc, 0, v11
	v_cndmask_b32_e64 v6, 0, v6, s[28:29]
	v_mov_b32_e32 v8, 0x70
	v_cndmask_b32_e32 v12, v6, v8, vcc
	v_add_u32_e32 v8, 21, v12
	v_or_b32_e32 v7, 0x800000, v60
	v_lshlrev_b64 v[13:14], v8, -1
	v_cndmask_b32_e32 v6, v7, v60, vcc
	v_mov_b32_e32 v7, v61
	v_add_u32_e32 v8, 20, v12
	v_bfi_b32 v13, v13, 0, v6
	v_lshlrev_b64 v[15:16], v8, 1
	v_lshrrev_b64 v[6:7], v12, v[6:7]
	v_bfi_b32 v14, v14, 0, 0
	v_cmp_eq_u64_e64 s[28:29], v[13:14], v[15:16]
	v_mov_b32_e32 v8, v7
	v_mov_b32_e32 v7, v6
	s_and_saveexec_b64 s[38:39], s[28:29]
; %bb.7738:                             ;   in Loop: Header=BB4_7718 Depth=3
	v_bfe_u32 v7, v6, 21, 1
	v_add_co_u32_e64 v7, s[28:29], v6, v7
	v_add_co_u32_e64 v7, s[28:29], -1, v7
; %bb.7739:                             ;   in Loop: Header=BB4_7718 Depth=3
	s_or_b64 exec, exec, s[38:39]
	v_add_u32_e32 v8, 0xffffff81, v11
	v_mov_b32_e32 v11, 0xffffff82
	v_cndmask_b32_e32 v8, v8, v11, vcc
	v_lshrrev_b32_e32 v11, 23, v6
	v_add3_u32 v12, v12, v8, v11
	v_add_u32_e32 v11, 14, v12
	v_and_b32_e32 v7, 0x1fffff, v7
	v_add_u32_e32 v60, v7, v6
	v_cmp_ne_u32_e32 vcc, 0, v11
                                        ; implicit-def: $vgpr6_vgpr7
                                        ; implicit-def: $vgpr8
	s_and_saveexec_b64 s[28:29], vcc
	s_xor_b64 s[28:29], exec, s[28:29]
; %bb.7740:                             ;   in Loop: Header=BB4_7718 Depth=3
	v_cmp_lt_u64_e32 vcc, s[88:89], v[60:61]
	v_add_u32_e32 v6, 15, v12
	v_cndmask_b32_e32 v8, v11, v6, vcc
	v_cndmask_b32_e64 v6, 0, 1, vcc
	v_lshrrev_b64 v[6:7], v6, v[60:61]
; %bb.7741:                             ;   in Loop: Header=BB4_7718 Depth=3
	s_andn2_saveexec_b64 s[28:29], s[28:29]
; %bb.7742:                             ;   in Loop: Header=BB4_7718 Depth=3
	v_mov_b32_e32 v6, v60
	v_mov_b32_e32 v7, v61
	v_bfe_u32 v8, v60, 23, 1
; %bb.7743:                             ;   in Loop: Header=BB4_7718 Depth=3
	s_or_b64 exec, exec, s[28:29]
	v_lshrrev_b64 v[6:7], 21, v[6:7]
	v_cmp_gt_i32_e32 vcc, 32, v8
	v_cndmask_b32_e32 v7, 0, v7, vcc
	v_cndmask_b32_e32 v6, 3, v6, vcc
	v_cmp_ne_u64_e32 vcc, 0, v[6:7]
	v_cmp_ne_u32_e64 s[28:29], 0, v8
	s_or_b64 s[28:29], s[28:29], vcc
                                        ; implicit-def: $vgpr7
	s_and_saveexec_b64 vcc, s[28:29]
	s_xor_b64 s[28:29], exec, vcc
; %bb.7744:                             ;   in Loop: Header=BB4_7718 Depth=3
	v_min_i32_e32 v7, 31, v8
	v_lshl_or_b32 v7, v7, 2, v10
	v_and_or_b32 v7, v6, 3, v7
                                        ; implicit-def: $vgpr10
; %bb.7745:                             ;   in Loop: Header=BB4_7718 Depth=3
	s_andn2_saveexec_b64 s[28:29], s[28:29]
; %bb.7746:                             ;   in Loop: Header=BB4_7718 Depth=3
	v_mov_b32_e32 v7, v10
; %bb.7747:                             ;   in Loop: Header=BB4_7718 Depth=3
	s_or_b64 exec, exec, s[28:29]
.LBB4_7748:                             ;   in Loop: Header=BB4_7718 Depth=3
	s_or_b64 exec, exec, s[36:37]
                                        ; implicit-def: $vgpr10
.LBB4_7749:                             ;   in Loop: Header=BB4_7718 Depth=3
	s_andn2_saveexec_b64 s[28:29], s[34:35]
; %bb.7750:                             ;   in Loop: Header=BB4_7718 Depth=3
	v_or_b32_e32 v7, 0x7b, v10
; %bb.7751:                             ;   in Loop: Header=BB4_7718 Depth=3
	s_or_b64 exec, exec, s[28:29]
                                        ; implicit-def: $vgpr6
.LBB4_7752:                             ;   in Loop: Header=BB4_7718 Depth=3
	s_andn2_saveexec_b64 s[28:29], s[30:31]
	s_cbranch_execz .LBB4_7717
; %bb.7753:                             ;   in Loop: Header=BB4_7718 Depth=3
	v_cmp_ne_u64_e32 vcc, 0, v[60:61]
                                        ; implicit-def: $vgpr7
	s_and_saveexec_b64 s[30:31], vcc
	s_xor_b64 vcc, exec, s[30:31]
; %bb.7754:                             ;   in Loop: Header=BB4_7718 Depth=3
	v_or_b32_sdwa v7, v6, s44 dst_sel:DWORD dst_unused:UNUSED_PAD src0_sel:BYTE_3 src1_sel:DWORD
                                        ; implicit-def: $vgpr6
; %bb.7755:                             ;   in Loop: Header=BB4_7718 Depth=3
	s_andn2_saveexec_b64 s[30:31], vcc
	s_cbranch_execz .LBB4_7716
; %bb.7756:                             ;   in Loop: Header=BB4_7718 Depth=3
	v_cmp_lt_i32_e32 vcc, -1, v6
	v_mov_b32_e32 v6, 0x7c
	v_cndmask_b32_e32 v7, -4, v6, vcc
	s_branch .LBB4_7716
.LBB4_7757:                             ;   in Loop: Header=BB4_2871 Depth=2
	s_or_b64 exec, exec, s[40:41]
	buffer_load_dword v9, off, s[0:3], s33 offset:224 ; 4-byte Folded Reload
	buffer_load_dword v10, off, s[0:3], s33 offset:192 ; 4-byte Folded Reload
	;; [unrolled: 1-line block ×4, first 2 shown]
.LBB4_7758:                             ;   in Loop: Header=BB4_2871 Depth=2
	buffer_load_dword v0, off, s[0:3], s33 offset:152 ; 4-byte Folded Reload
	s_waitcnt vmcnt(0)
	v_cmp_lt_i32_e64 s[28:29], 0, v0
	s_and_saveexec_b64 s[40:41], s[10:11]
	s_cbranch_execz .LBB4_2947
.LBB4_7759:                             ;   in Loop: Header=BB4_2871 Depth=2
	s_and_saveexec_b64 s[42:43], s[58:59]
	s_xor_b64 s[42:43], exec, s[42:43]
	s_cbranch_execz .LBB4_7774
; %bb.7760:                             ;   in Loop: Header=BB4_2871 Depth=2
	s_and_saveexec_b64 s[30:31], s[16:17]
	s_cbranch_execz .LBB4_7773
; %bb.7761:                             ;   in Loop: Header=BB4_2871 Depth=2
	s_mov_b64 s[36:37], exec
	v_mbcnt_lo_u32_b32 v0, s36, 0
	v_mbcnt_hi_u32_b32 v0, s37, v0
	v_cmp_eq_u32_e32 vcc, 0, v0
	s_waitcnt vmcnt(0) lgkmcnt(0)
	buffer_wbinvl1_vol
	s_and_saveexec_b64 s[34:35], vcc
	s_cbranch_execz .LBB4_7763
; %bb.7762:                             ;   in Loop: Header=BB4_2871 Depth=2
	s_bcnt1_i32_b64 s8, s[36:37]
	v_mov_b32_e32 v0, s8
	v_mov_b32_e32 v1, v61
	ds_add_u64 v0, v[0:1]
	s_trap 2
.LBB4_7763:                             ;   in Loop: Header=BB4_2871 Depth=2
	s_or_b64 exec, exec, s[34:35]
	s_trap 2
	ds_read_b64 v[0:1], v0
	s_waitcnt lgkmcnt(0)
	v_add_co_u32_e32 v40, vcc, v40, v21
	v_addc_co_u32_e32 v41, vcc, 0, v41, vcc
	v_cmp_lt_u64_e32 vcc, v[0:1], v[40:41]
	s_and_saveexec_b64 s[34:35], vcc
	s_cbranch_execz .LBB4_7772
; %bb.7764:                             ;   in Loop: Header=BB4_2871 Depth=2
	s_mov_b32 s8, 0
	s_mov_b64 s[36:37], 0
                                        ; implicit-def: $sgpr38_sgpr39
                                        ; implicit-def: $sgpr48_sgpr49
	s_branch .LBB4_7766
.LBB4_7765:                             ;   in Loop: Header=BB4_7766 Depth=3
	s_or_b64 exec, exec, s[52:53]
	s_and_b64 vcc, exec, vcc
	s_or_b64 s[36:37], vcc, s[36:37]
	s_andn2_b64 vcc, s[38:39], exec
	s_and_b64 s[38:39], s[48:49], exec
	s_or_b64 s[38:39], vcc, s[38:39]
	s_andn2_b64 exec, exec, s[36:37]
	s_cbranch_execz .LBB4_7770
.LBB4_7766:                             ;   Parent Loop BB4_47 Depth=1
                                        ;     Parent Loop BB4_2871 Depth=2
                                        ; =>    This Inner Loop Header: Depth=3
	s_add_i32 s8, s8, 1
	s_cmpk_lg_i32 s8, 0x2710
	s_cselect_b64 s[50:51], -1, 0
	s_and_b64 vcc, exec, s[50:51]
	s_cbranch_vccz .LBB4_7768
; %bb.7767:                             ;   in Loop: Header=BB4_7766 Depth=3
	s_mov_b64 vcc, -1
	s_or_b64 s[48:49], s[48:49], exec
	s_and_saveexec_b64 s[52:53], s[50:51]
	s_cbranch_execz .LBB4_7765
	s_branch .LBB4_7769
.LBB4_7768:                             ;   in Loop: Header=BB4_7766 Depth=3
	s_trap 2
	ds_read_b64 v[0:1], v0
	s_andn2_b64 s[50:51], s[50:51], exec
	s_mov_b32 s8, 0
	s_waitcnt lgkmcnt(0)
	flat_load_dword v0, v[0:1] glc
	s_waitcnt vmcnt(0) lgkmcnt(0)
	buffer_wbinvl1_vol
	v_cmp_eq_u32_e32 vcc, 0, v0
	s_and_b64 vcc, vcc, exec
	s_or_b64 s[50:51], s[50:51], vcc
	s_mov_b64 vcc, -1
	s_or_b64 s[48:49], s[48:49], exec
	s_and_saveexec_b64 s[52:53], s[50:51]
	s_cbranch_execz .LBB4_7765
.LBB4_7769:                             ;   in Loop: Header=BB4_7766 Depth=3
	s_sleep 1
	s_trap 2
	ds_read_b64 v[0:1], v0
	s_waitcnt lgkmcnt(0)
	s_andn2_b64 s[48:49], s[48:49], exec
	v_cmp_ge_u64_e32 vcc, v[0:1], v[40:41]
	s_orn2_b64 vcc, vcc, exec
	s_branch .LBB4_7765
.LBB4_7770:                             ;   in Loop: Header=BB4_2871 Depth=2
	s_or_b64 exec, exec, s[36:37]
	s_and_saveexec_b64 vcc, s[38:39]
	s_xor_b64 vcc, exec, vcc
	s_cbranch_execz .LBB4_7772
; %bb.7771:                             ;   in Loop: Header=BB4_2871 Depth=2
	v_mov_b32_e32 v0, 1
	ds_write_b32 v0, v0
	s_trap 2
.LBB4_7772:                             ;   in Loop: Header=BB4_2871 Depth=2
	s_or_b64 exec, exec, s[34:35]
	;;#ASMSTART
	s_wakeup
	;;#ASMEND
.LBB4_7773:                             ;   in Loop: Header=BB4_2871 Depth=2
	s_or_b64 exec, exec, s[30:31]
.LBB4_7774:                             ;   in Loop: Header=BB4_2871 Depth=2
	s_andn2_saveexec_b64 s[42:43], s[42:43]
	s_cbranch_execz .LBB4_7776
; %bb.7775:                             ;   in Loop: Header=BB4_2871 Depth=2
	s_waitcnt vmcnt(0) lgkmcnt(0)
	buffer_wbinvl1_vol
	s_barrier
.LBB4_7776:                             ;   in Loop: Header=BB4_2871 Depth=2
	s_or_b64 exec, exec, s[42:43]
	s_or_b64 exec, exec, s[40:41]
                                        ; implicit-def: $vgpr0
	s_and_saveexec_b64 s[40:41], s[24:25]
	s_xor_b64 s[40:41], exec, s[40:41]
	s_cbranch_execnz .LBB4_2948
.LBB4_7777:                             ;   in Loop: Header=BB4_2871 Depth=2
	s_andn2_saveexec_b64 s[28:29], s[40:41]
	s_cbranch_execz .LBB4_7796
.LBB4_7778:                             ;   in Loop: Header=BB4_2871 Depth=2
	s_and_saveexec_b64 s[40:41], s[58:59]
	s_xor_b64 s[40:41], exec, s[40:41]
	s_cbranch_execz .LBB4_7793
; %bb.7779:                             ;   in Loop: Header=BB4_2871 Depth=2
	s_and_saveexec_b64 s[42:43], s[16:17]
	s_cbranch_execz .LBB4_7792
; %bb.7780:                             ;   in Loop: Header=BB4_2871 Depth=2
	s_mov_b64 s[34:35], exec
	v_mbcnt_lo_u32_b32 v0, s34, 0
	v_mbcnt_hi_u32_b32 v0, s35, v0
	v_cmp_eq_u32_e32 vcc, 0, v0
	;;#ASMSTART
	s_waitcnt lgkmcnt(0) vmcnt(0)
	;;#ASMEND
	s_and_saveexec_b64 s[30:31], vcc
	s_cbranch_execz .LBB4_7782
; %bb.7781:                             ;   in Loop: Header=BB4_2871 Depth=2
	s_bcnt1_i32_b64 s8, s[34:35]
	v_mov_b32_e32 v0, s8
	v_mov_b32_e32 v1, v61
	s_waitcnt lgkmcnt(0)
	ds_add_u64 v0, v[0:1]
	s_trap 2
.LBB4_7782:                             ;   in Loop: Header=BB4_2871 Depth=2
	s_or_b64 exec, exec, s[30:31]
	s_trap 2
	ds_read_b64 v[0:1], v0
	s_waitcnt lgkmcnt(0)
	v_add_co_u32_e32 v40, vcc, v40, v21
	v_addc_co_u32_e32 v41, vcc, 0, v41, vcc
	v_cmp_lt_u64_e32 vcc, v[0:1], v[40:41]
	s_and_saveexec_b64 s[30:31], vcc
	s_cbranch_execz .LBB4_7791
; %bb.7783:                             ;   in Loop: Header=BB4_2871 Depth=2
	s_mov_b32 s8, 0
	s_mov_b64 s[34:35], 0
                                        ; implicit-def: $sgpr36_sgpr37
                                        ; implicit-def: $sgpr38_sgpr39
	s_branch .LBB4_7785
.LBB4_7784:                             ;   in Loop: Header=BB4_7785 Depth=3
	s_or_b64 exec, exec, s[50:51]
	s_and_b64 vcc, exec, vcc
	s_or_b64 s[34:35], vcc, s[34:35]
	s_andn2_b64 vcc, s[36:37], exec
	s_and_b64 s[36:37], s[38:39], exec
	s_or_b64 s[36:37], vcc, s[36:37]
	s_andn2_b64 exec, exec, s[34:35]
	s_cbranch_execz .LBB4_7789
.LBB4_7785:                             ;   Parent Loop BB4_47 Depth=1
                                        ;     Parent Loop BB4_2871 Depth=2
                                        ; =>    This Inner Loop Header: Depth=3
	s_add_i32 s8, s8, 1
	s_cmpk_lg_i32 s8, 0x2710
	s_cselect_b64 s[48:49], -1, 0
	s_and_b64 vcc, exec, s[48:49]
	s_cbranch_vccz .LBB4_7787
; %bb.7786:                             ;   in Loop: Header=BB4_7785 Depth=3
	s_mov_b64 vcc, -1
	s_or_b64 s[38:39], s[38:39], exec
	s_and_saveexec_b64 s[50:51], s[48:49]
	s_cbranch_execz .LBB4_7784
	s_branch .LBB4_7788
.LBB4_7787:                             ;   in Loop: Header=BB4_7785 Depth=3
	s_trap 2
	ds_read_b64 v[0:1], v0
	s_andn2_b64 s[48:49], s[48:49], exec
	s_mov_b32 s8, 0
	s_waitcnt vmcnt(0) lgkmcnt(0)
	flat_load_dword v0, v[0:1] glc
	s_waitcnt vmcnt(0) lgkmcnt(0)
	buffer_wbinvl1_vol
	v_cmp_eq_u32_e32 vcc, 0, v0
	s_and_b64 vcc, vcc, exec
	s_or_b64 s[48:49], s[48:49], vcc
	s_mov_b64 vcc, -1
	s_or_b64 s[38:39], s[38:39], exec
	s_and_saveexec_b64 s[50:51], s[48:49]
	s_cbranch_execz .LBB4_7784
.LBB4_7788:                             ;   in Loop: Header=BB4_7785 Depth=3
	s_sleep 1
	s_trap 2
	ds_read_b64 v[0:1], v0
	s_waitcnt lgkmcnt(0)
	s_andn2_b64 s[38:39], s[38:39], exec
	v_cmp_ge_u64_e32 vcc, v[0:1], v[40:41]
	s_orn2_b64 vcc, vcc, exec
	s_branch .LBB4_7784
.LBB4_7789:                             ;   in Loop: Header=BB4_2871 Depth=2
	s_or_b64 exec, exec, s[34:35]
	s_and_saveexec_b64 vcc, s[36:37]
	s_xor_b64 vcc, exec, vcc
	s_cbranch_execz .LBB4_7791
; %bb.7790:                             ;   in Loop: Header=BB4_2871 Depth=2
	v_mov_b32_e32 v0, 1
	ds_write_b32 v0, v0
	s_trap 2
.LBB4_7791:                             ;   in Loop: Header=BB4_2871 Depth=2
	s_or_b64 exec, exec, s[30:31]
	;;#ASMSTART
	s_wakeup
	;;#ASMEND
.LBB4_7792:                             ;   in Loop: Header=BB4_2871 Depth=2
	s_or_b64 exec, exec, s[42:43]
.LBB4_7793:                             ;   in Loop: Header=BB4_2871 Depth=2
	s_andn2_saveexec_b64 s[40:41], s[40:41]
	s_cbranch_execz .LBB4_7795
; %bb.7794:                             ;   in Loop: Header=BB4_2871 Depth=2
	;;#ASMSTART
	s_waitcnt lgkmcnt(0) vmcnt(0)
	;;#ASMEND
	s_waitcnt vmcnt(0) lgkmcnt(0)
	s_barrier
.LBB4_7795:                             ;   in Loop: Header=BB4_2871 Depth=2
	s_or_b64 exec, exec, s[40:41]
	v_and_b32_e32 v0, 16, v46
.LBB4_7796:                             ;   in Loop: Header=BB4_2871 Depth=2
	s_or_b64 exec, exec, s[28:29]
	v_cmp_ne_u32_e32 vcc, 0, v0
	s_xor_b64 s[28:29], s[12:13], -1
	s_and_b64 s[40:41], vcc, s[28:29]
	s_and_saveexec_b64 s[28:29], s[40:41]
	s_cbranch_execz .LBB4_7798
; %bb.7797:                             ;   in Loop: Header=BB4_2871 Depth=2
	buffer_load_dword v0, off, s[0:3], s33 offset:104 ; 4-byte Folded Reload
	buffer_load_dword v1, off, s[0:3], s33 offset:108 ; 4-byte Folded Reload
	v_mov_b32_e32 v2, 1
	s_waitcnt vmcnt(0)
	flat_store_dword v[0:1], v2
.LBB4_7798:                             ;   in Loop: Header=BB4_2871 Depth=2
	s_or_b64 exec, exec, s[28:29]
	v_and_b32_e32 v0, 48, v46
	v_cmp_ne_u32_e32 vcc, 0, v0
	s_and_saveexec_b64 s[28:29], vcc
	s_cbranch_execnz .LBB4_7799
; %bb.8397:                             ;   in Loop: Header=BB4_2871 Depth=2
	s_getpc_b64 s[98:99]
.Lpost_getpc11:
	s_add_u32 s98, s98, (.LBB4_2870-.Lpost_getpc11)&4294967295
	s_addc_u32 s99, s99, (.LBB4_2870-.Lpost_getpc11)>>32
	s_setpc_b64 s[98:99]
.LBB4_7799:                             ;   in Loop: Header=BB4_2871 Depth=2
	buffer_load_dword v0, off, s[0:3], s33 offset:56 ; 4-byte Folded Reload
	buffer_load_dword v1, off, s[0:3], s33 offset:60 ; 4-byte Folded Reload
	s_waitcnt vmcnt(0)
	v_add_co_u32_e32 v0, vcc, 2, v0
	v_addc_co_u32_e32 v1, vcc, 0, v1, vcc
	buffer_store_dword v0, off, s[0:3], s33 offset:56 ; 4-byte Folded Spill
	s_nop 0
	buffer_store_dword v1, off, s[0:3], s33 offset:60 ; 4-byte Folded Spill
	flat_store_dwordx2 v[32:33], v[0:1]
; %bb.8385:                             ;   in Loop: Header=BB4_2871 Depth=2
	s_getpc_b64 s[98:99]
.Lpost_getpc5:
	s_add_u32 s98, s98, (.LBB4_2870-.Lpost_getpc5)&4294967295
	s_addc_u32 s99, s99, (.LBB4_2870-.Lpost_getpc5)>>32
	s_setpc_b64 s[98:99]
.LBB4_7800:                             ;   in Loop: Header=BB4_47 Depth=1
	s_or_b64 exec, exec, s[90:91]
	v_cmp_gt_i32_e32 vcc, 2, v2
	s_and_saveexec_b64 s[40:41], vcc
	s_cbranch_execz .LBB4_7876
.LBB4_7801:                             ;   in Loop: Header=BB4_47 Depth=1
	v_cmp_eq_u32_e64 s[90:91], 0, v2
	s_mov_b64 s[42:43], 0
	s_branch .LBB4_7803
.LBB4_7802:                             ;   in Loop: Header=BB4_7803 Depth=2
	s_or_b64 exec, exec, s[28:29]
	v_add_u32_e32 v12, v10, v12
	s_mov_b64 s[90:91], 0
	s_andn2_b64 exec, exec, s[42:43]
	s_cbranch_execz .LBB4_7877
.LBB4_7803:                             ;   Parent Loop BB4_47 Depth=1
                                        ; =>  This Loop Header: Depth=2
                                        ;       Child Loop BB4_7809 Depth 3
                                        ;       Child Loop BB4_7837 Depth 3
	;; [unrolled: 1-line block ×3, first 2 shown]
	v_sub_u32_e32 v0, v9, v12
	v_min_i32_e32 v10, v10, v0
	v_and_b32_e32 v0, 12, v46
	v_cmp_ne_u32_e32 vcc, 0, v0
	s_and_saveexec_b64 s[92:93], vcc
	s_cbranch_execz .LBB4_7829
; %bb.7804:                             ;   in Loop: Header=BB4_7803 Depth=2
	buffer_load_dword v0, off, s[0:3], s33 offset:56 ; 4-byte Folded Reload
	buffer_load_dword v1, off, s[0:3], s33 offset:60 ; 4-byte Folded Reload
	v_and_b32_e32 v8, 8, v46
	s_waitcnt lgkmcnt(0)
	v_add_co_u32_e32 v2, vcc, v48, v8
	v_addc_co_u32_e32 v3, vcc, 0, v49, vcc
	s_waitcnt vmcnt(0)
	v_add_co_u32_e32 v0, vcc, 2, v0
	v_addc_co_u32_e32 v1, vcc, 0, v1, vcc
	v_cmp_lt_u64_e32 vcc, v[2:3], v[0:1]
	s_and_saveexec_b64 s[94:95], vcc
	s_cbranch_execz .LBB4_7816
; %bb.7805:                             ;   in Loop: Header=BB4_7803 Depth=2
	v_and_b32_e32 v2, 64, v46
	s_mov_b32 s8, 0
	v_cmp_eq_u32_e32 vcc, 0, v2
	s_mov_b64 s[30:31], 0
                                        ; implicit-def: $sgpr34_sgpr35
                                        ; implicit-def: $sgpr36_sgpr37
                                        ; implicit-def: $sgpr38_sgpr39
	s_branch .LBB4_7809
.LBB4_7806:                             ;   in Loop: Header=BB4_7809 Depth=3
	s_waitcnt vmcnt(0) lgkmcnt(0)
	v_add_co_u32_e64 v3, s[28:29], v48, v8
	v_addc_co_u32_e64 v4, s[28:29], 0, v49, s[28:29]
	v_cmp_ge_u64_e64 s[28:29], v[3:4], v[0:1]
	s_or_b64 s[52:53], s[52:53], exec
	s_orn2_b64 s[50:51], s[28:29], exec
.LBB4_7807:                             ;   in Loop: Header=BB4_7809 Depth=3
	s_or_b64 exec, exec, s[64:65]
	s_andn2_b64 s[28:29], s[38:39], exec
	s_and_b64 s[38:39], s[52:53], exec
	s_or_b64 s[38:39], s[28:29], s[38:39]
	s_andn2_b64 s[28:29], s[36:37], exec
	s_and_b64 s[36:37], s[50:51], exec
	s_or_b64 s[36:37], s[28:29], s[36:37]
.LBB4_7808:                             ;   in Loop: Header=BB4_7809 Depth=3
	s_or_b64 exec, exec, s[48:49]
	s_and_b64 s[28:29], exec, s[36:37]
	s_or_b64 s[30:31], s[28:29], s[30:31]
	s_andn2_b64 s[28:29], s[34:35], exec
	s_and_b64 s[34:35], s[38:39], exec
	s_or_b64 s[34:35], s[28:29], s[34:35]
	s_andn2_b64 exec, exec, s[30:31]
	s_cbranch_execz .LBB4_7813
.LBB4_7809:                             ;   Parent Loop BB4_47 Depth=1
                                        ;     Parent Loop BB4_7803 Depth=2
                                        ; =>    This Inner Loop Header: Depth=3
	s_sleep 1
	s_waitcnt vmcnt(0) lgkmcnt(0)
	flat_load_dwordx2 v[48:49], v[32:33] glc
	s_or_b64 s[38:39], s[38:39], exec
	s_or_b64 s[36:37], s[36:37], exec
                                        ; implicit-def: $vgpr2
	s_and_saveexec_b64 s[48:49], vcc
	s_cbranch_execz .LBB4_7808
; %bb.7810:                             ;   in Loop: Header=BB4_7809 Depth=3
	s_cmpk_lt_i32 s8, 0x270f
	s_cselect_b64 s[54:55], -1, 0
	s_cmpk_gt_i32 s8, 0x270e
	s_mov_b64 s[50:51], -1
	s_cbranch_scc0 .LBB4_7812
; %bb.7811:                             ;   in Loop: Header=BB4_7809 Depth=3
	s_trap 2
	ds_read_b64 v[2:3], v0
	s_andn2_b64 s[54:55], s[54:55], exec
	s_mov_b32 s8, 0
	s_mov_b64 s[52:53], 0
	s_waitcnt vmcnt(0) lgkmcnt(0)
	flat_load_dword v2, v[2:3] glc
	s_waitcnt vmcnt(0) lgkmcnt(0)
	buffer_wbinvl1_vol
	v_cmp_eq_u32_e64 s[28:29], 0, v2
	s_and_b64 s[28:29], s[28:29], exec
	s_or_b64 s[54:55], s[54:55], s[28:29]
	s_and_saveexec_b64 s[64:65], s[54:55]
	s_cbranch_execz .LBB4_7807
	s_branch .LBB4_7806
.LBB4_7812:                             ;   in Loop: Header=BB4_7809 Depth=3
	s_add_i32 s8, s8, 1
	s_mov_b64 s[52:53], -1
                                        ; implicit-def: $vgpr2
	s_and_saveexec_b64 s[64:65], s[54:55]
	s_cbranch_execz .LBB4_7807
	s_branch .LBB4_7806
.LBB4_7813:                             ;   in Loop: Header=BB4_7803 Depth=2
	s_or_b64 exec, exec, s[30:31]
	s_xor_b64 s[8:9], s[34:35], -1
	s_and_saveexec_b64 s[28:29], s[8:9]
	s_xor_b64 s[28:29], exec, s[28:29]
	s_cbranch_execz .LBB4_7815
; %bb.7814:                             ;   in Loop: Header=BB4_7803 Depth=2
	v_or_b32_e32 v46, 64, v46
	s_waitcnt lgkmcnt(0)
	ds_write_b32 v0, v2
	s_trap 2
.LBB4_7815:                             ;   in Loop: Header=BB4_7803 Depth=2
	s_or_b64 exec, exec, s[28:29]
.LBB4_7816:                             ;   in Loop: Header=BB4_7803 Depth=2
	s_or_b64 exec, exec, s[94:95]
	v_and_b32_e32 v2, 0x108, v46
	v_cmp_ne_u32_e32 vcc, s69, v2
	;;#ASMSTART
	s_wakeup
	;;#ASMEND
                                        ; implicit-def: $vgpr2_vgpr3
	s_and_saveexec_b64 s[8:9], vcc
	s_xor_b64 s[28:29], exec, s[8:9]
	s_cbranch_execz .LBB4_7818
; %bb.7817:                             ;   in Loop: Header=BB4_7803 Depth=2
	buffer_load_dword v2, off, s[0:3], s33 offset:56 ; 4-byte Folded Reload
	buffer_load_dword v3, off, s[0:3], s33 offset:60 ; 4-byte Folded Reload
	s_waitcnt vmcnt(0)
	v_mov_b32_e32 v3, v61
                                        ; implicit-def: $vgpr4_vgpr5
                                        ; kill: killed $vgpr4_vgpr5
	v_and_b32_e32 v2, 7, v2
.LBB4_7818:                             ;   in Loop: Header=BB4_7803 Depth=2
	s_andn2_saveexec_b64 s[28:29], s[28:29]
	s_cbranch_execz .LBB4_7820
; %bb.7819:                             ;   in Loop: Header=BB4_7803 Depth=2
	buffer_load_dword v2, off, s[0:3], s33 offset:56 ; 4-byte Folded Reload
	buffer_load_dword v3, off, s[0:3], s33 offset:60 ; 4-byte Folded Reload
	;; [unrolled: 1-line block ×6, first 2 shown]
	v_ashrrev_i32_e32 v11, 31, v10
	s_waitcnt vmcnt(0)
	v_and_b32_e32 v2, 7, v2
	v_mad_u64_u32 v[4:5], s[8:9], v2, 24, v[3:4]
	v_mov_b32_e32 v3, v61
	flat_store_dwordx2 v[4:5], v[10:11] offset:8
.LBB4_7820:                             ;   in Loop: Header=BB4_7803 Depth=2
	s_or_b64 exec, exec, s[28:29]
	v_and_b32_e32 v4, 0x100, v46
	v_cmp_ne_u32_e32 vcc, 0, v4
	s_mov_b64 s[28:29], -1
                                        ; implicit-def: $vgpr4_vgpr5
	s_and_saveexec_b64 s[94:95], vcc
	s_cbranch_execz .LBB4_7824
; %bb.7821:                             ;   in Loop: Header=BB4_7803 Depth=2
	buffer_load_dword v4, off, s[0:3], s33 offset:88 ; 4-byte Folded Reload
	buffer_load_dword v5, off, s[0:3], s33 offset:92 ; 4-byte Folded Reload
	;; [unrolled: 1-line block ×4, first 2 shown]
	s_waitcnt vmcnt(0)
	v_mad_u64_u32 v[6:7], s[8:9], v2, 24, v[4:5]
	v_mov_b32_e32 v4, v7
	v_mad_u64_u32 v[4:5], s[8:9], v3, 24, v[4:5]
	v_mov_b32_e32 v7, v4
	flat_load_dword v4, v[6:7]
	s_waitcnt vmcnt(0) lgkmcnt(0)
	v_cmp_ne_u32_e32 vcc, 1, v4
	v_cmp_eq_u32_e64 s[28:29], 1, v4
                                        ; implicit-def: $vgpr4_vgpr5
	s_and_saveexec_b64 s[30:31], s[28:29]
	s_cbranch_execz .LBB4_7823
; %bb.7822:                             ;   in Loop: Header=BB4_7803 Depth=2
	flat_load_dword v4, v[6:7] offset:4 glc
	s_waitcnt vmcnt(0) lgkmcnt(0)
	v_ashrrev_i32_e32 v5, 31, v4
.LBB4_7823:                             ;   in Loop: Header=BB4_7803 Depth=2
	s_or_b64 exec, exec, s[30:31]
	s_orn2_b64 s[28:29], vcc, exec
.LBB4_7824:                             ;   in Loop: Header=BB4_7803 Depth=2
	s_or_b64 exec, exec, s[94:95]
	s_and_saveexec_b64 s[94:95], s[28:29]
	s_cbranch_execz .LBB4_7826
; %bb.7825:                             ;   in Loop: Header=BB4_7803 Depth=2
	buffer_load_dword v4, off, s[0:3], s33 offset:124 ; 4-byte Folded Reload
	buffer_load_dword v5, off, s[0:3], s33 offset:144 ; 4-byte Folded Reload
	s_waitcnt vmcnt(0)
	v_mul_lo_u32 v3, v3, v4
	v_mul_lo_u32 v6, v2, v5
	v_mad_u64_u32 v[4:5], s[8:9], v2, v4, 0
	v_add3_u32 v5, v5, v6, v3
.LBB4_7826:                             ;   in Loop: Header=BB4_7803 Depth=2
	s_or_b64 exec, exec, s[94:95]
	v_cmp_eq_u32_e32 vcc, 0, v8
	v_mov_b32_e32 v2, 0x90
	v_mov_b32_e32 v3, 0xd0
	v_cndmask_b32_e32 v6, v3, v2, vcc
	buffer_load_dword v2, off, s[0:3], s33 offset:80 ; 4-byte Folded Reload
	buffer_load_dword v3, off, s[0:3], s33 offset:84 ; 4-byte Folded Reload
	s_waitcnt vmcnt(0)
	v_add_co_u32_e32 v2, vcc, v2, v4
	v_addc_co_u32_e32 v3, vcc, v3, v5, vcc
	v_add_u32_e32 v4, v0, v6
	ds_write_b64 v4, v[2:3] offset:584
	v_and_b32_e32 v2, 0x2000, v46
	v_cmp_ne_u32_e32 vcc, 0, v2
	s_and_saveexec_b64 s[28:29], vcc
	s_cbranch_execz .LBB4_7828
; %bb.7827:                             ;   in Loop: Header=BB4_7803 Depth=2
	ds_read_b64 v[2:3], v0 offset:872
	s_waitcnt lgkmcnt(0)
	v_add_co_u32_e32 v2, vcc, 1, v2
	v_addc_co_u32_e32 v3, vcc, 0, v3, vcc
	ds_write_b64 v0, v[2:3] offset:872
.LBB4_7828:                             ;   in Loop: Header=BB4_7803 Depth=2
	s_or_b64 exec, exec, s[28:29]
	buffer_store_dword v0, off, s[0:3], s33 offset:56 ; 4-byte Folded Spill
	s_nop 0
	buffer_store_dword v1, off, s[0:3], s33 offset:60 ; 4-byte Folded Spill
.LBB4_7829:                             ;   in Loop: Header=BB4_7803 Depth=2
	s_or_b64 exec, exec, s[92:93]
	s_xor_b64 s[8:9], s[90:91], -1
	s_and_b64 s[8:9], exec, s[8:9]
	s_or_b64 s[42:43], s[8:9], s[42:43]
	s_and_saveexec_b64 s[28:29], s[10:11]
	s_cbranch_execz .LBB4_7848
; %bb.7830:                             ;   in Loop: Header=BB4_7803 Depth=2
	s_and_saveexec_b64 s[8:9], s[58:59]
	s_xor_b64 s[90:91], exec, s[8:9]
	s_cbranch_execz .LBB4_7845
; %bb.7831:                             ;   in Loop: Header=BB4_7803 Depth=2
	s_and_saveexec_b64 s[92:93], s[16:17]
	s_cbranch_execz .LBB4_7844
; %bb.7832:                             ;   in Loop: Header=BB4_7803 Depth=2
	s_mov_b64 s[30:31], exec
	v_mbcnt_lo_u32_b32 v0, s30, 0
	v_mbcnt_hi_u32_b32 v0, s31, v0
	v_cmp_eq_u32_e32 vcc, 0, v0
	s_waitcnt vmcnt(0) lgkmcnt(0)
	buffer_wbinvl1_vol
	s_and_saveexec_b64 s[94:95], vcc
	s_cbranch_execz .LBB4_7834
; %bb.7833:                             ;   in Loop: Header=BB4_7803 Depth=2
	s_bcnt1_i32_b64 s8, s[30:31]
	v_mov_b32_e32 v0, s8
	v_mov_b32_e32 v1, v61
	ds_add_u64 v0, v[0:1]
	s_trap 2
.LBB4_7834:                             ;   in Loop: Header=BB4_7803 Depth=2
	s_or_b64 exec, exec, s[94:95]
	s_trap 2
	ds_read_b64 v[0:1], v0
	s_waitcnt lgkmcnt(0)
	v_add_co_u32_e32 v40, vcc, v40, v21
	v_addc_co_u32_e32 v41, vcc, 0, v41, vcc
	v_cmp_lt_u64_e32 vcc, v[0:1], v[40:41]
	s_and_saveexec_b64 s[94:95], vcc
	s_cbranch_execz .LBB4_7843
; %bb.7835:                             ;   in Loop: Header=BB4_7803 Depth=2
	s_mov_b32 s8, 0
	s_mov_b64 s[30:31], 0
                                        ; implicit-def: $sgpr34_sgpr35
                                        ; implicit-def: $sgpr36_sgpr37
	s_branch .LBB4_7837
.LBB4_7836:                             ;   in Loop: Header=BB4_7837 Depth=3
	s_or_b64 exec, exec, s[48:49]
	s_and_b64 vcc, exec, vcc
	s_or_b64 s[30:31], vcc, s[30:31]
	s_andn2_b64 vcc, s[34:35], exec
	s_and_b64 s[34:35], s[36:37], exec
	s_or_b64 s[34:35], vcc, s[34:35]
	s_andn2_b64 exec, exec, s[30:31]
	s_cbranch_execz .LBB4_7841
.LBB4_7837:                             ;   Parent Loop BB4_47 Depth=1
                                        ;     Parent Loop BB4_7803 Depth=2
                                        ; =>    This Inner Loop Header: Depth=3
	s_add_i32 s8, s8, 1
	s_cmpk_lg_i32 s8, 0x2710
	s_cselect_b64 s[38:39], -1, 0
	s_and_b64 vcc, exec, s[38:39]
	s_cbranch_vccz .LBB4_7839
; %bb.7838:                             ;   in Loop: Header=BB4_7837 Depth=3
	s_mov_b64 vcc, -1
	s_or_b64 s[36:37], s[36:37], exec
	s_and_saveexec_b64 s[48:49], s[38:39]
	s_cbranch_execz .LBB4_7836
	s_branch .LBB4_7840
.LBB4_7839:                             ;   in Loop: Header=BB4_7837 Depth=3
	s_trap 2
	ds_read_b64 v[0:1], v0
	s_andn2_b64 s[38:39], s[38:39], exec
	s_mov_b32 s8, 0
	s_waitcnt lgkmcnt(0)
	flat_load_dword v0, v[0:1] glc
	s_waitcnt vmcnt(0) lgkmcnt(0)
	buffer_wbinvl1_vol
	v_cmp_eq_u32_e32 vcc, 0, v0
	s_and_b64 vcc, vcc, exec
	s_or_b64 s[38:39], s[38:39], vcc
	s_mov_b64 vcc, -1
	s_or_b64 s[36:37], s[36:37], exec
	s_and_saveexec_b64 s[48:49], s[38:39]
	s_cbranch_execz .LBB4_7836
.LBB4_7840:                             ;   in Loop: Header=BB4_7837 Depth=3
	s_sleep 1
	s_trap 2
	ds_read_b64 v[0:1], v0
	s_waitcnt lgkmcnt(0)
	s_andn2_b64 s[36:37], s[36:37], exec
	v_cmp_ge_u64_e32 vcc, v[0:1], v[40:41]
	s_orn2_b64 vcc, vcc, exec
	s_branch .LBB4_7836
.LBB4_7841:                             ;   in Loop: Header=BB4_7803 Depth=2
	s_or_b64 exec, exec, s[30:31]
	s_and_saveexec_b64 s[8:9], s[34:35]
	s_xor_b64 s[8:9], exec, s[8:9]
	s_cbranch_execz .LBB4_7843
; %bb.7842:                             ;   in Loop: Header=BB4_7803 Depth=2
	v_mov_b32_e32 v0, 1
	ds_write_b32 v0, v0
	s_trap 2
.LBB4_7843:                             ;   in Loop: Header=BB4_7803 Depth=2
	s_or_b64 exec, exec, s[94:95]
	;;#ASMSTART
	s_wakeup
	;;#ASMEND
.LBB4_7844:                             ;   in Loop: Header=BB4_7803 Depth=2
	s_or_b64 exec, exec, s[92:93]
.LBB4_7845:                             ;   in Loop: Header=BB4_7803 Depth=2
	s_andn2_saveexec_b64 s[90:91], s[90:91]
	s_cbranch_execz .LBB4_7847
; %bb.7846:                             ;   in Loop: Header=BB4_7803 Depth=2
	s_waitcnt vmcnt(0) lgkmcnt(0)
	buffer_wbinvl1_vol
	s_barrier
.LBB4_7847:                             ;   in Loop: Header=BB4_7803 Depth=2
	s_or_b64 exec, exec, s[90:91]
.LBB4_7848:                             ;   in Loop: Header=BB4_7803 Depth=2
	s_or_b64 exec, exec, s[28:29]
                                        ; implicit-def: $vgpr0
	s_and_saveexec_b64 s[8:9], s[24:25]
	s_xor_b64 s[28:29], exec, s[8:9]
	s_cbranch_execz .LBB4_7852
; %bb.7849:                             ;   in Loop: Header=BB4_7803 Depth=2
	s_trap 2
	ds_read_b32 v0, v0
	v_cmp_lt_i32_e32 vcc, 0, v10
	v_and_b32_e32 v1, 16, v46
	s_waitcnt lgkmcnt(0)
	v_readfirstlane_b32 s8, v0
	s_cmp_eq_u32 s8, 0
	s_cselect_b64 s[8:9], -1, 0
	s_and_b64 s[8:9], vcc, s[8:9]
	v_cmp_ne_u32_e32 vcc, 0, v1
	v_and_b32_e32 v0, 16, v46
	s_and_b64 s[8:9], vcc, s[8:9]
	s_and_saveexec_b64 s[90:91], s[8:9]
	s_cbranch_execz .LBB4_7851
; %bb.7850:                             ;   in Loop: Header=BB4_7803 Depth=2
	v_mov_b32_e32 v0, 1
	s_waitcnt vmcnt(0)
	buffer_wbinvl1_vol
.LBB4_7851:                             ;   in Loop: Header=BB4_7803 Depth=2
	s_or_b64 exec, exec, s[90:91]
	s_andn2_saveexec_b64 s[28:29], s[28:29]
	s_cbranch_execz .LBB4_7871
	s_branch .LBB4_7853
.LBB4_7852:                             ;   in Loop: Header=BB4_7803 Depth=2
	s_andn2_saveexec_b64 s[28:29], s[28:29]
	s_cbranch_execz .LBB4_7871
.LBB4_7853:                             ;   in Loop: Header=BB4_7803 Depth=2
	s_and_saveexec_b64 s[8:9], s[58:59]
	s_xor_b64 s[90:91], exec, s[8:9]
	s_cbranch_execz .LBB4_7868
; %bb.7854:                             ;   in Loop: Header=BB4_7803 Depth=2
	s_and_saveexec_b64 s[92:93], s[16:17]
	s_cbranch_execz .LBB4_7867
; %bb.7855:                             ;   in Loop: Header=BB4_7803 Depth=2
	s_mov_b64 s[30:31], exec
	v_mbcnt_lo_u32_b32 v0, s30, 0
	v_mbcnt_hi_u32_b32 v0, s31, v0
	v_cmp_eq_u32_e32 vcc, 0, v0
	;;#ASMSTART
	s_waitcnt lgkmcnt(0) vmcnt(0)
	;;#ASMEND
	s_and_saveexec_b64 s[94:95], vcc
	s_cbranch_execz .LBB4_7857
; %bb.7856:                             ;   in Loop: Header=BB4_7803 Depth=2
	s_bcnt1_i32_b64 s8, s[30:31]
	v_mov_b32_e32 v0, s8
	v_mov_b32_e32 v1, v61
	s_waitcnt lgkmcnt(0)
	ds_add_u64 v0, v[0:1]
	s_trap 2
.LBB4_7857:                             ;   in Loop: Header=BB4_7803 Depth=2
	s_or_b64 exec, exec, s[94:95]
	s_trap 2
	ds_read_b64 v[0:1], v0
	s_waitcnt lgkmcnt(0)
	v_add_co_u32_e32 v40, vcc, v40, v21
	v_addc_co_u32_e32 v41, vcc, 0, v41, vcc
	v_cmp_lt_u64_e32 vcc, v[0:1], v[40:41]
	s_and_saveexec_b64 s[94:95], vcc
	s_cbranch_execz .LBB4_7866
; %bb.7858:                             ;   in Loop: Header=BB4_7803 Depth=2
	s_mov_b32 s8, 0
	s_mov_b64 s[30:31], 0
                                        ; implicit-def: $sgpr34_sgpr35
                                        ; implicit-def: $sgpr36_sgpr37
	s_branch .LBB4_7860
.LBB4_7859:                             ;   in Loop: Header=BB4_7860 Depth=3
	s_or_b64 exec, exec, s[48:49]
	s_and_b64 vcc, exec, vcc
	s_or_b64 s[30:31], vcc, s[30:31]
	s_andn2_b64 vcc, s[34:35], exec
	s_and_b64 s[34:35], s[36:37], exec
	s_or_b64 s[34:35], vcc, s[34:35]
	s_andn2_b64 exec, exec, s[30:31]
	s_cbranch_execz .LBB4_7864
.LBB4_7860:                             ;   Parent Loop BB4_47 Depth=1
                                        ;     Parent Loop BB4_7803 Depth=2
                                        ; =>    This Inner Loop Header: Depth=3
	s_add_i32 s8, s8, 1
	s_cmpk_lg_i32 s8, 0x2710
	s_cselect_b64 s[38:39], -1, 0
	s_and_b64 vcc, exec, s[38:39]
	s_cbranch_vccz .LBB4_7862
; %bb.7861:                             ;   in Loop: Header=BB4_7860 Depth=3
	s_mov_b64 vcc, -1
	s_or_b64 s[36:37], s[36:37], exec
	s_and_saveexec_b64 s[48:49], s[38:39]
	s_cbranch_execz .LBB4_7859
	s_branch .LBB4_7863
.LBB4_7862:                             ;   in Loop: Header=BB4_7860 Depth=3
	s_trap 2
	ds_read_b64 v[0:1], v0
	s_andn2_b64 s[38:39], s[38:39], exec
	s_mov_b32 s8, 0
	s_waitcnt vmcnt(0) lgkmcnt(0)
	flat_load_dword v0, v[0:1] glc
	s_waitcnt vmcnt(0) lgkmcnt(0)
	buffer_wbinvl1_vol
	v_cmp_eq_u32_e32 vcc, 0, v0
	s_and_b64 vcc, vcc, exec
	s_or_b64 s[38:39], s[38:39], vcc
	s_mov_b64 vcc, -1
	s_or_b64 s[36:37], s[36:37], exec
	s_and_saveexec_b64 s[48:49], s[38:39]
	s_cbranch_execz .LBB4_7859
.LBB4_7863:                             ;   in Loop: Header=BB4_7860 Depth=3
	s_sleep 1
	s_trap 2
	ds_read_b64 v[0:1], v0
	s_waitcnt lgkmcnt(0)
	s_andn2_b64 s[36:37], s[36:37], exec
	v_cmp_ge_u64_e32 vcc, v[0:1], v[40:41]
	s_orn2_b64 vcc, vcc, exec
	s_branch .LBB4_7859
.LBB4_7864:                             ;   in Loop: Header=BB4_7803 Depth=2
	s_or_b64 exec, exec, s[30:31]
	s_and_saveexec_b64 s[8:9], s[34:35]
	s_xor_b64 s[8:9], exec, s[8:9]
	s_cbranch_execz .LBB4_7866
; %bb.7865:                             ;   in Loop: Header=BB4_7803 Depth=2
	v_mov_b32_e32 v0, 1
	ds_write_b32 v0, v0
	s_trap 2
.LBB4_7866:                             ;   in Loop: Header=BB4_7803 Depth=2
	s_or_b64 exec, exec, s[94:95]
	;;#ASMSTART
	s_wakeup
	;;#ASMEND
.LBB4_7867:                             ;   in Loop: Header=BB4_7803 Depth=2
	s_or_b64 exec, exec, s[92:93]
.LBB4_7868:                             ;   in Loop: Header=BB4_7803 Depth=2
	s_andn2_saveexec_b64 s[90:91], s[90:91]
	s_cbranch_execz .LBB4_7870
; %bb.7869:                             ;   in Loop: Header=BB4_7803 Depth=2
	;;#ASMSTART
	s_waitcnt lgkmcnt(0) vmcnt(0)
	;;#ASMEND
	s_waitcnt vmcnt(0) lgkmcnt(0)
	s_barrier
.LBB4_7870:                             ;   in Loop: Header=BB4_7803 Depth=2
	s_or_b64 exec, exec, s[90:91]
	v_and_b32_e32 v0, 16, v46
.LBB4_7871:                             ;   in Loop: Header=BB4_7803 Depth=2
	s_or_b64 exec, exec, s[28:29]
	v_cmp_ne_u32_e32 vcc, 0, v0
	s_xor_b64 s[8:9], s[12:13], -1
	s_and_b64 s[8:9], vcc, s[8:9]
	s_and_saveexec_b64 s[28:29], s[8:9]
	s_cbranch_execz .LBB4_7873
; %bb.7872:                             ;   in Loop: Header=BB4_7803 Depth=2
	buffer_load_dword v0, off, s[0:3], s33 offset:104 ; 4-byte Folded Reload
	buffer_load_dword v1, off, s[0:3], s33 offset:108 ; 4-byte Folded Reload
	v_mov_b32_e32 v2, 1
	s_waitcnt vmcnt(0)
	flat_store_dword v[0:1], v2
.LBB4_7873:                             ;   in Loop: Header=BB4_7803 Depth=2
	s_or_b64 exec, exec, s[28:29]
	v_and_b32_e32 v0, 48, v46
	v_cmp_ne_u32_e32 vcc, 0, v0
	s_and_saveexec_b64 s[28:29], vcc
	s_cbranch_execz .LBB4_7802
; %bb.7874:                             ;   in Loop: Header=BB4_7803 Depth=2
	buffer_load_dword v0, off, s[0:3], s33 offset:56 ; 4-byte Folded Reload
	buffer_load_dword v1, off, s[0:3], s33 offset:60 ; 4-byte Folded Reload
	s_waitcnt vmcnt(0)
	v_add_co_u32_e32 v0, vcc, 2, v0
	v_addc_co_u32_e32 v1, vcc, 0, v1, vcc
	buffer_store_dword v0, off, s[0:3], s33 offset:56 ; 4-byte Folded Spill
	s_nop 0
	buffer_store_dword v1, off, s[0:3], s33 offset:60 ; 4-byte Folded Spill
	flat_store_dwordx2 v[32:33], v[0:1]
	s_branch .LBB4_7802
.LBB4_7875:                             ;   in Loop: Header=BB4_47 Depth=1
	s_or_b64 exec, exec, s[92:93]
	s_or_b64 exec, exec, s[90:91]
	v_cmp_gt_i32_e32 vcc, 2, v2
	s_and_saveexec_b64 s[40:41], vcc
	s_cbranch_execnz .LBB4_7801
.LBB4_7876:                             ;   in Loop: Header=BB4_47 Depth=1
	s_or_b64 exec, exec, s[40:41]
	s_and_b64 vcc, exec, s[26:27]
	s_cbranch_vccz .LBB4_7878
	s_branch .LBB4_8138
.LBB4_7877:                             ;   in Loop: Header=BB4_47 Depth=1
	s_or_b64 exec, exec, s[42:43]
	s_or_b64 exec, exec, s[40:41]
	s_and_b64 vcc, exec, s[26:27]
	s_cbranch_vccnz .LBB4_8138
.LBB4_7878:                             ;   in Loop: Header=BB4_47 Depth=1
	s_mov_b32 s8, 1
.LBB4_7879:                             ;   Parent Loop BB4_47 Depth=1
                                        ; =>  This Loop Header: Depth=2
                                        ;       Child Loop BB4_7882 Depth 3
                                        ;         Child Loop BB4_7890 Depth 4
                                        ;         Child Loop BB4_7918 Depth 4
                                        ;         Child Loop BB4_7937 Depth 4
                                        ;         Child Loop BB4_7998 Depth 4
                                        ;         Child Loop BB4_8003 Depth 4
                                        ;         Child Loop BB4_8011 Depth 4
                                        ;         Child Loop BB4_8016 Depth 4
                                        ;         Child Loop BB4_7966 Depth 4
                                        ;         Child Loop BB4_7971 Depth 4
                                        ;           Child Loop BB4_7972 Depth 5
                                        ;         Child Loop BB4_7981 Depth 4
                                        ;         Child Loop BB4_7986 Depth 4
                                        ;           Child Loop BB4_7987 Depth 5
                                        ;         Child Loop BB4_8025 Depth 4
                                        ;         Child Loop BB4_8044 Depth 4
                                        ;       Child Loop BB4_8062 Depth 3
                                        ;         Child Loop BB4_8068 Depth 4
                                        ;         Child Loop BB4_8096 Depth 4
                                        ;         Child Loop BB4_8119 Depth 4
	buffer_load_dword v4, off, s[0:3], s33 offset:240 ; 4-byte Folded Reload
	buffer_load_dword v5, off, s[0:3], s33 offset:244 ; 4-byte Folded Reload
	s_sub_i32 s9, s84, s8
	s_cmp_ge_i32 s9, s66
	s_cselect_b32 s26, s66, 0
	s_sub_i32 s9, s9, s26
	s_ashr_i32 s28, s9, 31
	v_mov_b32_e32 v16, 0
	s_waitcnt vmcnt(0)
	v_mad_u64_u32 v[0:1], s[26:27], v4, s9, 0
	v_mul_lo_u32 v2, v5, s9
	v_mul_lo_u32 v3, v4, s28
	v_add3_u32 v1, v1, v3, v2
	buffer_load_dword v2, off, s[0:3], s33 offset:232 ; 4-byte Folded Reload
	buffer_load_dword v3, off, s[0:3], s33 offset:236 ; 4-byte Folded Reload
	s_waitcnt vmcnt(0)
	v_sub_co_u32_e32 v2, vcc, v2, v0
	v_subb_co_u32_e32 v3, vcc, v3, v1, vcc
	v_cmp_lt_i64_e32 vcc, v[4:5], v[2:3]
	v_cndmask_b32_e32 v2, v2, v4, vcc
	v_max_i32_e32 v15, 0, v2
	v_add_u32_e32 v3, 31, v15
	v_lshrrev_b32_e32 v3, 1, v3
	v_and_b32_e32 v3, 0x3ffffff0, v3
	v_cmp_lt_i32_e32 vcc, 0, v2
	v_max_i32_e32 v12, s87, v3
	s_and_b64 s[26:27], s[76:77], vcc
	v_mov_b32_e32 v2, 0
	s_and_saveexec_b64 s[42:43], s[26:27]
	s_cbranch_execz .LBB4_8059
; %bb.7880:                             ;   in Loop: Header=BB4_7879 Depth=2
	buffer_load_dword v2, off, s[0:3], s33 offset:176 ; 4-byte Folded Reload
	s_mov_b32 s9, 1
	s_mov_b64 s[92:93], -1
	v_mov_b32_e32 v16, 0
	s_mov_b64 s[90:91], 0
	s_waitcnt vmcnt(0)
	v_add_co_u32_e32 v17, vcc, v0, v2
	buffer_load_dword v0, off, s[0:3], s33 offset:180 ; 4-byte Folded Reload
	s_waitcnt vmcnt(0)
	v_addc_co_u32_e32 v18, vcc, v1, v0, vcc
	s_branch .LBB4_7882
.LBB4_7881:                             ;   in Loop: Header=BB4_7882 Depth=3
	s_or_b64 exec, exec, s[26:27]
	v_add_u32_e32 v16, v12, v16
	v_cmp_ge_i32_e32 vcc, v16, v15
	s_xor_b64 s[26:27], s[92:93], -1
	s_or_b64 s[26:27], s[26:27], vcc
	s_and_b64 s[26:27], exec, s[26:27]
	s_or_b64 s[90:91], s[26:27], s[90:91]
	s_mov_b64 s[92:93], 0
	s_waitcnt vmcnt(0)
	v_mov_b32_e32 v2, s9
	s_mov_b32 s9, 2
	s_andn2_b64 exec, exec, s[90:91]
	s_cbranch_execz .LBB4_8134
.LBB4_7882:                             ;   Parent Loop BB4_47 Depth=1
                                        ;     Parent Loop BB4_7879 Depth=2
                                        ; =>    This Loop Header: Depth=3
                                        ;         Child Loop BB4_7890 Depth 4
                                        ;         Child Loop BB4_7918 Depth 4
	;; [unrolled: 1-line block ×9, first 2 shown]
                                        ;           Child Loop BB4_7972 Depth 5
                                        ;         Child Loop BB4_7981 Depth 4
                                        ;         Child Loop BB4_7986 Depth 4
                                        ;           Child Loop BB4_7987 Depth 5
                                        ;         Child Loop BB4_8025 Depth 4
                                        ;         Child Loop BB4_8044 Depth 4
	s_and_saveexec_b64 s[26:27], s[4:5]
	s_cbranch_execz .LBB4_7884
; %bb.7883:                             ;   in Loop: Header=BB4_7882 Depth=3
	s_trap 2
	ds_read_b128 v[0:3], v0
	v_ashrrev_i32_e32 v4, 31, v16
	s_waitcnt lgkmcnt(0)
	v_add_co_u32_e32 v0, vcc, v0, v17
	v_addc_co_u32_e32 v1, vcc, v1, v18, vcc
	v_add_co_u32_e32 v0, vcc, v0, v16
	v_addc_co_u32_e32 v1, vcc, v1, v4, vcc
	ds_write_b64 v0, v[0:1]
	v_add_co_u32_e32 v0, vcc, v2, v17
	v_addc_co_u32_e32 v1, vcc, v3, v18, vcc
	v_add_co_u32_e32 v0, vcc, v0, v16
	v_addc_co_u32_e32 v1, vcc, v1, v4, vcc
	v_cmp_ne_u64_e32 vcc, 0, v[2:3]
	v_cndmask_b32_e32 v1, 0, v1, vcc
	v_cndmask_b32_e32 v0, 0, v0, vcc
	ds_write_b64 v0, v[0:1]
.LBB4_7884:                             ;   in Loop: Header=BB4_7882 Depth=3
	s_or_b64 exec, exec, s[26:27]
	v_sub_u32_e32 v0, v15, v16
	v_min_i32_e32 v12, v12, v0
	v_and_b32_e32 v0, 12, v46
	v_cmp_ne_u32_e32 vcc, 0, v0
	s_and_saveexec_b64 s[28:29], vcc
	s_cbranch_execz .LBB4_7910
; %bb.7885:                             ;   in Loop: Header=BB4_7882 Depth=3
	buffer_load_dword v0, off, s[0:3], s33 offset:56 ; 4-byte Folded Reload
	buffer_load_dword v1, off, s[0:3], s33 offset:60 ; 4-byte Folded Reload
	v_and_b32_e32 v8, 8, v46
	s_waitcnt lgkmcnt(0)
	v_add_co_u32_e32 v2, vcc, v48, v8
	v_addc_co_u32_e32 v3, vcc, 0, v49, vcc
	s_waitcnt vmcnt(1)
	v_add_co_u32_e32 v0, vcc, 2, v0
	s_waitcnt vmcnt(0)
	v_addc_co_u32_e32 v1, vcc, 0, v1, vcc
	v_cmp_lt_u64_e32 vcc, v[2:3], v[0:1]
	s_and_saveexec_b64 s[40:41], vcc
	s_cbranch_execz .LBB4_7897
; %bb.7886:                             ;   in Loop: Header=BB4_7882 Depth=3
	v_and_b32_e32 v2, 64, v46
	s_mov_b32 s64, 0
	v_cmp_eq_u32_e32 vcc, 0, v2
	s_mov_b64 s[94:95], 0
                                        ; implicit-def: $sgpr30_sgpr31
                                        ; implicit-def: $sgpr34_sgpr35
                                        ; implicit-def: $sgpr36_sgpr37
	s_branch .LBB4_7890
.LBB4_7887:                             ;   in Loop: Header=BB4_7890 Depth=4
	s_waitcnt vmcnt(0) lgkmcnt(0)
	v_add_co_u32_e64 v3, s[26:27], v48, v8
	v_addc_co_u32_e64 v4, s[26:27], 0, v49, s[26:27]
	v_cmp_ge_u64_e64 s[26:27], v[3:4], v[0:1]
	s_or_b64 s[50:51], s[50:51], exec
	s_orn2_b64 s[48:49], s[26:27], exec
.LBB4_7888:                             ;   in Loop: Header=BB4_7890 Depth=4
	s_or_b64 exec, exec, s[54:55]
	s_andn2_b64 s[26:27], s[36:37], exec
	s_and_b64 s[36:37], s[50:51], exec
	s_or_b64 s[36:37], s[26:27], s[36:37]
	s_andn2_b64 s[26:27], s[34:35], exec
	s_and_b64 s[34:35], s[48:49], exec
	s_or_b64 s[34:35], s[26:27], s[34:35]
.LBB4_7889:                             ;   in Loop: Header=BB4_7890 Depth=4
	s_or_b64 exec, exec, s[38:39]
	s_and_b64 s[26:27], exec, s[34:35]
	s_or_b64 s[94:95], s[26:27], s[94:95]
	s_andn2_b64 s[26:27], s[30:31], exec
	s_and_b64 s[30:31], s[36:37], exec
	s_or_b64 s[30:31], s[26:27], s[30:31]
	s_andn2_b64 exec, exec, s[94:95]
	s_cbranch_execz .LBB4_7894
.LBB4_7890:                             ;   Parent Loop BB4_47 Depth=1
                                        ;     Parent Loop BB4_7879 Depth=2
                                        ;       Parent Loop BB4_7882 Depth=3
                                        ; =>      This Inner Loop Header: Depth=4
	s_sleep 1
	s_waitcnt vmcnt(0) lgkmcnt(0)
	flat_load_dwordx2 v[48:49], v[32:33] glc
	s_or_b64 s[36:37], s[36:37], exec
	s_or_b64 s[34:35], s[34:35], exec
                                        ; implicit-def: $vgpr2
	s_and_saveexec_b64 s[38:39], vcc
	s_cbranch_execz .LBB4_7889
; %bb.7891:                             ;   in Loop: Header=BB4_7890 Depth=4
	s_cmpk_lt_i32 s64, 0x270f
	s_cselect_b64 s[52:53], -1, 0
	s_cmpk_gt_i32 s64, 0x270e
	s_mov_b64 s[48:49], -1
	s_cbranch_scc0 .LBB4_7893
; %bb.7892:                             ;   in Loop: Header=BB4_7890 Depth=4
	s_trap 2
	ds_read_b64 v[2:3], v0
	s_andn2_b64 s[52:53], s[52:53], exec
	s_mov_b32 s64, 0
	s_mov_b64 s[50:51], 0
	s_waitcnt vmcnt(0) lgkmcnt(0)
	flat_load_dword v2, v[2:3] glc
	s_waitcnt vmcnt(0) lgkmcnt(0)
	buffer_wbinvl1_vol
	v_cmp_eq_u32_e64 s[26:27], 0, v2
	s_and_b64 s[26:27], s[26:27], exec
	s_or_b64 s[52:53], s[52:53], s[26:27]
	s_and_saveexec_b64 s[54:55], s[52:53]
	s_cbranch_execz .LBB4_7888
	s_branch .LBB4_7887
.LBB4_7893:                             ;   in Loop: Header=BB4_7890 Depth=4
	s_add_i32 s64, s64, 1
	s_mov_b64 s[50:51], -1
                                        ; implicit-def: $vgpr2
	s_and_saveexec_b64 s[54:55], s[52:53]
	s_cbranch_execz .LBB4_7888
	s_branch .LBB4_7887
.LBB4_7894:                             ;   in Loop: Header=BB4_7882 Depth=3
	s_or_b64 exec, exec, s[94:95]
	s_xor_b64 s[26:27], s[30:31], -1
	s_and_saveexec_b64 s[94:95], s[26:27]
	s_xor_b64 s[26:27], exec, s[94:95]
	s_cbranch_execz .LBB4_7896
; %bb.7895:                             ;   in Loop: Header=BB4_7882 Depth=3
	v_or_b32_e32 v46, 64, v46
	s_waitcnt lgkmcnt(0)
	ds_write_b32 v0, v2
	s_trap 2
.LBB4_7896:                             ;   in Loop: Header=BB4_7882 Depth=3
	s_or_b64 exec, exec, s[26:27]
.LBB4_7897:                             ;   in Loop: Header=BB4_7882 Depth=3
	s_or_b64 exec, exec, s[40:41]
	v_and_b32_e32 v2, 0x108, v46
	v_cmp_ne_u32_e32 vcc, s69, v2
	;;#ASMSTART
	s_wakeup
	;;#ASMEND
                                        ; implicit-def: $vgpr2_vgpr3
	s_and_saveexec_b64 s[26:27], vcc
	s_xor_b64 s[26:27], exec, s[26:27]
	s_cbranch_execz .LBB4_7899
; %bb.7898:                             ;   in Loop: Header=BB4_7882 Depth=3
	buffer_load_dword v2, off, s[0:3], s33 offset:56 ; 4-byte Folded Reload
	buffer_load_dword v3, off, s[0:3], s33 offset:60 ; 4-byte Folded Reload
	s_waitcnt vmcnt(0)
	v_mov_b32_e32 v3, v61
                                        ; implicit-def: $vgpr4_vgpr5
                                        ; kill: killed $vgpr4_vgpr5
	v_and_b32_e32 v2, 7, v2
.LBB4_7899:                             ;   in Loop: Header=BB4_7882 Depth=3
	s_andn2_saveexec_b64 s[26:27], s[26:27]
	s_cbranch_execz .LBB4_7901
; %bb.7900:                             ;   in Loop: Header=BB4_7882 Depth=3
	buffer_load_dword v2, off, s[0:3], s33 offset:56 ; 4-byte Folded Reload
	buffer_load_dword v3, off, s[0:3], s33 offset:60 ; 4-byte Folded Reload
	;; [unrolled: 1-line block ×6, first 2 shown]
	v_ashrrev_i32_e32 v13, 31, v12
	s_waitcnt vmcnt(0)
	v_and_b32_e32 v2, 7, v2
	v_mad_u64_u32 v[4:5], s[40:41], v2, 24, v[3:4]
	v_mov_b32_e32 v3, v61
	flat_store_dwordx2 v[4:5], v[12:13] offset:8
.LBB4_7901:                             ;   in Loop: Header=BB4_7882 Depth=3
	s_or_b64 exec, exec, s[26:27]
	v_and_b32_e32 v4, 0x100, v46
	v_cmp_ne_u32_e32 vcc, 0, v4
	s_mov_b64 s[26:27], -1
                                        ; implicit-def: $vgpr4_vgpr5
	s_and_saveexec_b64 s[40:41], vcc
	s_cbranch_execz .LBB4_7905
; %bb.7902:                             ;   in Loop: Header=BB4_7882 Depth=3
	buffer_load_dword v4, off, s[0:3], s33 offset:88 ; 4-byte Folded Reload
	buffer_load_dword v5, off, s[0:3], s33 offset:92 ; 4-byte Folded Reload
	;; [unrolled: 1-line block ×4, first 2 shown]
	s_waitcnt vmcnt(0)
	v_mad_u64_u32 v[6:7], s[26:27], v2, 24, v[4:5]
	v_mov_b32_e32 v4, v7
	v_mad_u64_u32 v[4:5], s[26:27], v3, 24, v[4:5]
	v_mov_b32_e32 v7, v4
	flat_load_dword v4, v[6:7]
	s_waitcnt vmcnt(0) lgkmcnt(0)
	v_cmp_ne_u32_e32 vcc, 1, v4
	v_cmp_eq_u32_e64 s[26:27], 1, v4
                                        ; implicit-def: $vgpr4_vgpr5
	s_and_saveexec_b64 s[94:95], s[26:27]
	s_cbranch_execz .LBB4_7904
; %bb.7903:                             ;   in Loop: Header=BB4_7882 Depth=3
	flat_load_dword v4, v[6:7] offset:4 glc
	s_waitcnt vmcnt(0) lgkmcnt(0)
	v_ashrrev_i32_e32 v5, 31, v4
.LBB4_7904:                             ;   in Loop: Header=BB4_7882 Depth=3
	s_or_b64 exec, exec, s[94:95]
	s_orn2_b64 s[26:27], vcc, exec
.LBB4_7905:                             ;   in Loop: Header=BB4_7882 Depth=3
	s_or_b64 exec, exec, s[40:41]
	s_and_saveexec_b64 s[40:41], s[26:27]
	s_cbranch_execz .LBB4_7907
; %bb.7906:                             ;   in Loop: Header=BB4_7882 Depth=3
	buffer_load_dword v4, off, s[0:3], s33 offset:124 ; 4-byte Folded Reload
	buffer_load_dword v5, off, s[0:3], s33 offset:144 ; 4-byte Folded Reload
	s_waitcnt vmcnt(0)
	v_mul_lo_u32 v3, v3, v4
	v_mul_lo_u32 v6, v2, v5
	v_mad_u64_u32 v[4:5], s[26:27], v2, v4, 0
	v_add3_u32 v5, v5, v6, v3
.LBB4_7907:                             ;   in Loop: Header=BB4_7882 Depth=3
	s_or_b64 exec, exec, s[40:41]
	v_cmp_eq_u32_e32 vcc, 0, v8
	v_mov_b32_e32 v2, 0xd0
	v_mov_b32_e32 v3, 0x88
	v_cndmask_b32_e32 v6, v2, v3, vcc
	buffer_load_dword v2, off, s[0:3], s33 offset:80 ; 4-byte Folded Reload
	buffer_load_dword v3, off, s[0:3], s33 offset:84 ; 4-byte Folded Reload
	s_waitcnt vmcnt(0)
	v_add_co_u32_e32 v2, vcc, v2, v4
	v_addc_co_u32_e32 v3, vcc, v3, v5, vcc
	v_add_u32_e32 v4, v0, v6
	ds_write_b64 v4, v[2:3] offset:584
	v_and_b32_e32 v2, 0x2000, v46
	v_cmp_ne_u32_e32 vcc, 0, v2
	s_and_saveexec_b64 s[26:27], vcc
	s_cbranch_execz .LBB4_7909
; %bb.7908:                             ;   in Loop: Header=BB4_7882 Depth=3
	ds_read_b64 v[2:3], v0 offset:872
	s_waitcnt lgkmcnt(0)
	v_add_co_u32_e32 v2, vcc, 1, v2
	v_addc_co_u32_e32 v3, vcc, 0, v3, vcc
	ds_write_b64 v0, v[2:3] offset:872
.LBB4_7909:                             ;   in Loop: Header=BB4_7882 Depth=3
	s_or_b64 exec, exec, s[26:27]
	buffer_store_dword v0, off, s[0:3], s33 offset:56 ; 4-byte Folded Spill
	s_nop 0
	buffer_store_dword v1, off, s[0:3], s33 offset:60 ; 4-byte Folded Spill
.LBB4_7910:                             ;   in Loop: Header=BB4_7882 Depth=3
	s_or_b64 exec, exec, s[28:29]
	s_and_saveexec_b64 s[26:27], s[10:11]
	s_cbranch_execz .LBB4_7929
; %bb.7911:                             ;   in Loop: Header=BB4_7882 Depth=3
	s_and_saveexec_b64 s[28:29], s[58:59]
	s_xor_b64 s[28:29], exec, s[28:29]
	s_cbranch_execz .LBB4_7926
; %bb.7912:                             ;   in Loop: Header=BB4_7882 Depth=3
	s_and_saveexec_b64 s[40:41], s[16:17]
	s_cbranch_execz .LBB4_7925
; %bb.7913:                             ;   in Loop: Header=BB4_7882 Depth=3
	s_mov_b64 s[30:31], exec
	v_mbcnt_lo_u32_b32 v0, s30, 0
	v_mbcnt_hi_u32_b32 v0, s31, v0
	v_cmp_eq_u32_e32 vcc, 0, v0
	s_waitcnt vmcnt(0) lgkmcnt(0)
	buffer_wbinvl1_vol
	s_and_saveexec_b64 s[94:95], vcc
	s_cbranch_execz .LBB4_7915
; %bb.7914:                             ;   in Loop: Header=BB4_7882 Depth=3
	s_bcnt1_i32_b64 vcc_lo, s[30:31]
	v_mov_b32_e32 v0, vcc_lo
	v_mov_b32_e32 v1, v61
	ds_add_u64 v0, v[0:1]
	s_trap 2
.LBB4_7915:                             ;   in Loop: Header=BB4_7882 Depth=3
	s_or_b64 exec, exec, s[94:95]
	s_trap 2
	ds_read_b64 v[0:1], v0
	s_waitcnt lgkmcnt(0)
	v_add_co_u32_e32 v40, vcc, v40, v21
	v_addc_co_u32_e32 v41, vcc, 0, v41, vcc
	v_cmp_lt_u64_e32 vcc, v[0:1], v[40:41]
	s_and_saveexec_b64 s[94:95], vcc
	s_cbranch_execz .LBB4_7924
; %bb.7916:                             ;   in Loop: Header=BB4_7882 Depth=3
	s_mov_b32 s50, 0
	s_mov_b64 s[30:31], 0
                                        ; implicit-def: $sgpr34_sgpr35
                                        ; implicit-def: $sgpr36_sgpr37
	s_branch .LBB4_7918
.LBB4_7917:                             ;   in Loop: Header=BB4_7918 Depth=4
	s_or_b64 exec, exec, s[48:49]
	s_and_b64 vcc, exec, vcc
	s_or_b64 s[30:31], vcc, s[30:31]
	s_andn2_b64 vcc, s[34:35], exec
	s_and_b64 s[34:35], s[36:37], exec
	s_or_b64 s[34:35], vcc, s[34:35]
	s_andn2_b64 exec, exec, s[30:31]
	s_cbranch_execz .LBB4_7922
.LBB4_7918:                             ;   Parent Loop BB4_47 Depth=1
                                        ;     Parent Loop BB4_7879 Depth=2
                                        ;       Parent Loop BB4_7882 Depth=3
                                        ; =>      This Inner Loop Header: Depth=4
	s_add_i32 s50, s50, 1
	s_cmpk_lg_i32 s50, 0x2710
	s_cselect_b64 s[38:39], -1, 0
	s_and_b64 vcc, exec, s[38:39]
	s_cbranch_vccz .LBB4_7920
; %bb.7919:                             ;   in Loop: Header=BB4_7918 Depth=4
	s_mov_b64 vcc, -1
	s_or_b64 s[36:37], s[36:37], exec
	s_and_saveexec_b64 s[48:49], s[38:39]
	s_cbranch_execz .LBB4_7917
	s_branch .LBB4_7921
.LBB4_7920:                             ;   in Loop: Header=BB4_7918 Depth=4
	s_trap 2
	ds_read_b64 v[0:1], v0
	s_andn2_b64 s[38:39], s[38:39], exec
	s_mov_b32 s50, 0
	s_waitcnt lgkmcnt(0)
	flat_load_dword v0, v[0:1] glc
	s_waitcnt vmcnt(0) lgkmcnt(0)
	buffer_wbinvl1_vol
	v_cmp_eq_u32_e32 vcc, 0, v0
	s_and_b64 vcc, vcc, exec
	s_or_b64 s[38:39], s[38:39], vcc
	s_mov_b64 vcc, -1
	s_or_b64 s[36:37], s[36:37], exec
	s_and_saveexec_b64 s[48:49], s[38:39]
	s_cbranch_execz .LBB4_7917
.LBB4_7921:                             ;   in Loop: Header=BB4_7918 Depth=4
	s_sleep 1
	s_trap 2
	ds_read_b64 v[0:1], v0
	s_waitcnt lgkmcnt(0)
	s_andn2_b64 s[36:37], s[36:37], exec
	v_cmp_ge_u64_e32 vcc, v[0:1], v[40:41]
	s_orn2_b64 vcc, vcc, exec
	s_branch .LBB4_7917
.LBB4_7922:                             ;   in Loop: Header=BB4_7882 Depth=3
	s_or_b64 exec, exec, s[30:31]
	s_and_saveexec_b64 vcc, s[34:35]
	s_xor_b64 vcc, exec, vcc
	s_cbranch_execz .LBB4_7924
; %bb.7923:                             ;   in Loop: Header=BB4_7882 Depth=3
	v_mov_b32_e32 v0, 1
	ds_write_b32 v0, v0
	s_trap 2
.LBB4_7924:                             ;   in Loop: Header=BB4_7882 Depth=3
	s_or_b64 exec, exec, s[94:95]
	;;#ASMSTART
	s_wakeup
	;;#ASMEND
.LBB4_7925:                             ;   in Loop: Header=BB4_7882 Depth=3
	s_or_b64 exec, exec, s[40:41]
.LBB4_7926:                             ;   in Loop: Header=BB4_7882 Depth=3
	s_andn2_saveexec_b64 s[28:29], s[28:29]
	s_cbranch_execz .LBB4_7928
; %bb.7927:                             ;   in Loop: Header=BB4_7882 Depth=3
	s_waitcnt vmcnt(0) lgkmcnt(0)
	buffer_wbinvl1_vol
	s_barrier
.LBB4_7928:                             ;   in Loop: Header=BB4_7882 Depth=3
	s_or_b64 exec, exec, s[28:29]
.LBB4_7929:                             ;   in Loop: Header=BB4_7882 Depth=3
	s_or_b64 exec, exec, s[26:27]
	s_trap 2
	ds_read_b32 v2, v0
	v_and_b32_e32 v0, 0x4000, v46
	v_cmp_ne_u32_e32 vcc, 0, v0
	s_xor_b64 s[26:27], s[6:7], -1
	s_and_b64 s[28:29], s[26:27], vcc
	s_and_saveexec_b64 s[26:27], s[28:29]
	s_cbranch_execz .LBB4_7948
; %bb.7930:                             ;   in Loop: Header=BB4_7882 Depth=3
	s_and_saveexec_b64 s[28:29], s[58:59]
	s_xor_b64 s[28:29], exec, s[28:29]
	s_cbranch_execz .LBB4_7945
; %bb.7931:                             ;   in Loop: Header=BB4_7882 Depth=3
	s_and_saveexec_b64 s[40:41], s[16:17]
	s_cbranch_execz .LBB4_7944
; %bb.7932:                             ;   in Loop: Header=BB4_7882 Depth=3
	s_mov_b64 s[30:31], exec
	v_mbcnt_lo_u32_b32 v0, s30, 0
	v_mbcnt_hi_u32_b32 v0, s31, v0
	v_cmp_eq_u32_e32 vcc, 0, v0
	s_waitcnt vmcnt(0) lgkmcnt(0)
	buffer_wbinvl1_vol
	s_and_saveexec_b64 s[94:95], vcc
	s_cbranch_execz .LBB4_7934
; %bb.7933:                             ;   in Loop: Header=BB4_7882 Depth=3
	s_bcnt1_i32_b64 vcc_lo, s[30:31]
	v_mov_b32_e32 v0, vcc_lo
	v_mov_b32_e32 v1, v61
	ds_add_u64 v0, v[0:1]
	s_trap 2
.LBB4_7934:                             ;   in Loop: Header=BB4_7882 Depth=3
	s_or_b64 exec, exec, s[94:95]
	s_trap 2
	ds_read_b64 v[0:1], v0
	s_waitcnt lgkmcnt(0)
	v_add_co_u32_e32 v40, vcc, v40, v21
	v_addc_co_u32_e32 v41, vcc, 0, v41, vcc
	v_cmp_lt_u64_e32 vcc, v[0:1], v[40:41]
	s_and_saveexec_b64 s[94:95], vcc
	s_cbranch_execz .LBB4_7943
; %bb.7935:                             ;   in Loop: Header=BB4_7882 Depth=3
	s_mov_b32 s50, 0
	s_mov_b64 s[30:31], 0
                                        ; implicit-def: $sgpr34_sgpr35
                                        ; implicit-def: $sgpr36_sgpr37
	s_branch .LBB4_7937
.LBB4_7936:                             ;   in Loop: Header=BB4_7937 Depth=4
	s_or_b64 exec, exec, s[48:49]
	s_and_b64 vcc, exec, vcc
	s_or_b64 s[30:31], vcc, s[30:31]
	s_andn2_b64 vcc, s[34:35], exec
	s_and_b64 s[34:35], s[36:37], exec
	s_or_b64 s[34:35], vcc, s[34:35]
	s_andn2_b64 exec, exec, s[30:31]
	s_cbranch_execz .LBB4_7941
.LBB4_7937:                             ;   Parent Loop BB4_47 Depth=1
                                        ;     Parent Loop BB4_7879 Depth=2
                                        ;       Parent Loop BB4_7882 Depth=3
                                        ; =>      This Inner Loop Header: Depth=4
	s_add_i32 s50, s50, 1
	s_cmpk_lg_i32 s50, 0x2710
	s_cselect_b64 s[38:39], -1, 0
	s_and_b64 vcc, exec, s[38:39]
	s_cbranch_vccz .LBB4_7939
; %bb.7938:                             ;   in Loop: Header=BB4_7937 Depth=4
	s_mov_b64 vcc, -1
	s_or_b64 s[36:37], s[36:37], exec
	s_and_saveexec_b64 s[48:49], s[38:39]
	s_cbranch_execz .LBB4_7936
	s_branch .LBB4_7940
.LBB4_7939:                             ;   in Loop: Header=BB4_7937 Depth=4
	s_trap 2
	ds_read_b64 v[0:1], v0
	s_andn2_b64 s[38:39], s[38:39], exec
	s_mov_b32 s50, 0
	s_waitcnt lgkmcnt(0)
	flat_load_dword v0, v[0:1] glc
	s_waitcnt vmcnt(0) lgkmcnt(0)
	buffer_wbinvl1_vol
	v_cmp_eq_u32_e32 vcc, 0, v0
	s_and_b64 vcc, vcc, exec
	s_or_b64 s[38:39], s[38:39], vcc
	s_mov_b64 vcc, -1
	s_or_b64 s[36:37], s[36:37], exec
	s_and_saveexec_b64 s[48:49], s[38:39]
	s_cbranch_execz .LBB4_7936
.LBB4_7940:                             ;   in Loop: Header=BB4_7937 Depth=4
	s_sleep 1
	s_trap 2
	ds_read_b64 v[0:1], v0
	s_waitcnt lgkmcnt(0)
	s_andn2_b64 s[36:37], s[36:37], exec
	v_cmp_ge_u64_e32 vcc, v[0:1], v[40:41]
	s_orn2_b64 vcc, vcc, exec
	s_branch .LBB4_7936
.LBB4_7941:                             ;   in Loop: Header=BB4_7882 Depth=3
	s_or_b64 exec, exec, s[30:31]
	s_and_saveexec_b64 vcc, s[34:35]
	s_xor_b64 vcc, exec, vcc
	s_cbranch_execz .LBB4_7943
; %bb.7942:                             ;   in Loop: Header=BB4_7882 Depth=3
	v_mov_b32_e32 v0, 1
	ds_write_b32 v0, v0
	s_trap 2
.LBB4_7943:                             ;   in Loop: Header=BB4_7882 Depth=3
	s_or_b64 exec, exec, s[94:95]
	;;#ASMSTART
	s_wakeup
	;;#ASMEND
.LBB4_7944:                             ;   in Loop: Header=BB4_7882 Depth=3
	s_or_b64 exec, exec, s[40:41]
.LBB4_7945:                             ;   in Loop: Header=BB4_7882 Depth=3
	s_andn2_saveexec_b64 s[28:29], s[28:29]
	s_cbranch_execz .LBB4_7947
; %bb.7946:                             ;   in Loop: Header=BB4_7882 Depth=3
	s_waitcnt vmcnt(0) lgkmcnt(0)
	buffer_wbinvl1_vol
	s_barrier
.LBB4_7947:                             ;   in Loop: Header=BB4_7882 Depth=3
	s_or_b64 exec, exec, s[28:29]
.LBB4_7948:                             ;   in Loop: Header=BB4_7882 Depth=3
	s_or_b64 exec, exec, s[26:27]
	s_trap 2
	ds_read_b64 v[4:5], v0
	s_waitcnt lgkmcnt(0)
	v_cmp_eq_u64_e32 vcc, 0, v[4:5]
	s_cbranch_vccnz .LBB4_7957
; %bb.7949:                             ;   in Loop: Header=BB4_7882 Depth=3
	s_trap 2
	ds_read_b64 v[13:14], v0
	s_waitcnt lgkmcnt(0)
	v_cmp_eq_u64_e32 vcc, 0, v[13:14]
	s_cbranch_vccnz .LBB4_7957
; %bb.7950:                             ;   in Loop: Header=BB4_7882 Depth=3
	s_trap 2
	ds_read_b64 v[0:1], v0
	v_cmp_eq_u32_e64 s[26:27], 0, v2
	v_cndmask_b32_e64 v19, 0, v12, s[26:27]
	s_waitcnt lgkmcnt(0)
	v_cmp_ne_u64_e32 vcc, 0, v[0:1]
	s_cbranch_vccz .LBB4_7962
; %bb.7951:                             ;   in Loop: Header=BB4_7882 Depth=3
	s_mov_b64 s[28:29], -1
	s_and_saveexec_b64 s[26:27], s[20:21]
	s_cbranch_execz .LBB4_7953
; %bb.7952:                             ;   in Loop: Header=BB4_7882 Depth=3
	ds_read_b32 v2, v0 offset:720
	s_waitcnt lgkmcnt(0)
	v_and_b32_e32 v2, 15, v2
	v_cmp_eq_u32_e32 vcc, 0, v2
	s_orn2_b64 s[28:29], vcc, exec
.LBB4_7953:                             ;   in Loop: Header=BB4_7882 Depth=3
	s_or_b64 exec, exec, s[26:27]
	s_and_saveexec_b64 s[26:27], s[22:23]
	s_cbranch_execz .LBB4_7955
; %bb.7954:                             ;   in Loop: Header=BB4_7882 Depth=3
	ds_read_b32 v2, v0 offset:784
	s_waitcnt lgkmcnt(0)
	v_and_b32_e32 v2, 15, v2
	v_cmp_eq_u32_e32 vcc, 0, v2
	s_and_b64 s[40:41], s[28:29], vcc
	s_andn2_b64 s[28:29], s[28:29], exec
	s_and_b64 s[40:41], s[40:41], exec
	s_or_b64 s[28:29], s[28:29], s[40:41]
.LBB4_7955:                             ;   in Loop: Header=BB4_7882 Depth=3
	s_or_b64 exec, exec, s[26:27]
	s_xor_b64 s[28:29], s[28:29], -1
	v_cndmask_b32_e64 v2, 0, 1, s[28:29]
	v_cmp_ne_u32_e32 vcc, 0, v2
	buffer_load_dword v20, off, s[0:3], s33 offset:148 ; 4-byte Folded Reload
	buffer_load_dword v2, off, s[0:3], s33 offset:112 ; 4-byte Folded Reload
	s_mov_b64 s[26:27], -1
	v_mov_b32_e32 v6, 0
	v_mov_b32_e32 v7, v19
	s_cbranch_vccz .LBB4_7964
; %bb.7956:                             ;   in Loop: Header=BB4_7882 Depth=3
	s_and_saveexec_b64 s[40:41], s[26:27]
	s_cbranch_execnz .LBB4_7979
	s_branch .LBB4_7989
.LBB4_7957:                             ;   in Loop: Header=BB4_7882 Depth=3
	s_mov_b64 s[26:27], 0
	s_and_saveexec_b64 s[28:29], s[10:11]
	s_cbranch_execnz .LBB4_8018
.LBB4_7958:                             ;   in Loop: Header=BB4_7882 Depth=3
	s_or_b64 exec, exec, s[28:29]
                                        ; implicit-def: $vgpr0
	s_and_saveexec_b64 s[28:29], s[24:25]
	s_xor_b64 s[28:29], exec, s[28:29]
	s_cbranch_execz .LBB4_8036
.LBB4_7959:                             ;   in Loop: Header=BB4_7882 Depth=3
	v_and_b32_e32 v1, 16, v46
	v_cmp_ne_u32_e32 vcc, 0, v1
	v_and_b32_e32 v0, 16, v46
	s_and_b64 s[40:41], vcc, s[26:27]
	s_and_saveexec_b64 s[26:27], s[40:41]
	s_cbranch_execz .LBB4_7961
; %bb.7960:                             ;   in Loop: Header=BB4_7882 Depth=3
	v_mov_b32_e32 v0, 1
	s_waitcnt vmcnt(0) lgkmcnt(0)
	buffer_wbinvl1_vol
.LBB4_7961:                             ;   in Loop: Header=BB4_7882 Depth=3
	s_or_b64 exec, exec, s[26:27]
	s_andn2_saveexec_b64 s[26:27], s[28:29]
	s_cbranch_execz .LBB4_8055
	s_branch .LBB4_8037
.LBB4_7962:                             ;   in Loop: Header=BB4_7882 Depth=3
	s_cbranch_execnz .LBB4_7990
.LBB4_7963:                             ;   in Loop: Header=BB4_7882 Depth=3
	v_cmp_lt_i32_e64 s[26:27], 0, v19
	s_and_saveexec_b64 s[28:29], s[10:11]
	s_cbranch_execnz .LBB4_8018
	s_branch .LBB4_7958
.LBB4_7964:                             ;   in Loop: Header=BB4_7882 Depth=3
	s_waitcnt vmcnt(0)
	v_ashrrev_i32_e32 v2, 31, v19
	v_lshrrev_b32_e32 v2, 21, v2
	v_add_u32_e32 v2, v19, v2
	v_ashrrev_i32_e32 v11, 11, v2
	buffer_load_dword v2, off, s[0:3], s33 offset:112 ; 4-byte Folded Reload
	s_waitcnt vmcnt(0)
	v_sub_u32_e32 v10, v11, v2
	v_cmp_lt_i32_e32 vcc, 0, v10
	s_and_saveexec_b64 s[26:27], vcc
	s_cbranch_execz .LBB4_7968
; %bb.7965:                             ;   in Loop: Header=BB4_7882 Depth=3
	buffer_load_dword v8, off, s[0:3], s33 offset:248 ; 4-byte Folded Reload
	buffer_load_dword v9, off, s[0:3], s33 offset:252 ; 4-byte Folded Reload
	;; [unrolled: 1-line block ×4, first 2 shown]
	s_mov_b64 s[28:29], 0
	s_waitcnt vmcnt(3)
	v_add_co_u32_e32 v2, vcc, v4, v8
	s_waitcnt vmcnt(2)
	v_addc_co_u32_e32 v3, vcc, v5, v9, vcc
	v_add_co_u32_e32 v6, vcc, v13, v8
	v_addc_co_u32_e32 v7, vcc, v14, v9, vcc
	v_add_co_u32_e32 v8, vcc, v0, v8
	v_addc_co_u32_e32 v9, vcc, v1, v9, vcc
.LBB4_7966:                             ;   Parent Loop BB4_47 Depth=1
                                        ;     Parent Loop BB4_7879 Depth=2
                                        ;       Parent Loop BB4_7882 Depth=3
                                        ; =>      This Inner Loop Header: Depth=4
	global_load_dwordx4 v[20:23], v[2:3], off glc slc
	global_load_dwordx4 v[24:27], v[2:3], off offset:1024 glc slc
	s_waitcnt vmcnt(2)
	v_add_co_u32_e32 v2, vcc, v2, v29
	v_addc_co_u32_e32 v3, vcc, 0, v3, vcc
	v_sub_u32_e32 v10, v10, v28
	v_cmp_gt_i32_e32 vcc, 1, v10
	s_or_b64 s[28:29], vcc, s[28:29]
	s_waitcnt vmcnt(1)
	global_store_dwordx4 v[6:7], v[20:23], off glc slc
	s_waitcnt vmcnt(1)
	global_store_dwordx4 v[6:7], v[24:27], off offset:1024 glc slc
	global_store_dwordx4 v[8:9], v[20:23], off glc slc
	global_store_dwordx4 v[8:9], v[24:27], off offset:1024 glc slc
	v_add_co_u32_e32 v6, vcc, v6, v29
	v_addc_co_u32_e32 v7, vcc, 0, v7, vcc
	v_add_co_u32_e32 v8, vcc, v8, v29
	v_addc_co_u32_e32 v9, vcc, 0, v9, vcc
	s_andn2_b64 exec, exec, s[28:29]
	s_cbranch_execnz .LBB4_7966
; %bb.7967:                             ;   in Loop: Header=BB4_7882 Depth=3
	s_or_b64 exec, exec, s[28:29]
.LBB4_7968:                             ;   in Loop: Header=BB4_7882 Depth=3
	s_or_b64 exec, exec, s[26:27]
	v_lshlrev_b32_e32 v21, 11, v11
	v_cmp_ne_u32_e32 vcc, v19, v21
	s_mov_b64 s[26:27], 0
	v_mov_b32_e32 v6, 0
                                        ; implicit-def: $vgpr7
                                        ; implicit-def: $vgpr20
                                        ; implicit-def: $vgpr2
	s_and_saveexec_b64 s[94:95], vcc
	s_cbranch_execz .LBB4_7978
; %bb.7969:                             ;   in Loop: Header=BB4_7882 Depth=3
	buffer_load_dword v6, off, s[0:3], s33 offset:228 ; 4-byte Folded Reload
	v_lshlrev_b32_e32 v2, 6, v10
	v_sub_u32_e32 v3, v19, v21
	v_ashrrev_i32_e32 v8, 31, v3
	v_lshrrev_b32_e32 v8, 22, v8
	v_add_u32_e32 v8, v3, v8
	v_and_b32_e32 v23, 0xfffffc00, v8
	v_sub_u32_e32 v25, v3, v23
	v_ashrrev_i32_e32 v9, 10, v8
	v_cmp_lt_i32_e64 s[26:27], 15, v25
	s_waitcnt vmcnt(0)
	v_sub_u32_e32 v2, v6, v2
	v_ashrrev_i32_e32 v6, 31, v2
	v_lshrrev_b32_e32 v6, 26, v6
	v_add_u32_e32 v6, v2, v6
	v_ashrrev_i32_e32 v7, 6, v6
	v_and_b32_e32 v6, 0xffffffc0, v6
	v_sub_u32_e32 v22, v2, v6
	v_lshlrev_b32_e32 v2, 4, v22
	v_lshl_add_u32 v2, v7, 10, v2
	v_sub_u32_e32 v6, v3, v2
	v_addc_co_u32_e64 v3, vcc, 0, v9, s[26:27]
	v_sub_u32_e32 v24, v3, v7
	v_cmp_lt_i32_e32 vcc, 15, v6
	s_and_saveexec_b64 s[30:31], vcc
	s_cbranch_execz .LBB4_7975
; %bb.7970:                             ;   in Loop: Header=BB4_7882 Depth=3
	v_add_u32_e32 v8, v2, v21
	v_ashrrev_i32_e32 v9, 31, v8
	v_add_co_u32_e32 v2, vcc, v8, v4
	v_addc_co_u32_e32 v3, vcc, v9, v5, vcc
	v_add_co_u32_e32 v7, vcc, v8, v13
	v_addc_co_u32_e32 v20, vcc, v9, v14, vcc
	;; [unrolled: 2-line block ×3, first 2 shown]
	s_mov_b64 s[34:35], 0
.LBB4_7971:                             ;   Parent Loop BB4_47 Depth=1
                                        ;     Parent Loop BB4_7879 Depth=2
                                        ;       Parent Loop BB4_7882 Depth=3
                                        ; =>      This Loop Header: Depth=4
                                        ;           Child Loop BB4_7972 Depth 5
	global_load_dwordx4 v[8:11], v[2:3], off glc slc
	s_mov_b64 s[36:37], -1
	s_mov_b64 s[38:39], 0
	s_waitcnt vmcnt(0)
.LBB4_7972:                             ;   Parent Loop BB4_47 Depth=1
                                        ;     Parent Loop BB4_7879 Depth=2
                                        ;       Parent Loop BB4_7882 Depth=3
                                        ;         Parent Loop BB4_7971 Depth=4
                                        ; =>        This Inner Loop Header: Depth=5
	s_cmp_eq_u32 s38, 1
	s_cselect_b64 s[28:29], -1, 0
	v_cndmask_b32_e64 v29, v20, v27, s[28:29]
	v_cndmask_b32_e64 v28, v7, v26, s[28:29]
	global_store_dwordx4 v[28:29], v[8:11], off glc slc
	v_add_co_u32_e32 v28, vcc, 0x400, v28
	s_cmp_eq_u32 s38, 0
	v_addc_co_u32_e32 v29, vcc, 0, v29, vcc
	s_cselect_b64 vcc, -1, 0
	s_and_b64 s[40:41], exec, s[36:37]
	s_mov_b64 s[38:39], 1
	v_cndmask_b32_e64 v26, v26, v28, s[28:29]
	s_mov_b64 s[36:37], 0
	v_cndmask_b32_e64 v27, v27, v29, s[28:29]
	v_cndmask_b32_e32 v20, v20, v29, vcc
	v_cndmask_b32_e32 v7, v7, v28, vcc
	s_mov_b64 vcc, s[40:41]
	s_cbranch_vccnz .LBB4_7972
; %bb.7973:                             ;   in Loop: Header=BB4_7971 Depth=4
	buffer_load_dword v8, off, s[0:3], s33 offset:160 ; 4-byte Folded Reload
	buffer_load_dword v9, off, s[0:3], s33 offset:164 ; 4-byte Folded Reload
	s_waitcnt vmcnt(1)
	v_add_co_u32_e32 v7, vcc, v7, v8
	s_waitcnt vmcnt(0)
	v_addc_co_u32_e32 v20, vcc, v20, v9, vcc
	v_add_co_u32_e32 v26, vcc, v26, v8
	buffer_load_dword v8, off, s[0:3], s33 offset:168 ; 4-byte Folded Reload
	v_addc_co_u32_e32 v27, vcc, v27, v9, vcc
	s_waitcnt vmcnt(0)
	v_add_co_u32_e32 v2, vcc, v8, v2
	buffer_load_dword v8, off, s[0:3], s33 offset:172 ; 4-byte Folded Reload
	s_waitcnt vmcnt(0)
	v_addc_co_u32_e32 v3, vcc, v8, v3, vcc
	buffer_load_dword v8, off, s[0:3], s33 offset:68 ; 4-byte Folded Reload
	s_waitcnt vmcnt(0)
	v_sub_u32_e32 v6, v6, v8
	buffer_load_dword v8, off, s[0:3], s33 offset:64 ; 4-byte Folded Reload
	v_cmp_gt_i32_e32 vcc, 16, v6
	s_or_b64 s[34:35], vcc, s[34:35]
	s_waitcnt vmcnt(0)
	v_sub_u32_e32 v24, v24, v8
	s_andn2_b64 exec, exec, s[34:35]
	s_cbranch_execnz .LBB4_7971
; %bb.7974:                             ;   in Loop: Header=BB4_7882 Depth=3
	s_or_b64 exec, exec, s[34:35]
.LBB4_7975:                             ;   in Loop: Header=BB4_7882 Depth=3
	s_or_b64 exec, exec, s[30:31]
	v_and_b32_e32 v3, 15, v19
	v_cndmask_b32_e64 v7, v25, v3, s[26:27]
	v_mov_b32_e32 v6, 0
	v_cmp_ne_u32_e32 vcc, 0, v7
	s_mov_b64 s[40:41], 0
                                        ; implicit-def: $vgpr20
                                        ; implicit-def: $vgpr2
	s_and_saveexec_b64 s[28:29], vcc
	s_cbranch_execz .LBB4_7977
; %bb.7976:                             ;   in Loop: Header=BB4_7882 Depth=3
	v_sub_u32_e32 v2, v25, v3
	v_cndmask_b32_e64 v2, 0, v2, s[26:27]
	v_add3_u32 v6, v23, v21, v2
	buffer_load_dword v2, off, s[0:3], s33 offset:64 ; 4-byte Folded Reload
	v_cmp_lt_i32_e32 vcc, 0, v24
	s_mov_b64 s[40:41], exec
	s_waitcnt vmcnt(0)
	v_cndmask_b32_e32 v2, 0, v2, vcc
	v_sub_u32_e32 v2, v2, v24
	v_lshl_add_u32 v20, v2, 6, v22
	v_ashrrev_i32_e32 v2, 31, v20
	v_lshrrev_b32_e32 v2, 26, v2
	v_add_u32_e32 v2, v20, v2
	v_ashrrev_i32_e32 v2, 6, v2
.LBB4_7977:                             ;   in Loop: Header=BB4_7882 Depth=3
	s_or_b64 exec, exec, s[28:29]
	s_and_b64 s[26:27], s[40:41], exec
.LBB4_7978:                             ;   in Loop: Header=BB4_7882 Depth=3
	s_or_b64 exec, exec, s[94:95]
	s_and_saveexec_b64 s[40:41], s[26:27]
	s_cbranch_execz .LBB4_7989
.LBB4_7979:                             ;   in Loop: Header=BB4_7882 Depth=3
	v_ashrrev_i32_e32 v3, 31, v7
	v_lshrrev_b32_e32 v3, 22, v3
	v_add_u32_e32 v3, v7, v3
	v_ashrrev_i32_e32 v23, 10, v3
	s_waitcnt vmcnt(0)
	v_sub_u32_e32 v21, v23, v2
	v_ashrrev_i32_e32 v3, 31, v20
	v_cmp_lt_i32_e32 vcc, 0, v21
	v_lshrrev_b32_e32 v22, 26, v3
	s_and_saveexec_b64 s[26:27], vcc
	s_cbranch_execz .LBB4_7983
; %bb.7980:                             ;   in Loop: Header=BB4_7882 Depth=3
	buffer_load_dword v50, off, s[0:3], s33 offset:64 ; 4-byte Folded Reload
	buffer_load_dword v51, off, s[0:3], s33 offset:68 ; 4-byte Folded Reload
	v_add_u32_e32 v3, v20, v22
	v_and_b32_e32 v3, 0xffffffc0, v3
	v_sub_u32_e32 v3, v20, v3
	v_lshlrev_b32_e32 v2, 10, v2
	v_add3_u32 v10, v6, v3, v2
	v_ashrrev_i32_e32 v11, 31, v10
	v_add_co_u32_e32 v2, vcc, v10, v13
	v_addc_co_u32_e32 v3, vcc, v11, v14, vcc
	v_add_co_u32_e32 v8, vcc, v10, v0
	v_addc_co_u32_e32 v9, vcc, v11, v1, vcc
	;; [unrolled: 2-line block ×4, first 2 shown]
	s_mov_b64 s[28:29], 0
.LBB4_7981:                             ;   Parent Loop BB4_47 Depth=1
                                        ;     Parent Loop BB4_7879 Depth=2
                                        ;       Parent Loop BB4_7882 Depth=3
                                        ; =>      This Inner Loop Header: Depth=4
	v_add_co_u32_e32 v0, vcc, 0xfffffc40, v10
	v_addc_co_u32_e32 v1, vcc, -1, v11, vcc
	v_add_co_u32_e32 v24, vcc, 0xfffffc80, v10
	v_addc_co_u32_e32 v25, vcc, -1, v11, vcc
	flat_load_ubyte v0, v[0:1] glc slc
	s_waitcnt vmcnt(0)
	v_sub_u32_e32 v21, v21, v50
	flat_load_ubyte v1, v[24:25] glc slc
	v_add_co_u32_e32 v24, vcc, 0xfffffcc0, v10
	v_addc_co_u32_e32 v25, vcc, -1, v11, vcc
	flat_load_ubyte v24, v[24:25] glc slc
	v_add_co_u32_e32 v25, vcc, 0xfffffd00, v10
	v_addc_co_u32_e32 v26, vcc, -1, v11, vcc
	;; [unrolled: 3-line block ×7, first 2 shown]
	v_add_co_u32_e32 v34, vcc, 0xfffffe80, v10
	v_addc_co_u32_e32 v35, vcc, -1, v11, vcc
	flat_load_ubyte v30, v[30:31] glc slc
	s_nop 0
	flat_load_ubyte v31, v[34:35] glc slc
	v_add_co_u32_e32 v34, vcc, 0xfffffec0, v10
	v_addc_co_u32_e32 v35, vcc, -1, v11, vcc
	flat_load_ubyte v34, v[34:35] glc slc
	v_add_co_u32_e32 v35, vcc, 0xffffff00, v10
	v_addc_co_u32_e32 v36, vcc, -1, v11, vcc
	flat_load_ubyte v35, v[35:36] glc slc
	v_add_co_u32_e32 v36, vcc, 0xffffff40, v10
	v_addc_co_u32_e32 v37, vcc, -1, v11, vcc
	flat_load_ubyte v36, v[36:37] glc slc
	v_add_co_u32_e32 v37, vcc, s70, v10
	v_addc_co_u32_e32 v38, vcc, -1, v11, vcc
	flat_load_ubyte v37, v[37:38] glc slc
	v_add_co_u32_e32 v38, vcc, s68, v10
	v_addc_co_u32_e32 v39, vcc, -1, v11, vcc
	flat_load_ubyte v38, v[38:39] glc slc
	s_nop 0
	flat_load_ubyte v39, v[10:11] glc slc
	s_waitcnt lgkmcnt(0)
	flat_store_byte v[2:3], v0 glc slc
	s_waitcnt vmcnt(0)
	flat_store_byte v[2:3], v1 offset:64 glc slc
	flat_store_byte v[2:3], v24 offset:128 glc slc
	;; [unrolled: 1-line block ×15, first 2 shown]
	flat_store_byte v[8:9], v0 glc slc
	flat_store_byte v[8:9], v1 offset:64 glc slc
	flat_store_byte v[8:9], v24 offset:128 glc slc
	flat_store_byte v[8:9], v25 offset:192 glc slc
	flat_store_byte v[8:9], v26 offset:256 glc slc
	flat_store_byte v[8:9], v27 offset:320 glc slc
	flat_store_byte v[8:9], v28 offset:384 glc slc
	flat_store_byte v[8:9], v29 offset:448 glc slc
	flat_store_byte v[8:9], v30 offset:512 glc slc
	flat_store_byte v[8:9], v31 offset:576 glc slc
	flat_store_byte v[8:9], v34 offset:640 glc slc
	flat_store_byte v[8:9], v35 offset:704 glc slc
	flat_store_byte v[8:9], v36 offset:768 glc slc
	flat_store_byte v[8:9], v37 offset:832 glc slc
	flat_store_byte v[8:9], v38 offset:896 glc slc
	flat_store_byte v[8:9], v39 offset:960 glc slc
	v_add_co_u32_e32 v2, vcc, v2, v51
	v_addc_co_u32_e32 v3, vcc, 0, v3, vcc
	v_add_co_u32_e32 v8, vcc, v8, v51
	v_addc_co_u32_e32 v9, vcc, 0, v9, vcc
	;; [unrolled: 2-line block ×3, first 2 shown]
	v_cmp_gt_i32_e32 vcc, 1, v21
	s_or_b64 s[28:29], vcc, s[28:29]
	s_andn2_b64 exec, exec, s[28:29]
	s_cbranch_execnz .LBB4_7981
; %bb.7982:                             ;   in Loop: Header=BB4_7882 Depth=3
	s_or_b64 exec, exec, s[28:29]
.LBB4_7983:                             ;   in Loop: Header=BB4_7882 Depth=3
	s_or_b64 exec, exec, s[26:27]
	v_lshlrev_b32_e32 v0, 10, v23
	v_cmp_ne_u32_e32 vcc, v7, v0
	s_and_b64 exec, exec, vcc
	s_cbranch_execz .LBB4_7989
; %bb.7984:                             ;   in Loop: Header=BB4_7882 Depth=3
	v_add_u32_e32 v1, v20, v22
	v_and_b32_e32 v1, 0xffffffc0, v1
	v_sub_u32_e32 v1, v20, v1
	v_lshlrev_b32_e32 v2, 6, v21
	v_sub_u32_e32 v1, v1, v2
	v_add_u32_e32 v0, v0, v1
	v_sub_u32_e32 v2, v7, v0
	v_cmp_lt_i32_e32 vcc, 0, v2
	s_and_b64 exec, exec, vcc
	s_cbranch_execz .LBB4_7989
; %bb.7985:                             ;   in Loop: Header=BB4_7882 Depth=3
	v_add_u32_e32 v10, v0, v6
	s_trap 2
	ds_read_b64 v[0:1], v0
	v_ashrrev_i32_e32 v11, 31, v10
	s_mov_b64 s[94:95], 0
	s_waitcnt lgkmcnt(0)
	v_add_co_u32_e32 v0, vcc, v0, v10
	ds_read_b128 v[6:9], v0
	v_addc_co_u32_e32 v1, vcc, v1, v11, vcc
	s_waitcnt lgkmcnt(0)
	v_add_co_u32_e32 v3, vcc, v6, v10
	v_addc_co_u32_e32 v6, vcc, v7, v11, vcc
	v_add_co_u32_e32 v7, vcc, v8, v10
	v_addc_co_u32_e32 v8, vcc, v9, v11, vcc
.LBB4_7986:                             ;   Parent Loop BB4_47 Depth=1
                                        ;     Parent Loop BB4_7879 Depth=2
                                        ;       Parent Loop BB4_7882 Depth=3
                                        ; =>      This Loop Header: Depth=4
                                        ;           Child Loop BB4_7987 Depth 5
	flat_load_ubyte v9, v[0:1] glc slc
	s_mov_b64 s[30:31], -1
	s_mov_b64 s[34:35], 0
	s_waitcnt vmcnt(0)
.LBB4_7987:                             ;   Parent Loop BB4_47 Depth=1
                                        ;     Parent Loop BB4_7879 Depth=2
                                        ;       Parent Loop BB4_7882 Depth=3
                                        ;         Parent Loop BB4_7986 Depth=4
                                        ; =>        This Inner Loop Header: Depth=5
	s_cmp_eq_u32 s34, 1
	s_cselect_b64 vcc, -1, 0
	v_cndmask_b32_e32 v11, v6, v8, vcc
	v_cndmask_b32_e32 v10, v3, v7, vcc
	s_waitcnt lgkmcnt(0)
	flat_store_byte v[10:11], v9 glc slc
	v_add_co_u32_e64 v10, s[26:27], 64, v10
	s_cmp_eq_u32 s34, 0
	v_addc_co_u32_e64 v11, s[26:27], 0, v11, s[26:27]
	s_cselect_b64 s[26:27], -1, 0
	s_and_b64 s[28:29], exec, s[30:31]
	s_mov_b64 s[34:35], 1
	s_mov_b64 s[30:31], 0
	v_cndmask_b32_e32 v8, v8, v11, vcc
	v_cndmask_b32_e32 v7, v7, v10, vcc
	v_cndmask_b32_e64 v6, v6, v11, s[26:27]
	v_cndmask_b32_e64 v3, v3, v10, s[26:27]
	s_mov_b64 vcc, s[28:29]
	s_cbranch_vccnz .LBB4_7987
; %bb.7988:                             ;   in Loop: Header=BB4_7986 Depth=4
	buffer_load_dword v9, off, s[0:3], s33 offset:128 ; 4-byte Folded Reload
	buffer_load_dword v10, off, s[0:3], s33 offset:132 ; 4-byte Folded Reload
	s_waitcnt vmcnt(0)
	v_add_co_u32_e32 v3, vcc, v3, v9
	v_addc_co_u32_e32 v6, vcc, v6, v10, vcc
	v_add_co_u32_e32 v7, vcc, v7, v9
	buffer_load_dword v9, off, s[0:3], s33 offset:72 ; 4-byte Folded Reload
	v_addc_co_u32_e32 v8, vcc, v8, v10, vcc
	s_waitcnt vmcnt(0)
	v_sub_u32_e32 v2, v2, v9
	buffer_load_dword v9, off, s[0:3], s33 offset:136 ; 4-byte Folded Reload
	v_cmp_gt_i32_e32 vcc, 1, v2
	s_or_b64 s[94:95], vcc, s[94:95]
	s_waitcnt vmcnt(0)
	v_add_co_u32_e32 v0, vcc, v9, v0
	buffer_load_dword v9, off, s[0:3], s33 offset:140 ; 4-byte Folded Reload
	s_waitcnt vmcnt(0)
	v_addc_co_u32_e32 v1, vcc, v9, v1, vcc
	s_andn2_b64 exec, exec, s[94:95]
	s_cbranch_execnz .LBB4_7986
.LBB4_7989:                             ;   in Loop: Header=BB4_7882 Depth=3
	s_or_b64 exec, exec, s[40:41]
	buffer_load_dword v21, off, s[0:3], s33 offset:64 ; 4-byte Folded Reload
	s_branch .LBB4_7963
.LBB4_7990:                             ;   in Loop: Header=BB4_7882 Depth=3
	s_mov_b64 s[26:27], -1
	s_and_saveexec_b64 s[28:29], s[20:21]
	s_cbranch_execz .LBB4_7992
; %bb.7991:                             ;   in Loop: Header=BB4_7882 Depth=3
	ds_read_b32 v0, v0 offset:720
	s_waitcnt lgkmcnt(0)
	v_and_b32_e32 v0, 15, v0
	v_cmp_eq_u32_e32 vcc, 0, v0
	s_orn2_b64 s[26:27], vcc, exec
.LBB4_7992:                             ;   in Loop: Header=BB4_7882 Depth=3
	s_or_b64 exec, exec, s[28:29]
	s_and_saveexec_b64 s[28:29], s[18:19]
	s_cbranch_execz .LBB4_7994
; %bb.7993:                             ;   in Loop: Header=BB4_7882 Depth=3
	ds_read_b32 v0, v0 offset:784
	s_waitcnt lgkmcnt(0)
	v_and_b32_e32 v0, 15, v0
	v_cmp_eq_u32_e32 vcc, 0, v0
	s_and_b64 s[40:41], s[26:27], vcc
	s_andn2_b64 s[26:27], s[26:27], exec
	s_and_b64 s[40:41], s[40:41], exec
	s_or_b64 s[26:27], s[26:27], s[40:41]
.LBB4_7994:                             ;   in Loop: Header=BB4_7882 Depth=3
	s_or_b64 exec, exec, s[28:29]
	buffer_load_dword v2, off, s[0:3], s33 offset:148 ; 4-byte Folded Reload
	buffer_load_dword v7, off, s[0:3], s33 offset:112 ; 4-byte Folded Reload
	s_xor_b64 s[26:27], s[26:27], -1
	v_cndmask_b32_e64 v1, 0, 1, s[26:27]
	s_mov_b64 s[40:41], -1
	v_mov_b32_e32 v0, 0
	v_cmp_ne_u32_e32 vcc, 0, v1
	v_mov_b32_e32 v1, v19
	s_cbranch_vccz .LBB4_7996
; %bb.7995:                             ;   in Loop: Header=BB4_7882 Depth=3
	s_and_saveexec_b64 s[26:27], s[40:41]
	s_cbranch_execnz .LBB4_8009
	s_branch .LBB4_8017
.LBB4_7996:                             ;   in Loop: Header=BB4_7882 Depth=3
	v_ashrrev_i32_e32 v0, 31, v19
	v_lshrrev_b32_e32 v0, 20, v0
	v_add_u32_e32 v0, v19, v0
	s_waitcnt vmcnt(0)
	v_ashrrev_i32_e32 v7, 12, v0
	buffer_load_dword v0, off, s[0:3], s33 offset:112 ; 4-byte Folded Reload
	s_waitcnt vmcnt(0)
	v_sub_u32_e32 v6, v7, v0
	v_cmp_lt_i32_e32 vcc, 0, v6
	s_and_saveexec_b64 s[26:27], vcc
	s_cbranch_execz .LBB4_8000
; %bb.7997:                             ;   in Loop: Header=BB4_7882 Depth=3
	buffer_load_dword v37, off, s[0:3], s33 offset:256 ; 4-byte Folded Reload
	buffer_load_dword v38, off, s[0:3], s33 offset:260 ; 4-byte Folded Reload
	;; [unrolled: 1-line block ×3, first 2 shown]
	v_mov_b32_e32 v0, v13
	v_mov_b32_e32 v2, v4
	s_mov_b64 s[28:29], 0
	v_mov_b32_e32 v1, v14
	v_mov_b32_e32 v3, v5
	;; [unrolled: 1-line block ×3, first 2 shown]
.LBB4_7998:                             ;   Parent Loop BB4_47 Depth=1
                                        ;     Parent Loop BB4_7879 Depth=2
                                        ;       Parent Loop BB4_7882 Depth=3
                                        ; =>      This Inner Loop Header: Depth=4
	s_waitcnt vmcnt(0)
	v_add_co_u32_e32 v28, vcc, v38, v2
	v_addc_co_u32_e32 v29, vcc, v39, v3, vcc
	global_load_dwordx4 v[8:11], v[28:29], off glc slc
	global_load_dwordx4 v[20:23], v[28:29], off offset:1024 glc slc
	global_load_dwordx4 v[24:27], v[28:29], off offset:2048 glc slc
	s_nop 0
	global_load_dwordx4 v[28:31], v[28:29], off offset:3072 glc slc
	v_add_co_u32_e32 v34, vcc, v38, v0
	v_addc_co_u32_e32 v35, vcc, v39, v1, vcc
	v_add_co_u32_e32 v2, vcc, v2, v37
	v_addc_co_u32_e32 v3, vcc, 0, v3, vcc
	v_add_co_u32_e32 v0, vcc, v0, v37
	v_sub_u32_e32 v6, v6, v36
	v_addc_co_u32_e32 v1, vcc, 0, v1, vcc
	v_cmp_gt_i32_e32 vcc, 1, v6
	s_or_b64 s[28:29], vcc, s[28:29]
	s_waitcnt vmcnt(0)
	global_store_dwordx4 v[34:35], v[8:11], off glc slc
	global_store_dwordx4 v[34:35], v[20:23], off offset:1024 glc slc
	global_store_dwordx4 v[34:35], v[24:27], off offset:2048 glc slc
	;; [unrolled: 1-line block ×3, first 2 shown]
	s_andn2_b64 exec, exec, s[28:29]
	s_cbranch_execnz .LBB4_7998
; %bb.7999:                             ;   in Loop: Header=BB4_7882 Depth=3
	s_or_b64 exec, exec, s[28:29]
	v_mov_b32_e32 v21, v36
.LBB4_8000:                             ;   in Loop: Header=BB4_7882 Depth=3
	s_or_b64 exec, exec, s[26:27]
	v_lshlrev_b32_e32 v3, 12, v7
	v_cmp_ne_u32_e32 vcc, v19, v3
	s_mov_b64 s[40:41], 0
	v_mov_b32_e32 v0, 0
                                        ; implicit-def: $vgpr1
                                        ; implicit-def: $vgpr2
                                        ; implicit-def: $vgpr7
	s_and_saveexec_b64 s[28:29], vcc
	s_cbranch_execz .LBB4_8008
; %bb.8001:                             ;   in Loop: Header=BB4_7882 Depth=3
	buffer_load_dword v1, off, s[0:3], s33 offset:228 ; 4-byte Folded Reload
	v_lshlrev_b32_e32 v0, 6, v6
	v_sub_u32_e32 v2, v19, v3
	v_ashrrev_i32_e32 v8, 31, v2
	v_lshrrev_b32_e32 v8, 22, v8
	v_add_u32_e32 v8, v2, v8
	v_ashrrev_i32_e32 v9, 10, v8
	v_and_b32_e32 v8, 0xfffffc00, v8
	v_sub_u32_e32 v10, v2, v8
	v_cmp_lt_i32_e32 vcc, 15, v10
	s_waitcnt vmcnt(0)
	v_sub_u32_e32 v0, v1, v0
	v_ashrrev_i32_e32 v1, 31, v0
	v_lshrrev_b32_e32 v1, 26, v1
	v_add_u32_e32 v1, v0, v1
	v_ashrrev_i32_e32 v7, 6, v1
	v_and_b32_e32 v1, 0xffffffc0, v1
	v_sub_u32_e32 v6, v0, v1
	v_lshlrev_b32_e32 v0, 4, v6
	v_lshl_add_u32 v1, v7, 10, v0
	v_sub_u32_e32 v0, v2, v1
	v_addc_co_u32_e64 v2, s[26:27], 0, v9, vcc
	v_sub_u32_e32 v9, v2, v7
	v_cmp_lt_i32_e64 s[26:27], 15, v0
	s_and_saveexec_b64 s[40:41], s[26:27]
	s_cbranch_execz .LBB4_8005
; %bb.8002:                             ;   in Loop: Header=BB4_7882 Depth=3
	buffer_load_dword v11, off, s[0:3], s33 offset:68 ; 4-byte Folded Reload
	v_add_u32_e32 v1, v1, v3
	v_ashrrev_i32_e32 v2, 31, v1
	s_mov_b64 s[94:95], 0
	v_mov_b32_e32 v7, v21
.LBB4_8003:                             ;   Parent Loop BB4_47 Depth=1
                                        ;     Parent Loop BB4_7879 Depth=2
                                        ;       Parent Loop BB4_7882 Depth=3
                                        ; =>      This Inner Loop Header: Depth=4
	v_add_co_u32_e64 v20, s[26:27], v4, v1
	v_addc_co_u32_e64 v21, s[26:27], v5, v2, s[26:27]
	global_load_dwordx4 v[20:23], v[20:21], off glc slc
	v_add_co_u32_e64 v24, s[26:27], v13, v1
	v_addc_co_u32_e64 v25, s[26:27], v14, v2, s[26:27]
	s_waitcnt vmcnt(0)
	v_add_co_u32_e64 v1, s[26:27], v1, v11
	v_sub_u32_e32 v0, v0, v11
	v_addc_co_u32_e64 v2, s[26:27], 0, v2, s[26:27]
	v_cmp_gt_i32_e64 s[26:27], 16, v0
	v_sub_u32_e32 v9, v9, v7
	s_or_b64 s[94:95], s[26:27], s[94:95]
	global_store_dwordx4 v[24:25], v[20:23], off glc slc
	s_andn2_b64 exec, exec, s[94:95]
	s_cbranch_execnz .LBB4_8003
; %bb.8004:                             ;   in Loop: Header=BB4_7882 Depth=3
	s_or_b64 exec, exec, s[94:95]
	v_mov_b32_e32 v21, v7
.LBB4_8005:                             ;   in Loop: Header=BB4_7882 Depth=3
	s_or_b64 exec, exec, s[40:41]
	v_and_b32_e32 v11, 15, v19
	v_cndmask_b32_e32 v1, v10, v11, vcc
	v_mov_b32_e32 v0, 0
	v_cmp_ne_u32_e64 s[26:27], 0, v1
	s_mov_b64 s[94:95], 0
                                        ; implicit-def: $vgpr2
                                        ; implicit-def: $vgpr7
	s_and_saveexec_b64 s[40:41], s[26:27]
	s_cbranch_execz .LBB4_8007
; %bb.8006:                             ;   in Loop: Header=BB4_7882 Depth=3
	v_sub_u32_e32 v0, v10, v11
	v_cndmask_b32_e32 v0, 0, v0, vcc
	v_cmp_lt_i32_e32 vcc, 0, v9
	v_cndmask_b32_e32 v2, 0, v21, vcc
	v_sub_u32_e32 v2, v2, v9
	v_lshl_add_u32 v2, v2, 6, v6
	v_add3_u32 v0, v8, v3, v0
	v_ashrrev_i32_e32 v3, 31, v2
	v_lshrrev_b32_e32 v3, 26, v3
	v_add_u32_e32 v3, v2, v3
	v_ashrrev_i32_e32 v7, 6, v3
	s_mov_b64 s[94:95], exec
.LBB4_8007:                             ;   in Loop: Header=BB4_7882 Depth=3
	s_or_b64 exec, exec, s[40:41]
	s_and_b64 s[40:41], s[94:95], exec
.LBB4_8008:                             ;   in Loop: Header=BB4_7882 Depth=3
	s_or_b64 exec, exec, s[28:29]
	s_and_saveexec_b64 s[26:27], s[40:41]
	s_cbranch_execz .LBB4_8017
.LBB4_8009:                             ;   in Loop: Header=BB4_7882 Depth=3
	v_ashrrev_i32_e32 v3, 31, v1
	v_lshrrev_b32_e32 v3, 22, v3
	v_add_u32_e32 v3, v1, v3
	v_ashrrev_i32_e32 v6, 10, v3
	s_waitcnt vmcnt(0)
	v_sub_u32_e32 v3, v6, v7
	v_cmp_lt_i32_e32 vcc, 0, v3
	s_and_saveexec_b64 s[28:29], vcc
	s_cbranch_execz .LBB4_8013
; %bb.8010:                             ;   in Loop: Header=BB4_7882 Depth=3
	buffer_load_dword v38, off, s[0:3], s33 offset:68 ; 4-byte Folded Reload
	v_ashrrev_i32_e32 v8, 31, v2
	v_lshrrev_b32_e32 v8, 26, v8
	v_add_u32_e32 v8, v2, v8
	v_and_b32_e32 v8, 0xffffffc0, v8
	v_sub_u32_e32 v8, v2, v8
	v_lshlrev_b32_e32 v7, 10, v7
	v_add3_u32 v7, v0, v8, v7
	v_ashrrev_i32_e32 v8, 31, v7
	s_mov_b64 s[40:41], 0
	v_mov_b32_e32 v37, v21
.LBB4_8011:                             ;   Parent Loop BB4_47 Depth=1
                                        ;     Parent Loop BB4_7879 Depth=2
                                        ;       Parent Loop BB4_7882 Depth=3
                                        ; =>      This Inner Loop Header: Depth=4
	v_add_co_u32_e32 v9, vcc, v7, v4
	v_addc_co_u32_e32 v10, vcc, v8, v5, vcc
	flat_load_ubyte v11, v[9:10] glc slc
	flat_load_ubyte v20, v[9:10] offset:64 glc slc
	flat_load_ubyte v21, v[9:10] offset:128 glc slc
	;; [unrolled: 1-line block ×15, first 2 shown]
	v_add_co_u32_e32 v9, vcc, v7, v13
	v_addc_co_u32_e32 v10, vcc, v8, v14, vcc
	s_waitcnt vmcnt(0)
	v_add_co_u32_e32 v4, vcc, v4, v38
	v_addc_co_u32_e32 v5, vcc, 0, v5, vcc
	v_add_co_u32_e32 v13, vcc, v13, v38
	v_sub_u32_e32 v3, v3, v37
	v_addc_co_u32_e32 v14, vcc, 0, v14, vcc
	v_cmp_gt_i32_e32 vcc, 1, v3
	s_or_b64 s[40:41], vcc, s[40:41]
	s_waitcnt lgkmcnt(0)
	flat_store_byte v[9:10], v11 glc slc
	flat_store_byte v[9:10], v20 offset:64 glc slc
	flat_store_byte v[9:10], v21 offset:128 glc slc
	;; [unrolled: 1-line block ×15, first 2 shown]
	s_andn2_b64 exec, exec, s[40:41]
	s_cbranch_execnz .LBB4_8011
; %bb.8012:                             ;   in Loop: Header=BB4_7882 Depth=3
	s_or_b64 exec, exec, s[40:41]
	v_mov_b32_e32 v21, v37
.LBB4_8013:                             ;   in Loop: Header=BB4_7882 Depth=3
	s_or_b64 exec, exec, s[28:29]
	buffer_load_dword v8, off, s[0:3], s33 offset:72 ; 4-byte Folded Reload
	v_lshlrev_b32_e32 v4, 10, v6
	v_cmp_ne_u32_e32 vcc, v1, v4
	s_and_b64 s[28:29], exec, vcc
	s_mov_b64 exec, s[28:29]
	s_cbranch_execz .LBB4_8017
; %bb.8014:                             ;   in Loop: Header=BB4_7882 Depth=3
	v_ashrrev_i32_e32 v5, 31, v2
	v_lshrrev_b32_e32 v5, 26, v5
	v_add_u32_e32 v5, v2, v5
	v_and_b32_e32 v5, 0xffffffc0, v5
	v_sub_u32_e32 v2, v2, v5
	v_lshlrev_b32_e32 v3, 6, v3
	v_sub_u32_e32 v2, v2, v3
	v_add_u32_e32 v3, v4, v2
	v_sub_u32_e32 v2, v1, v3
	v_cmp_lt_i32_e32 vcc, 0, v2
	s_and_b64 exec, exec, vcc
	s_cbranch_execz .LBB4_8017
; %bb.8015:                             ;   in Loop: Header=BB4_7882 Depth=3
	v_add_u32_e32 v3, v3, v0
	s_trap 2
	ds_read_b64 v[0:1], v0
	v_ashrrev_i32_e32 v4, 31, v3
	s_mov_b64 s[28:29], 0
.LBB4_8016:                             ;   Parent Loop BB4_47 Depth=1
                                        ;     Parent Loop BB4_7879 Depth=2
                                        ;       Parent Loop BB4_7882 Depth=3
                                        ; =>      This Inner Loop Header: Depth=4
	s_waitcnt lgkmcnt(0)
	v_add_co_u32_e32 v5, vcc, v0, v3
	v_addc_co_u32_e32 v6, vcc, v1, v4, vcc
	flat_load_ubyte v7, v[5:6] glc slc
	s_waitcnt vmcnt(0)
	v_add_co_u32_e32 v3, vcc, v3, v8
	v_sub_u32_e32 v2, v2, v8
	v_addc_co_u32_e32 v4, vcc, 0, v4, vcc
	v_cmp_gt_i32_e32 vcc, 1, v2
	s_or_b64 s[28:29], vcc, s[28:29]
	s_waitcnt lgkmcnt(0)
	flat_store_byte v[5:6], v7 glc slc
	s_andn2_b64 exec, exec, s[28:29]
	s_cbranch_execnz .LBB4_8016
.LBB4_8017:                             ;   in Loop: Header=BB4_7882 Depth=3
	s_or_b64 exec, exec, s[26:27]
	v_cmp_lt_i32_e64 s[26:27], 0, v19
	s_and_saveexec_b64 s[28:29], s[10:11]
	s_cbranch_execz .LBB4_7958
.LBB4_8018:                             ;   in Loop: Header=BB4_7882 Depth=3
	s_and_saveexec_b64 s[40:41], s[58:59]
	s_xor_b64 s[40:41], exec, s[40:41]
	s_cbranch_execz .LBB4_8033
; %bb.8019:                             ;   in Loop: Header=BB4_7882 Depth=3
	s_and_saveexec_b64 s[94:95], s[16:17]
	s_cbranch_execz .LBB4_8032
; %bb.8020:                             ;   in Loop: Header=BB4_7882 Depth=3
	s_mov_b64 s[34:35], exec
	v_mbcnt_lo_u32_b32 v0, s34, 0
	v_mbcnt_hi_u32_b32 v0, s35, v0
	v_cmp_eq_u32_e32 vcc, 0, v0
	s_waitcnt vmcnt(0) lgkmcnt(0)
	buffer_wbinvl1_vol
	s_and_saveexec_b64 s[30:31], vcc
	s_cbranch_execz .LBB4_8022
; %bb.8021:                             ;   in Loop: Header=BB4_7882 Depth=3
	s_bcnt1_i32_b64 vcc_lo, s[34:35]
	v_mov_b32_e32 v0, vcc_lo
	v_mov_b32_e32 v1, v61
	ds_add_u64 v0, v[0:1]
	s_trap 2
.LBB4_8022:                             ;   in Loop: Header=BB4_7882 Depth=3
	s_or_b64 exec, exec, s[30:31]
	s_trap 2
	ds_read_b64 v[0:1], v0
	s_waitcnt lgkmcnt(0)
	v_add_co_u32_e32 v40, vcc, v40, v21
	v_addc_co_u32_e32 v41, vcc, 0, v41, vcc
	v_cmp_lt_u64_e32 vcc, v[0:1], v[40:41]
	s_and_saveexec_b64 s[30:31], vcc
	s_cbranch_execz .LBB4_8031
; %bb.8023:                             ;   in Loop: Header=BB4_7882 Depth=3
	s_mov_b32 s52, 0
	s_mov_b64 s[34:35], 0
                                        ; implicit-def: $sgpr36_sgpr37
                                        ; implicit-def: $sgpr38_sgpr39
	s_branch .LBB4_8025
.LBB4_8024:                             ;   in Loop: Header=BB4_8025 Depth=4
	s_or_b64 exec, exec, s[50:51]
	s_and_b64 vcc, exec, vcc
	s_or_b64 s[34:35], vcc, s[34:35]
	s_andn2_b64 vcc, s[36:37], exec
	s_and_b64 s[36:37], s[38:39], exec
	s_or_b64 s[36:37], vcc, s[36:37]
	s_andn2_b64 exec, exec, s[34:35]
	s_cbranch_execz .LBB4_8029
.LBB4_8025:                             ;   Parent Loop BB4_47 Depth=1
                                        ;     Parent Loop BB4_7879 Depth=2
                                        ;       Parent Loop BB4_7882 Depth=3
                                        ; =>      This Inner Loop Header: Depth=4
	s_add_i32 s52, s52, 1
	s_cmpk_lg_i32 s52, 0x2710
	s_cselect_b64 s[48:49], -1, 0
	s_and_b64 vcc, exec, s[48:49]
	s_cbranch_vccz .LBB4_8027
; %bb.8026:                             ;   in Loop: Header=BB4_8025 Depth=4
	s_mov_b64 vcc, -1
	s_or_b64 s[38:39], s[38:39], exec
	s_and_saveexec_b64 s[50:51], s[48:49]
	s_cbranch_execz .LBB4_8024
	s_branch .LBB4_8028
.LBB4_8027:                             ;   in Loop: Header=BB4_8025 Depth=4
	s_trap 2
	ds_read_b64 v[0:1], v0
	s_andn2_b64 s[48:49], s[48:49], exec
	s_mov_b32 s52, 0
	s_waitcnt lgkmcnt(0)
	flat_load_dword v0, v[0:1] glc
	s_waitcnt vmcnt(0) lgkmcnt(0)
	buffer_wbinvl1_vol
	v_cmp_eq_u32_e32 vcc, 0, v0
	s_and_b64 vcc, vcc, exec
	s_or_b64 s[48:49], s[48:49], vcc
	s_mov_b64 vcc, -1
	s_or_b64 s[38:39], s[38:39], exec
	s_and_saveexec_b64 s[50:51], s[48:49]
	s_cbranch_execz .LBB4_8024
.LBB4_8028:                             ;   in Loop: Header=BB4_8025 Depth=4
	s_sleep 1
	s_trap 2
	ds_read_b64 v[0:1], v0
	s_waitcnt lgkmcnt(0)
	s_andn2_b64 s[38:39], s[38:39], exec
	v_cmp_ge_u64_e32 vcc, v[0:1], v[40:41]
	s_orn2_b64 vcc, vcc, exec
	s_branch .LBB4_8024
.LBB4_8029:                             ;   in Loop: Header=BB4_7882 Depth=3
	s_or_b64 exec, exec, s[34:35]
	s_and_saveexec_b64 vcc, s[36:37]
	s_xor_b64 vcc, exec, vcc
	s_cbranch_execz .LBB4_8031
; %bb.8030:                             ;   in Loop: Header=BB4_7882 Depth=3
	v_mov_b32_e32 v0, 1
	ds_write_b32 v0, v0
	s_trap 2
.LBB4_8031:                             ;   in Loop: Header=BB4_7882 Depth=3
	s_or_b64 exec, exec, s[30:31]
	;;#ASMSTART
	s_wakeup
	;;#ASMEND
.LBB4_8032:                             ;   in Loop: Header=BB4_7882 Depth=3
	s_or_b64 exec, exec, s[94:95]
.LBB4_8033:                             ;   in Loop: Header=BB4_7882 Depth=3
	s_andn2_saveexec_b64 s[40:41], s[40:41]
	s_cbranch_execz .LBB4_8035
; %bb.8034:                             ;   in Loop: Header=BB4_7882 Depth=3
	s_waitcnt vmcnt(0) lgkmcnt(0)
	buffer_wbinvl1_vol
	s_barrier
.LBB4_8035:                             ;   in Loop: Header=BB4_7882 Depth=3
	s_or_b64 exec, exec, s[40:41]
	s_or_b64 exec, exec, s[28:29]
                                        ; implicit-def: $vgpr0
	s_and_saveexec_b64 s[28:29], s[24:25]
	s_xor_b64 s[28:29], exec, s[28:29]
	s_cbranch_execnz .LBB4_7959
.LBB4_8036:                             ;   in Loop: Header=BB4_7882 Depth=3
	s_andn2_saveexec_b64 s[26:27], s[28:29]
	s_cbranch_execz .LBB4_8055
.LBB4_8037:                             ;   in Loop: Header=BB4_7882 Depth=3
	s_and_saveexec_b64 s[28:29], s[58:59]
	s_xor_b64 s[28:29], exec, s[28:29]
	s_cbranch_execz .LBB4_8052
; %bb.8038:                             ;   in Loop: Header=BB4_7882 Depth=3
	s_and_saveexec_b64 s[40:41], s[16:17]
	s_cbranch_execz .LBB4_8051
; %bb.8039:                             ;   in Loop: Header=BB4_7882 Depth=3
	s_mov_b64 s[30:31], exec
	v_mbcnt_lo_u32_b32 v0, s30, 0
	v_mbcnt_hi_u32_b32 v0, s31, v0
	v_cmp_eq_u32_e32 vcc, 0, v0
	;;#ASMSTART
	s_waitcnt lgkmcnt(0) vmcnt(0)
	;;#ASMEND
	s_and_saveexec_b64 s[94:95], vcc
	s_cbranch_execz .LBB4_8041
; %bb.8040:                             ;   in Loop: Header=BB4_7882 Depth=3
	s_bcnt1_i32_b64 vcc_lo, s[30:31]
	v_mov_b32_e32 v0, vcc_lo
	v_mov_b32_e32 v1, v61
	s_waitcnt lgkmcnt(0)
	ds_add_u64 v0, v[0:1]
	s_trap 2
.LBB4_8041:                             ;   in Loop: Header=BB4_7882 Depth=3
	s_or_b64 exec, exec, s[94:95]
	s_trap 2
	ds_read_b64 v[0:1], v0
	s_waitcnt vmcnt(0) lgkmcnt(0)
	v_add_co_u32_e32 v40, vcc, v40, v21
	v_addc_co_u32_e32 v41, vcc, 0, v41, vcc
	v_cmp_lt_u64_e32 vcc, v[0:1], v[40:41]
	s_and_saveexec_b64 s[94:95], vcc
	s_cbranch_execz .LBB4_8050
; %bb.8042:                             ;   in Loop: Header=BB4_7882 Depth=3
	s_mov_b32 s50, 0
	s_mov_b64 s[30:31], 0
                                        ; implicit-def: $sgpr34_sgpr35
                                        ; implicit-def: $sgpr36_sgpr37
	s_branch .LBB4_8044
.LBB4_8043:                             ;   in Loop: Header=BB4_8044 Depth=4
	s_or_b64 exec, exec, s[48:49]
	s_and_b64 vcc, exec, vcc
	s_or_b64 s[30:31], vcc, s[30:31]
	s_andn2_b64 vcc, s[34:35], exec
	s_and_b64 s[34:35], s[36:37], exec
	s_or_b64 s[34:35], vcc, s[34:35]
	s_andn2_b64 exec, exec, s[30:31]
	s_cbranch_execz .LBB4_8048
.LBB4_8044:                             ;   Parent Loop BB4_47 Depth=1
                                        ;     Parent Loop BB4_7879 Depth=2
                                        ;       Parent Loop BB4_7882 Depth=3
                                        ; =>      This Inner Loop Header: Depth=4
	s_add_i32 s50, s50, 1
	s_cmpk_lg_i32 s50, 0x2710
	s_cselect_b64 s[38:39], -1, 0
	s_and_b64 vcc, exec, s[38:39]
	s_cbranch_vccz .LBB4_8046
; %bb.8045:                             ;   in Loop: Header=BB4_8044 Depth=4
	s_mov_b64 vcc, -1
	s_or_b64 s[36:37], s[36:37], exec
	s_and_saveexec_b64 s[48:49], s[38:39]
	s_cbranch_execz .LBB4_8043
	s_branch .LBB4_8047
.LBB4_8046:                             ;   in Loop: Header=BB4_8044 Depth=4
	s_trap 2
	ds_read_b64 v[0:1], v0
	s_andn2_b64 s[38:39], s[38:39], exec
	s_mov_b32 s50, 0
	s_waitcnt lgkmcnt(0)
	flat_load_dword v0, v[0:1] glc
	s_waitcnt vmcnt(0) lgkmcnt(0)
	buffer_wbinvl1_vol
	v_cmp_eq_u32_e32 vcc, 0, v0
	s_and_b64 vcc, vcc, exec
	s_or_b64 s[38:39], s[38:39], vcc
	s_mov_b64 vcc, -1
	s_or_b64 s[36:37], s[36:37], exec
	s_and_saveexec_b64 s[48:49], s[38:39]
	s_cbranch_execz .LBB4_8043
.LBB4_8047:                             ;   in Loop: Header=BB4_8044 Depth=4
	s_sleep 1
	s_trap 2
	ds_read_b64 v[0:1], v0
	s_waitcnt lgkmcnt(0)
	s_andn2_b64 s[36:37], s[36:37], exec
	v_cmp_ge_u64_e32 vcc, v[0:1], v[40:41]
	s_orn2_b64 vcc, vcc, exec
	s_branch .LBB4_8043
.LBB4_8048:                             ;   in Loop: Header=BB4_7882 Depth=3
	s_or_b64 exec, exec, s[30:31]
	s_and_saveexec_b64 vcc, s[34:35]
	s_xor_b64 vcc, exec, vcc
	s_cbranch_execz .LBB4_8050
; %bb.8049:                             ;   in Loop: Header=BB4_7882 Depth=3
	v_mov_b32_e32 v0, 1
	ds_write_b32 v0, v0
	s_trap 2
.LBB4_8050:                             ;   in Loop: Header=BB4_7882 Depth=3
	s_or_b64 exec, exec, s[94:95]
	;;#ASMSTART
	s_wakeup
	;;#ASMEND
.LBB4_8051:                             ;   in Loop: Header=BB4_7882 Depth=3
	s_or_b64 exec, exec, s[40:41]
.LBB4_8052:                             ;   in Loop: Header=BB4_7882 Depth=3
	s_andn2_saveexec_b64 s[28:29], s[28:29]
	s_cbranch_execz .LBB4_8054
; %bb.8053:                             ;   in Loop: Header=BB4_7882 Depth=3
	;;#ASMSTART
	s_waitcnt lgkmcnt(0) vmcnt(0)
	;;#ASMEND
	s_waitcnt vmcnt(0) lgkmcnt(0)
	s_barrier
.LBB4_8054:                             ;   in Loop: Header=BB4_7882 Depth=3
	s_or_b64 exec, exec, s[28:29]
	v_and_b32_e32 v0, 16, v46
.LBB4_8055:                             ;   in Loop: Header=BB4_7882 Depth=3
	s_or_b64 exec, exec, s[26:27]
	v_cmp_ne_u32_e32 vcc, 0, v0
	s_xor_b64 s[26:27], s[12:13], -1
	s_and_b64 s[28:29], vcc, s[26:27]
	s_and_saveexec_b64 s[26:27], s[28:29]
	s_cbranch_execz .LBB4_8057
; %bb.8056:                             ;   in Loop: Header=BB4_7882 Depth=3
	buffer_load_dword v0, off, s[0:3], s33 offset:104 ; 4-byte Folded Reload
	buffer_load_dword v1, off, s[0:3], s33 offset:108 ; 4-byte Folded Reload
	s_waitcnt vmcnt(0)
	v_mov_b32_e32 v2, 1
	flat_store_dword v[0:1], v2
.LBB4_8057:                             ;   in Loop: Header=BB4_7882 Depth=3
	s_or_b64 exec, exec, s[26:27]
	v_and_b32_e32 v0, 48, v46
	v_cmp_ne_u32_e32 vcc, 0, v0
	s_and_saveexec_b64 s[26:27], vcc
	s_cbranch_execz .LBB4_7881
; %bb.8058:                             ;   in Loop: Header=BB4_7882 Depth=3
	buffer_load_dword v0, off, s[0:3], s33 offset:56 ; 4-byte Folded Reload
	buffer_load_dword v1, off, s[0:3], s33 offset:60 ; 4-byte Folded Reload
	s_waitcnt vmcnt(0)
	v_add_co_u32_e32 v0, vcc, 2, v0
	v_addc_co_u32_e32 v1, vcc, 0, v1, vcc
	buffer_store_dword v0, off, s[0:3], s33 offset:56 ; 4-byte Folded Spill
	s_nop 0
	buffer_store_dword v1, off, s[0:3], s33 offset:60 ; 4-byte Folded Spill
	flat_store_dwordx2 v[32:33], v[0:1]
	s_branch .LBB4_7881
.LBB4_8059:                             ;   in Loop: Header=BB4_7879 Depth=2
	s_or_b64 exec, exec, s[42:43]
	v_cmp_gt_i32_e32 vcc, 2, v2
	s_and_saveexec_b64 s[28:29], vcc
	s_cbranch_execz .LBB4_8135
.LBB4_8060:                             ;   in Loop: Header=BB4_7879 Depth=2
	v_cmp_eq_u32_e64 s[42:43], 0, v2
	s_mov_b64 s[40:41], 0
	s_branch .LBB4_8062
.LBB4_8061:                             ;   in Loop: Header=BB4_8062 Depth=3
	s_or_b64 exec, exec, s[26:27]
	v_add_u32_e32 v16, v12, v16
	s_mov_b64 s[42:43], 0
	s_andn2_b64 exec, exec, s[40:41]
	s_cbranch_execz .LBB4_8136
.LBB4_8062:                             ;   Parent Loop BB4_47 Depth=1
                                        ;     Parent Loop BB4_7879 Depth=2
                                        ; =>    This Loop Header: Depth=3
                                        ;         Child Loop BB4_8068 Depth 4
                                        ;         Child Loop BB4_8096 Depth 4
	;; [unrolled: 1-line block ×3, first 2 shown]
	v_sub_u32_e32 v0, v15, v16
	v_min_i32_e32 v12, v12, v0
	v_and_b32_e32 v0, 12, v46
	v_cmp_ne_u32_e32 vcc, 0, v0
	s_and_saveexec_b64 s[90:91], vcc
	s_cbranch_execz .LBB4_8088
; %bb.8063:                             ;   in Loop: Header=BB4_8062 Depth=3
	buffer_load_dword v0, off, s[0:3], s33 offset:56 ; 4-byte Folded Reload
	buffer_load_dword v1, off, s[0:3], s33 offset:60 ; 4-byte Folded Reload
	v_and_b32_e32 v8, 8, v46
	s_waitcnt lgkmcnt(0)
	v_add_co_u32_e32 v2, vcc, v48, v8
	v_addc_co_u32_e32 v3, vcc, 0, v49, vcc
	s_waitcnt vmcnt(0)
	v_add_co_u32_e32 v0, vcc, 2, v0
	s_waitcnt vmcnt(0)
	v_addc_co_u32_e32 v1, vcc, 0, v1, vcc
	v_cmp_lt_u64_e32 vcc, v[2:3], v[0:1]
	s_and_saveexec_b64 s[92:93], vcc
	s_cbranch_execz .LBB4_8075
; %bb.8064:                             ;   in Loop: Header=BB4_8062 Depth=3
	v_and_b32_e32 v2, 64, v46
	s_mov_b32 s9, 0
	v_cmp_eq_u32_e32 vcc, 0, v2
	s_mov_b64 s[94:95], 0
                                        ; implicit-def: $sgpr30_sgpr31
                                        ; implicit-def: $sgpr34_sgpr35
                                        ; implicit-def: $sgpr36_sgpr37
	s_branch .LBB4_8068
.LBB4_8065:                             ;   in Loop: Header=BB4_8068 Depth=4
	s_waitcnt vmcnt(0) lgkmcnt(0)
	v_add_co_u32_e64 v3, s[26:27], v48, v8
	v_addc_co_u32_e64 v4, s[26:27], 0, v49, s[26:27]
	v_cmp_ge_u64_e64 s[26:27], v[3:4], v[0:1]
	s_or_b64 s[50:51], s[50:51], exec
	s_orn2_b64 s[48:49], s[26:27], exec
.LBB4_8066:                             ;   in Loop: Header=BB4_8068 Depth=4
	s_or_b64 exec, exec, s[54:55]
	s_andn2_b64 s[26:27], s[36:37], exec
	s_and_b64 s[36:37], s[50:51], exec
	s_or_b64 s[36:37], s[26:27], s[36:37]
	s_andn2_b64 s[26:27], s[34:35], exec
	s_and_b64 s[34:35], s[48:49], exec
	s_or_b64 s[34:35], s[26:27], s[34:35]
.LBB4_8067:                             ;   in Loop: Header=BB4_8068 Depth=4
	s_or_b64 exec, exec, s[38:39]
	s_and_b64 s[26:27], exec, s[34:35]
	s_or_b64 s[94:95], s[26:27], s[94:95]
	s_andn2_b64 s[26:27], s[30:31], exec
	s_and_b64 s[30:31], s[36:37], exec
	s_or_b64 s[30:31], s[26:27], s[30:31]
	s_andn2_b64 exec, exec, s[94:95]
	s_cbranch_execz .LBB4_8072
.LBB4_8068:                             ;   Parent Loop BB4_47 Depth=1
                                        ;     Parent Loop BB4_7879 Depth=2
                                        ;       Parent Loop BB4_8062 Depth=3
                                        ; =>      This Inner Loop Header: Depth=4
	s_sleep 1
	s_waitcnt vmcnt(0) lgkmcnt(0)
	flat_load_dwordx2 v[48:49], v[32:33] glc
	s_or_b64 s[36:37], s[36:37], exec
	s_or_b64 s[34:35], s[34:35], exec
                                        ; implicit-def: $vgpr2
	s_and_saveexec_b64 s[38:39], vcc
	s_cbranch_execz .LBB4_8067
; %bb.8069:                             ;   in Loop: Header=BB4_8068 Depth=4
	s_cmpk_lt_i32 s9, 0x270f
	s_cselect_b64 s[52:53], -1, 0
	s_cmpk_gt_i32 s9, 0x270e
	s_mov_b64 s[48:49], -1
	s_cbranch_scc0 .LBB4_8071
; %bb.8070:                             ;   in Loop: Header=BB4_8068 Depth=4
	s_trap 2
	ds_read_b64 v[2:3], v0
	s_andn2_b64 s[52:53], s[52:53], exec
	s_mov_b32 s9, 0
	s_mov_b64 s[50:51], 0
	s_waitcnt vmcnt(0) lgkmcnt(0)
	flat_load_dword v2, v[2:3] glc
	s_waitcnt vmcnt(0) lgkmcnt(0)
	buffer_wbinvl1_vol
	v_cmp_eq_u32_e64 s[26:27], 0, v2
	s_and_b64 s[26:27], s[26:27], exec
	s_or_b64 s[52:53], s[52:53], s[26:27]
	s_and_saveexec_b64 s[54:55], s[52:53]
	s_cbranch_execz .LBB4_8066
	s_branch .LBB4_8065
.LBB4_8071:                             ;   in Loop: Header=BB4_8068 Depth=4
	s_add_i32 s9, s9, 1
	s_mov_b64 s[50:51], -1
                                        ; implicit-def: $vgpr2
	s_and_saveexec_b64 s[54:55], s[52:53]
	s_cbranch_execz .LBB4_8066
	s_branch .LBB4_8065
.LBB4_8072:                             ;   in Loop: Header=BB4_8062 Depth=3
	s_or_b64 exec, exec, s[94:95]
	s_xor_b64 s[26:27], s[30:31], -1
	s_and_saveexec_b64 s[94:95], s[26:27]
	s_xor_b64 s[26:27], exec, s[94:95]
	s_cbranch_execz .LBB4_8074
; %bb.8073:                             ;   in Loop: Header=BB4_8062 Depth=3
	v_or_b32_e32 v46, 64, v46
	s_waitcnt lgkmcnt(0)
	ds_write_b32 v0, v2
	s_trap 2
.LBB4_8074:                             ;   in Loop: Header=BB4_8062 Depth=3
	s_or_b64 exec, exec, s[26:27]
.LBB4_8075:                             ;   in Loop: Header=BB4_8062 Depth=3
	s_or_b64 exec, exec, s[92:93]
	v_and_b32_e32 v2, 0x108, v46
	v_cmp_ne_u32_e32 vcc, s69, v2
	;;#ASMSTART
	s_wakeup
	;;#ASMEND
                                        ; implicit-def: $vgpr2_vgpr3
	s_and_saveexec_b64 s[26:27], vcc
	s_xor_b64 s[26:27], exec, s[26:27]
	s_cbranch_execz .LBB4_8077
; %bb.8076:                             ;   in Loop: Header=BB4_8062 Depth=3
	buffer_load_dword v2, off, s[0:3], s33 offset:56 ; 4-byte Folded Reload
	buffer_load_dword v3, off, s[0:3], s33 offset:60 ; 4-byte Folded Reload
	s_waitcnt vmcnt(0)
	v_mov_b32_e32 v3, v61
                                        ; implicit-def: $vgpr4_vgpr5
                                        ; kill: killed $vgpr4_vgpr5
	v_and_b32_e32 v2, 7, v2
.LBB4_8077:                             ;   in Loop: Header=BB4_8062 Depth=3
	s_andn2_saveexec_b64 s[26:27], s[26:27]
	s_cbranch_execz .LBB4_8079
; %bb.8078:                             ;   in Loop: Header=BB4_8062 Depth=3
	buffer_load_dword v2, off, s[0:3], s33 offset:56 ; 4-byte Folded Reload
	buffer_load_dword v3, off, s[0:3], s33 offset:60 ; 4-byte Folded Reload
	;; [unrolled: 1-line block ×6, first 2 shown]
	v_ashrrev_i32_e32 v13, 31, v12
	s_waitcnt vmcnt(0)
	v_and_b32_e32 v2, 7, v2
	v_mad_u64_u32 v[4:5], s[92:93], v2, 24, v[3:4]
	v_mov_b32_e32 v3, v61
	flat_store_dwordx2 v[4:5], v[12:13] offset:8
.LBB4_8079:                             ;   in Loop: Header=BB4_8062 Depth=3
	s_or_b64 exec, exec, s[26:27]
	v_and_b32_e32 v4, 0x100, v46
	v_cmp_ne_u32_e32 vcc, 0, v4
	s_mov_b64 s[26:27], -1
                                        ; implicit-def: $vgpr4_vgpr5
	s_and_saveexec_b64 s[92:93], vcc
	s_cbranch_execz .LBB4_8083
; %bb.8080:                             ;   in Loop: Header=BB4_8062 Depth=3
	buffer_load_dword v4, off, s[0:3], s33 offset:88 ; 4-byte Folded Reload
	buffer_load_dword v5, off, s[0:3], s33 offset:92 ; 4-byte Folded Reload
	;; [unrolled: 1-line block ×4, first 2 shown]
	s_waitcnt vmcnt(0)
	v_mad_u64_u32 v[6:7], s[26:27], v2, 24, v[4:5]
	v_mov_b32_e32 v4, v7
	v_mad_u64_u32 v[4:5], s[26:27], v3, 24, v[4:5]
	v_mov_b32_e32 v7, v4
	flat_load_dword v4, v[6:7]
	s_waitcnt vmcnt(0) lgkmcnt(0)
	v_cmp_ne_u32_e32 vcc, 1, v4
	v_cmp_eq_u32_e64 s[26:27], 1, v4
                                        ; implicit-def: $vgpr4_vgpr5
	s_and_saveexec_b64 s[94:95], s[26:27]
	s_cbranch_execz .LBB4_8082
; %bb.8081:                             ;   in Loop: Header=BB4_8062 Depth=3
	flat_load_dword v4, v[6:7] offset:4 glc
	s_waitcnt vmcnt(0) lgkmcnt(0)
	v_ashrrev_i32_e32 v5, 31, v4
.LBB4_8082:                             ;   in Loop: Header=BB4_8062 Depth=3
	s_or_b64 exec, exec, s[94:95]
	s_orn2_b64 s[26:27], vcc, exec
.LBB4_8083:                             ;   in Loop: Header=BB4_8062 Depth=3
	s_or_b64 exec, exec, s[92:93]
	s_and_saveexec_b64 s[92:93], s[26:27]
	s_cbranch_execz .LBB4_8085
; %bb.8084:                             ;   in Loop: Header=BB4_8062 Depth=3
	buffer_load_dword v4, off, s[0:3], s33 offset:124 ; 4-byte Folded Reload
	buffer_load_dword v5, off, s[0:3], s33 offset:144 ; 4-byte Folded Reload
	s_waitcnt vmcnt(0)
	v_mul_lo_u32 v3, v3, v4
	v_mul_lo_u32 v6, v2, v5
	v_mad_u64_u32 v[4:5], s[26:27], v2, v4, 0
	v_add3_u32 v5, v5, v6, v3
.LBB4_8085:                             ;   in Loop: Header=BB4_8062 Depth=3
	s_or_b64 exec, exec, s[92:93]
	v_cmp_eq_u32_e32 vcc, 0, v8
	v_mov_b32_e32 v2, 0xd0
	v_mov_b32_e32 v3, 0x88
	v_cndmask_b32_e32 v6, v2, v3, vcc
	buffer_load_dword v2, off, s[0:3], s33 offset:80 ; 4-byte Folded Reload
	buffer_load_dword v3, off, s[0:3], s33 offset:84 ; 4-byte Folded Reload
	s_waitcnt vmcnt(0)
	v_add_co_u32_e32 v2, vcc, v2, v4
	v_addc_co_u32_e32 v3, vcc, v3, v5, vcc
	v_add_u32_e32 v4, v0, v6
	ds_write_b64 v4, v[2:3] offset:584
	v_and_b32_e32 v2, 0x2000, v46
	v_cmp_ne_u32_e32 vcc, 0, v2
	s_and_saveexec_b64 s[26:27], vcc
	s_cbranch_execz .LBB4_8087
; %bb.8086:                             ;   in Loop: Header=BB4_8062 Depth=3
	ds_read_b64 v[2:3], v0 offset:872
	s_waitcnt lgkmcnt(0)
	v_add_co_u32_e32 v2, vcc, 1, v2
	v_addc_co_u32_e32 v3, vcc, 0, v3, vcc
	ds_write_b64 v0, v[2:3] offset:872
.LBB4_8087:                             ;   in Loop: Header=BB4_8062 Depth=3
	s_or_b64 exec, exec, s[26:27]
	buffer_store_dword v0, off, s[0:3], s33 offset:56 ; 4-byte Folded Spill
	s_nop 0
	buffer_store_dword v1, off, s[0:3], s33 offset:60 ; 4-byte Folded Spill
.LBB4_8088:                             ;   in Loop: Header=BB4_8062 Depth=3
	s_or_b64 exec, exec, s[90:91]
	s_xor_b64 s[26:27], s[42:43], -1
	s_and_b64 s[26:27], exec, s[26:27]
	s_or_b64 s[40:41], s[26:27], s[40:41]
	s_and_saveexec_b64 s[26:27], s[10:11]
	s_cbranch_execz .LBB4_8107
; %bb.8089:                             ;   in Loop: Header=BB4_8062 Depth=3
	s_and_saveexec_b64 s[42:43], s[58:59]
	s_xor_b64 s[42:43], exec, s[42:43]
	s_cbranch_execz .LBB4_8104
; %bb.8090:                             ;   in Loop: Header=BB4_8062 Depth=3
	s_and_saveexec_b64 s[90:91], s[16:17]
	s_cbranch_execz .LBB4_8103
; %bb.8091:                             ;   in Loop: Header=BB4_8062 Depth=3
	s_mov_b64 s[94:95], exec
	v_mbcnt_lo_u32_b32 v0, s94, 0
	v_mbcnt_hi_u32_b32 v0, s95, v0
	v_cmp_eq_u32_e32 vcc, 0, v0
	s_waitcnt vmcnt(0) lgkmcnt(0)
	buffer_wbinvl1_vol
	s_and_saveexec_b64 s[92:93], vcc
	s_cbranch_execz .LBB4_8093
; %bb.8092:                             ;   in Loop: Header=BB4_8062 Depth=3
	s_bcnt1_i32_b64 s9, s[94:95]
	v_mov_b32_e32 v0, s9
	v_mov_b32_e32 v1, v61
	ds_add_u64 v0, v[0:1]
	s_trap 2
.LBB4_8093:                             ;   in Loop: Header=BB4_8062 Depth=3
	s_or_b64 exec, exec, s[92:93]
	s_trap 2
	ds_read_b64 v[0:1], v0
	s_waitcnt lgkmcnt(0)
	v_add_co_u32_e32 v40, vcc, v40, v21
	v_addc_co_u32_e32 v41, vcc, 0, v41, vcc
	v_cmp_lt_u64_e32 vcc, v[0:1], v[40:41]
	s_and_saveexec_b64 s[92:93], vcc
	s_cbranch_execz .LBB4_8102
; %bb.8094:                             ;   in Loop: Header=BB4_8062 Depth=3
	s_mov_b32 s9, 0
	s_mov_b64 s[94:95], 0
                                        ; implicit-def: $sgpr30_sgpr31
                                        ; implicit-def: $sgpr34_sgpr35
	s_branch .LBB4_8096
.LBB4_8095:                             ;   in Loop: Header=BB4_8096 Depth=4
	s_or_b64 exec, exec, s[38:39]
	s_and_b64 vcc, exec, vcc
	s_or_b64 s[94:95], vcc, s[94:95]
	s_andn2_b64 vcc, s[30:31], exec
	s_and_b64 s[30:31], s[34:35], exec
	s_or_b64 s[30:31], vcc, s[30:31]
	s_andn2_b64 exec, exec, s[94:95]
	s_cbranch_execz .LBB4_8100
.LBB4_8096:                             ;   Parent Loop BB4_47 Depth=1
                                        ;     Parent Loop BB4_7879 Depth=2
                                        ;       Parent Loop BB4_8062 Depth=3
                                        ; =>      This Inner Loop Header: Depth=4
	s_add_i32 s9, s9, 1
	s_cmpk_lg_i32 s9, 0x2710
	s_cselect_b64 s[36:37], -1, 0
	s_and_b64 vcc, exec, s[36:37]
	s_cbranch_vccz .LBB4_8098
; %bb.8097:                             ;   in Loop: Header=BB4_8096 Depth=4
	s_mov_b64 vcc, -1
	s_or_b64 s[34:35], s[34:35], exec
	s_and_saveexec_b64 s[38:39], s[36:37]
	s_cbranch_execz .LBB4_8095
	s_branch .LBB4_8099
.LBB4_8098:                             ;   in Loop: Header=BB4_8096 Depth=4
	s_trap 2
	ds_read_b64 v[0:1], v0
	s_andn2_b64 s[36:37], s[36:37], exec
	s_mov_b32 s9, 0
	s_waitcnt lgkmcnt(0)
	flat_load_dword v0, v[0:1] glc
	s_waitcnt vmcnt(0) lgkmcnt(0)
	buffer_wbinvl1_vol
	v_cmp_eq_u32_e32 vcc, 0, v0
	s_and_b64 vcc, vcc, exec
	s_or_b64 s[36:37], s[36:37], vcc
	s_mov_b64 vcc, -1
	s_or_b64 s[34:35], s[34:35], exec
	s_and_saveexec_b64 s[38:39], s[36:37]
	s_cbranch_execz .LBB4_8095
.LBB4_8099:                             ;   in Loop: Header=BB4_8096 Depth=4
	s_sleep 1
	s_trap 2
	ds_read_b64 v[0:1], v0
	s_waitcnt lgkmcnt(0)
	s_andn2_b64 s[34:35], s[34:35], exec
	v_cmp_ge_u64_e32 vcc, v[0:1], v[40:41]
	s_orn2_b64 vcc, vcc, exec
	s_branch .LBB4_8095
.LBB4_8100:                             ;   in Loop: Header=BB4_8062 Depth=3
	s_or_b64 exec, exec, s[94:95]
	s_and_saveexec_b64 s[94:95], s[30:31]
	s_xor_b64 s[94:95], exec, s[94:95]
	s_cbranch_execz .LBB4_8102
; %bb.8101:                             ;   in Loop: Header=BB4_8062 Depth=3
	v_mov_b32_e32 v0, 1
	ds_write_b32 v0, v0
	s_trap 2
.LBB4_8102:                             ;   in Loop: Header=BB4_8062 Depth=3
	s_or_b64 exec, exec, s[92:93]
	;;#ASMSTART
	s_wakeup
	;;#ASMEND
.LBB4_8103:                             ;   in Loop: Header=BB4_8062 Depth=3
	s_or_b64 exec, exec, s[90:91]
.LBB4_8104:                             ;   in Loop: Header=BB4_8062 Depth=3
	s_andn2_saveexec_b64 s[42:43], s[42:43]
	s_cbranch_execz .LBB4_8106
; %bb.8105:                             ;   in Loop: Header=BB4_8062 Depth=3
	s_waitcnt vmcnt(0) lgkmcnt(0)
	buffer_wbinvl1_vol
	s_barrier
.LBB4_8106:                             ;   in Loop: Header=BB4_8062 Depth=3
	s_or_b64 exec, exec, s[42:43]
.LBB4_8107:                             ;   in Loop: Header=BB4_8062 Depth=3
	s_or_b64 exec, exec, s[26:27]
                                        ; implicit-def: $vgpr0
	s_and_saveexec_b64 s[26:27], s[24:25]
	s_xor_b64 s[26:27], exec, s[26:27]
	s_cbranch_execz .LBB4_8111
; %bb.8108:                             ;   in Loop: Header=BB4_8062 Depth=3
	s_trap 2
	ds_read_b32 v0, v0
	v_cmp_lt_i32_e32 vcc, 0, v12
	v_and_b32_e32 v1, 16, v46
	s_waitcnt lgkmcnt(0)
	v_readfirstlane_b32 s9, v0
	s_cmp_eq_u32 s9, 0
	s_cselect_b64 s[42:43], -1, 0
	s_and_b64 s[42:43], vcc, s[42:43]
	v_cmp_ne_u32_e32 vcc, 0, v1
	v_and_b32_e32 v0, 16, v46
	s_and_b64 s[90:91], vcc, s[42:43]
	s_and_saveexec_b64 s[42:43], s[90:91]
	s_cbranch_execz .LBB4_8110
; %bb.8109:                             ;   in Loop: Header=BB4_8062 Depth=3
	v_mov_b32_e32 v0, 1
	s_waitcnt vmcnt(0)
	buffer_wbinvl1_vol
.LBB4_8110:                             ;   in Loop: Header=BB4_8062 Depth=3
	s_or_b64 exec, exec, s[42:43]
	s_andn2_saveexec_b64 s[26:27], s[26:27]
	s_cbranch_execz .LBB4_8130
	s_branch .LBB4_8112
.LBB4_8111:                             ;   in Loop: Header=BB4_8062 Depth=3
	s_andn2_saveexec_b64 s[26:27], s[26:27]
	s_cbranch_execz .LBB4_8130
.LBB4_8112:                             ;   in Loop: Header=BB4_8062 Depth=3
	s_and_saveexec_b64 s[42:43], s[58:59]
	s_xor_b64 s[42:43], exec, s[42:43]
	s_cbranch_execz .LBB4_8127
; %bb.8113:                             ;   in Loop: Header=BB4_8062 Depth=3
	s_and_saveexec_b64 s[90:91], s[16:17]
	s_cbranch_execz .LBB4_8126
; %bb.8114:                             ;   in Loop: Header=BB4_8062 Depth=3
	s_mov_b64 s[94:95], exec
	v_mbcnt_lo_u32_b32 v0, s94, 0
	v_mbcnt_hi_u32_b32 v0, s95, v0
	v_cmp_eq_u32_e32 vcc, 0, v0
	;;#ASMSTART
	s_waitcnt lgkmcnt(0) vmcnt(0)
	;;#ASMEND
	s_and_saveexec_b64 s[92:93], vcc
	s_cbranch_execz .LBB4_8116
; %bb.8115:                             ;   in Loop: Header=BB4_8062 Depth=3
	s_bcnt1_i32_b64 s9, s[94:95]
	v_mov_b32_e32 v0, s9
	v_mov_b32_e32 v1, v61
	s_waitcnt lgkmcnt(0)
	ds_add_u64 v0, v[0:1]
	s_trap 2
.LBB4_8116:                             ;   in Loop: Header=BB4_8062 Depth=3
	s_or_b64 exec, exec, s[92:93]
	s_trap 2
	ds_read_b64 v[0:1], v0
	s_waitcnt lgkmcnt(0)
	v_add_co_u32_e32 v40, vcc, v40, v21
	v_addc_co_u32_e32 v41, vcc, 0, v41, vcc
	v_cmp_lt_u64_e32 vcc, v[0:1], v[40:41]
	s_and_saveexec_b64 s[92:93], vcc
	s_cbranch_execz .LBB4_8125
; %bb.8117:                             ;   in Loop: Header=BB4_8062 Depth=3
	s_mov_b32 s9, 0
	s_mov_b64 s[94:95], 0
                                        ; implicit-def: $sgpr30_sgpr31
                                        ; implicit-def: $sgpr34_sgpr35
	s_branch .LBB4_8119
.LBB4_8118:                             ;   in Loop: Header=BB4_8119 Depth=4
	s_or_b64 exec, exec, s[38:39]
	s_and_b64 vcc, exec, vcc
	s_or_b64 s[94:95], vcc, s[94:95]
	s_andn2_b64 vcc, s[30:31], exec
	s_and_b64 s[30:31], s[34:35], exec
	s_or_b64 s[30:31], vcc, s[30:31]
	s_andn2_b64 exec, exec, s[94:95]
	s_cbranch_execz .LBB4_8123
.LBB4_8119:                             ;   Parent Loop BB4_47 Depth=1
                                        ;     Parent Loop BB4_7879 Depth=2
                                        ;       Parent Loop BB4_8062 Depth=3
                                        ; =>      This Inner Loop Header: Depth=4
	s_add_i32 s9, s9, 1
	s_cmpk_lg_i32 s9, 0x2710
	s_cselect_b64 s[36:37], -1, 0
	s_and_b64 vcc, exec, s[36:37]
	s_cbranch_vccz .LBB4_8121
; %bb.8120:                             ;   in Loop: Header=BB4_8119 Depth=4
	s_mov_b64 vcc, -1
	s_or_b64 s[34:35], s[34:35], exec
	s_and_saveexec_b64 s[38:39], s[36:37]
	s_cbranch_execz .LBB4_8118
	s_branch .LBB4_8122
.LBB4_8121:                             ;   in Loop: Header=BB4_8119 Depth=4
	s_trap 2
	ds_read_b64 v[0:1], v0
	s_andn2_b64 s[36:37], s[36:37], exec
	s_mov_b32 s9, 0
	s_waitcnt vmcnt(0) lgkmcnt(0)
	flat_load_dword v0, v[0:1] glc
	s_waitcnt vmcnt(0) lgkmcnt(0)
	buffer_wbinvl1_vol
	v_cmp_eq_u32_e32 vcc, 0, v0
	s_and_b64 vcc, vcc, exec
	s_or_b64 s[36:37], s[36:37], vcc
	s_mov_b64 vcc, -1
	s_or_b64 s[34:35], s[34:35], exec
	s_and_saveexec_b64 s[38:39], s[36:37]
	s_cbranch_execz .LBB4_8118
.LBB4_8122:                             ;   in Loop: Header=BB4_8119 Depth=4
	s_sleep 1
	s_trap 2
	ds_read_b64 v[0:1], v0
	s_waitcnt lgkmcnt(0)
	s_andn2_b64 s[34:35], s[34:35], exec
	v_cmp_ge_u64_e32 vcc, v[0:1], v[40:41]
	s_orn2_b64 vcc, vcc, exec
	s_branch .LBB4_8118
.LBB4_8123:                             ;   in Loop: Header=BB4_8062 Depth=3
	s_or_b64 exec, exec, s[94:95]
	s_and_saveexec_b64 s[94:95], s[30:31]
	s_xor_b64 s[94:95], exec, s[94:95]
	s_cbranch_execz .LBB4_8125
; %bb.8124:                             ;   in Loop: Header=BB4_8062 Depth=3
	v_mov_b32_e32 v0, 1
	ds_write_b32 v0, v0
	s_trap 2
.LBB4_8125:                             ;   in Loop: Header=BB4_8062 Depth=3
	s_or_b64 exec, exec, s[92:93]
	;;#ASMSTART
	s_wakeup
	;;#ASMEND
.LBB4_8126:                             ;   in Loop: Header=BB4_8062 Depth=3
	s_or_b64 exec, exec, s[90:91]
.LBB4_8127:                             ;   in Loop: Header=BB4_8062 Depth=3
	s_andn2_saveexec_b64 s[42:43], s[42:43]
	s_cbranch_execz .LBB4_8129
; %bb.8128:                             ;   in Loop: Header=BB4_8062 Depth=3
	;;#ASMSTART
	s_waitcnt lgkmcnt(0) vmcnt(0)
	;;#ASMEND
	s_waitcnt vmcnt(0) lgkmcnt(0)
	s_barrier
.LBB4_8129:                             ;   in Loop: Header=BB4_8062 Depth=3
	s_or_b64 exec, exec, s[42:43]
	v_and_b32_e32 v0, 16, v46
.LBB4_8130:                             ;   in Loop: Header=BB4_8062 Depth=3
	s_or_b64 exec, exec, s[26:27]
	v_cmp_ne_u32_e32 vcc, 0, v0
	s_xor_b64 s[26:27], s[12:13], -1
	s_and_b64 s[42:43], vcc, s[26:27]
	s_and_saveexec_b64 s[26:27], s[42:43]
	s_cbranch_execz .LBB4_8132
; %bb.8131:                             ;   in Loop: Header=BB4_8062 Depth=3
	buffer_load_dword v0, off, s[0:3], s33 offset:104 ; 4-byte Folded Reload
	buffer_load_dword v1, off, s[0:3], s33 offset:108 ; 4-byte Folded Reload
	v_mov_b32_e32 v2, 1
	s_waitcnt vmcnt(0)
	flat_store_dword v[0:1], v2
.LBB4_8132:                             ;   in Loop: Header=BB4_8062 Depth=3
	s_or_b64 exec, exec, s[26:27]
	v_and_b32_e32 v0, 48, v46
	v_cmp_ne_u32_e32 vcc, 0, v0
	s_and_saveexec_b64 s[26:27], vcc
	s_cbranch_execz .LBB4_8061
; %bb.8133:                             ;   in Loop: Header=BB4_8062 Depth=3
	buffer_load_dword v0, off, s[0:3], s33 offset:56 ; 4-byte Folded Reload
	buffer_load_dword v1, off, s[0:3], s33 offset:60 ; 4-byte Folded Reload
	s_waitcnt vmcnt(0)
	v_add_co_u32_e32 v0, vcc, 2, v0
	v_addc_co_u32_e32 v1, vcc, 0, v1, vcc
	buffer_store_dword v0, off, s[0:3], s33 offset:56 ; 4-byte Folded Spill
	s_nop 0
	buffer_store_dword v1, off, s[0:3], s33 offset:60 ; 4-byte Folded Spill
	flat_store_dwordx2 v[32:33], v[0:1]
	s_branch .LBB4_8061
.LBB4_8134:                             ;   in Loop: Header=BB4_7879 Depth=2
	s_or_b64 exec, exec, s[90:91]
	s_or_b64 exec, exec, s[42:43]
	v_cmp_gt_i32_e32 vcc, 2, v2
	s_and_saveexec_b64 s[28:29], vcc
	s_cbranch_execnz .LBB4_8060
.LBB4_8135:                             ;   in Loop: Header=BB4_7879 Depth=2
	s_or_b64 exec, exec, s[28:29]
	s_add_i32 s9, s8, 1
	s_cmp_eq_u32 s8, s96
	s_cbranch_scc0 .LBB4_8137
	s_branch .LBB4_8138
.LBB4_8136:                             ;   in Loop: Header=BB4_7879 Depth=2
	s_or_b64 exec, exec, s[40:41]
	s_or_b64 exec, exec, s[28:29]
	s_add_i32 s9, s8, 1
	s_cmp_eq_u32 s8, s96
	s_cbranch_scc1 .LBB4_8138
.LBB4_8137:                             ;   in Loop: Header=BB4_7879 Depth=2
	s_mov_b32 s8, s9
	s_branch .LBB4_7879
.LBB4_8138:                             ;   in Loop: Header=BB4_47 Depth=1
	buffer_load_dword v4, off, s[0:3], s33 offset:240 ; 4-byte Folded Reload
	buffer_load_dword v5, off, s[0:3], s33 offset:244 ; 4-byte Folded Reload
	v_mov_b32_e32 v10, 0
	s_waitcnt vmcnt(0)
	v_mul_lo_u32 v3, v4, s46
	v_mul_lo_u32 v2, v5, s97
	v_mad_u64_u32 v[0:1], s[8:9], v4, s97, 0
	v_add3_u32 v1, v1, v3, v2
	buffer_load_dword v2, off, s[0:3], s33 offset:232 ; 4-byte Folded Reload
	buffer_load_dword v3, off, s[0:3], s33 offset:236 ; 4-byte Folded Reload
	s_waitcnt vmcnt(0)
	v_sub_co_u32_e32 v2, vcc, v2, v0
	v_subb_co_u32_e32 v3, vcc, v3, v1, vcc
	v_cmp_lt_i64_e32 vcc, v[4:5], v[2:3]
	v_cndmask_b32_e32 v3, v2, v4, vcc
	v_max_i32_e32 v8, 0, v3
	v_add_u32_e32 v4, 31, v8
	v_lshrrev_b32_e32 v4, 1, v4
	v_and_b32_e32 v4, 0x3ffffff0, v4
	v_cmp_lt_i32_e32 vcc, 0, v3
	v_mov_b32_e32 v2, 0
	v_max_i32_e32 v9, s87, v4
	s_and_b64 s[8:9], s[76:77], vcc
	s_and_saveexec_b64 s[28:29], s[8:9]
	s_cbranch_execz .LBB4_8278
; %bb.8139:                             ;   in Loop: Header=BB4_47 Depth=1
	buffer_load_dword v2, off, s[0:3], s33 offset:176 ; 4-byte Folded Reload
	s_mov_b32 s8, 1
	s_mov_b64 s[42:43], -1
	v_mov_b32_e32 v10, 0
	s_mov_b64 s[40:41], 0
	s_waitcnt vmcnt(0)
	v_add_co_u32_e32 v11, vcc, v0, v2
	buffer_load_dword v0, off, s[0:3], s33 offset:180 ; 4-byte Folded Reload
	s_waitcnt vmcnt(0)
	v_addc_co_u32_e32 v12, vcc, v1, v0, vcc
	s_branch .LBB4_8141
.LBB4_8140:                             ;   in Loop: Header=BB4_8141 Depth=2
	s_or_b64 exec, exec, s[26:27]
	v_add_u32_e32 v10, v9, v10
	v_cmp_ge_i32_e32 vcc, v10, v8
	s_xor_b64 s[26:27], s[42:43], -1
	s_or_b64 s[26:27], s[26:27], vcc
	s_and_b64 s[26:27], exec, s[26:27]
	s_or_b64 s[40:41], s[26:27], s[40:41]
	s_mov_b64 s[42:43], 0
	v_mov_b32_e32 v2, s8
	s_mov_b32 s8, 2
	s_andn2_b64 exec, exec, s[40:41]
	s_cbranch_execz .LBB4_8277
.LBB4_8141:                             ;   Parent Loop BB4_47 Depth=1
                                        ; =>  This Loop Header: Depth=2
                                        ;       Child Loop BB4_8149 Depth 3
                                        ;       Child Loop BB4_8173 Depth 3
	;; [unrolled: 1-line block ×9, first 2 shown]
	s_and_saveexec_b64 s[26:27], s[4:5]
	s_cbranch_execz .LBB4_8143
; %bb.8142:                             ;   in Loop: Header=BB4_8141 Depth=2
	s_trap 2
	ds_read_b128 v[0:3], v0
	v_ashrrev_i32_e32 v4, 31, v10
	s_waitcnt lgkmcnt(0)
	v_add_co_u32_e32 v0, vcc, v0, v11
	v_addc_co_u32_e32 v1, vcc, v1, v12, vcc
	v_add_co_u32_e32 v0, vcc, v0, v10
	v_addc_co_u32_e32 v1, vcc, v1, v4, vcc
	ds_write_b64 v0, v[0:1]
	v_add_co_u32_e32 v0, vcc, v2, v11
	v_addc_co_u32_e32 v1, vcc, v3, v12, vcc
	v_add_co_u32_e32 v0, vcc, v0, v10
	v_addc_co_u32_e32 v1, vcc, v1, v4, vcc
	v_cmp_ne_u64_e32 vcc, 0, v[2:3]
	v_cndmask_b32_e32 v1, 0, v1, vcc
	v_cndmask_b32_e32 v0, 0, v0, vcc
	ds_write_b64 v0, v[0:1]
.LBB4_8143:                             ;   in Loop: Header=BB4_8141 Depth=2
	s_or_b64 exec, exec, s[26:27]
	v_and_b32_e32 v0, 4, v46
	v_cmp_ne_u32_e32 vcc, 0, v0
	s_and_saveexec_b64 s[90:91], vcc
	s_cbranch_execz .LBB4_8165
; %bb.8144:                             ;   in Loop: Header=BB4_8141 Depth=2
	buffer_load_dword v0, off, s[0:3], s33 offset:56 ; 4-byte Folded Reload
	buffer_load_dword v1, off, s[0:3], s33 offset:60 ; 4-byte Folded Reload
	s_waitcnt vmcnt(0)
	v_add_co_u32_e32 v0, vcc, 2, v0
	v_addc_co_u32_e32 v1, vcc, 0, v1, vcc
	s_waitcnt lgkmcnt(0)
	v_cmp_lt_u64_e32 vcc, v[48:49], v[0:1]
	s_and_saveexec_b64 s[92:93], vcc
	s_cbranch_execz .LBB4_8156
; %bb.8145:                             ;   in Loop: Header=BB4_8141 Depth=2
	v_and_b32_e32 v2, 64, v46
	s_mov_b32 s9, 0
	v_cmp_eq_u32_e32 vcc, 0, v2
	s_mov_b64 s[94:95], 0
                                        ; implicit-def: $sgpr30_sgpr31
                                        ; implicit-def: $sgpr34_sgpr35
                                        ; implicit-def: $sgpr36_sgpr37
	s_branch .LBB4_8149
.LBB4_8146:                             ;   in Loop: Header=BB4_8149 Depth=3
	s_waitcnt vmcnt(0) lgkmcnt(0)
	v_cmp_ge_u64_e64 s[26:27], v[48:49], v[0:1]
	s_or_b64 s[50:51], s[50:51], exec
	s_orn2_b64 s[48:49], s[26:27], exec
.LBB4_8147:                             ;   in Loop: Header=BB4_8149 Depth=3
	s_or_b64 exec, exec, s[54:55]
	s_andn2_b64 s[26:27], s[36:37], exec
	s_and_b64 s[36:37], s[50:51], exec
	s_or_b64 s[36:37], s[26:27], s[36:37]
	s_andn2_b64 s[26:27], s[34:35], exec
	s_and_b64 s[34:35], s[48:49], exec
	s_or_b64 s[34:35], s[26:27], s[34:35]
.LBB4_8148:                             ;   in Loop: Header=BB4_8149 Depth=3
	s_or_b64 exec, exec, s[38:39]
	s_and_b64 s[26:27], exec, s[34:35]
	s_or_b64 s[94:95], s[26:27], s[94:95]
	s_andn2_b64 s[26:27], s[30:31], exec
	s_and_b64 s[30:31], s[36:37], exec
	s_or_b64 s[30:31], s[26:27], s[30:31]
	s_andn2_b64 exec, exec, s[94:95]
	s_cbranch_execz .LBB4_8153
.LBB4_8149:                             ;   Parent Loop BB4_47 Depth=1
                                        ;     Parent Loop BB4_8141 Depth=2
                                        ; =>    This Inner Loop Header: Depth=3
	s_sleep 1
	s_waitcnt vmcnt(0) lgkmcnt(0)
	flat_load_dwordx2 v[48:49], v[32:33] glc
	s_or_b64 s[36:37], s[36:37], exec
	s_or_b64 s[34:35], s[34:35], exec
                                        ; implicit-def: $vgpr2
	s_and_saveexec_b64 s[38:39], vcc
	s_cbranch_execz .LBB4_8148
; %bb.8150:                             ;   in Loop: Header=BB4_8149 Depth=3
	s_cmpk_lt_i32 s9, 0x270f
	s_cselect_b64 s[52:53], -1, 0
	s_cmpk_gt_i32 s9, 0x270e
	s_mov_b64 s[48:49], -1
	s_cbranch_scc0 .LBB4_8152
; %bb.8151:                             ;   in Loop: Header=BB4_8149 Depth=3
	s_trap 2
	ds_read_b64 v[2:3], v0
	s_andn2_b64 s[52:53], s[52:53], exec
	s_mov_b32 s9, 0
	s_mov_b64 s[50:51], 0
	s_waitcnt vmcnt(0) lgkmcnt(0)
	flat_load_dword v2, v[2:3] glc
	s_waitcnt vmcnt(0) lgkmcnt(0)
	buffer_wbinvl1_vol
	v_cmp_eq_u32_e64 s[26:27], 0, v2
	s_and_b64 s[26:27], s[26:27], exec
	s_or_b64 s[52:53], s[52:53], s[26:27]
	s_and_saveexec_b64 s[54:55], s[52:53]
	s_cbranch_execz .LBB4_8147
	s_branch .LBB4_8146
.LBB4_8152:                             ;   in Loop: Header=BB4_8149 Depth=3
	s_add_i32 s9, s9, 1
	s_mov_b64 s[50:51], -1
                                        ; implicit-def: $vgpr2
	s_and_saveexec_b64 s[54:55], s[52:53]
	s_cbranch_execz .LBB4_8147
	s_branch .LBB4_8146
.LBB4_8153:                             ;   in Loop: Header=BB4_8141 Depth=2
	s_or_b64 exec, exec, s[94:95]
	s_xor_b64 s[26:27], s[30:31], -1
	s_and_saveexec_b64 s[94:95], s[26:27]
	s_xor_b64 s[26:27], exec, s[94:95]
	s_cbranch_execz .LBB4_8155
; %bb.8154:                             ;   in Loop: Header=BB4_8141 Depth=2
	v_or_b32_e32 v46, 64, v46
	s_waitcnt lgkmcnt(0)
	ds_write_b32 v0, v2
	s_trap 2
.LBB4_8155:                             ;   in Loop: Header=BB4_8141 Depth=2
	s_or_b64 exec, exec, s[26:27]
.LBB4_8156:                             ;   in Loop: Header=BB4_8141 Depth=2
	s_or_b64 exec, exec, s[92:93]
	v_and_b32_e32 v2, 0x100, v46
	;;#ASMSTART
	s_wakeup
	;;#ASMEND
	v_cmp_ne_u32_e32 vcc, 0, v2
	buffer_load_dword v2, off, s[0:3], s33 offset:56 ; 4-byte Folded Reload
	buffer_load_dword v3, off, s[0:3], s33 offset:60 ; 4-byte Folded Reload
	s_mov_b64 s[26:27], -1
	s_waitcnt vmcnt(0)
	v_and_b32_e32 v6, 7, v2
                                        ; implicit-def: $vgpr2_vgpr3
	s_and_saveexec_b64 s[92:93], vcc
	s_cbranch_execz .LBB4_8160
; %bb.8157:                             ;   in Loop: Header=BB4_8141 Depth=2
	buffer_load_dword v2, off, s[0:3], s33 offset:88 ; 4-byte Folded Reload
	buffer_load_dword v3, off, s[0:3], s33 offset:92 ; 4-byte Folded Reload
	;; [unrolled: 1-line block ×4, first 2 shown]
	s_waitcnt vmcnt(0)
	v_mad_u64_u32 v[4:5], s[26:27], v6, 24, v[2:3]
	flat_load_dword v2, v[4:5]
	s_waitcnt vmcnt(0) lgkmcnt(0)
	v_cmp_ne_u32_e32 vcc, 1, v2
	v_cmp_eq_u32_e64 s[26:27], 1, v2
                                        ; implicit-def: $vgpr2_vgpr3
	s_and_saveexec_b64 s[94:95], s[26:27]
	s_cbranch_execz .LBB4_8159
; %bb.8158:                             ;   in Loop: Header=BB4_8141 Depth=2
	flat_load_dword v2, v[4:5] offset:4 glc
	s_waitcnt vmcnt(0) lgkmcnt(0)
	v_ashrrev_i32_e32 v3, 31, v2
.LBB4_8159:                             ;   in Loop: Header=BB4_8141 Depth=2
	s_or_b64 exec, exec, s[94:95]
	s_orn2_b64 s[26:27], vcc, exec
.LBB4_8160:                             ;   in Loop: Header=BB4_8141 Depth=2
	s_or_b64 exec, exec, s[92:93]
	s_and_saveexec_b64 s[92:93], s[26:27]
	s_cbranch_execz .LBB4_8162
; %bb.8161:                             ;   in Loop: Header=BB4_8141 Depth=2
	buffer_load_dword v2, off, s[0:3], s33 offset:124 ; 4-byte Folded Reload
	s_waitcnt vmcnt(0)
	v_mad_i64_i32 v[2:3], s[26:27], v6, v2, 0
.LBB4_8162:                             ;   in Loop: Header=BB4_8141 Depth=2
	s_or_b64 exec, exec, s[92:93]
	buffer_load_dword v4, off, s[0:3], s33 offset:80 ; 4-byte Folded Reload
	buffer_load_dword v5, off, s[0:3], s33 offset:84 ; 4-byte Folded Reload
	s_waitcnt vmcnt(0)
	v_add_co_u32_e32 v2, vcc, v4, v2
	v_addc_co_u32_e32 v3, vcc, v5, v3, vcc
	ds_write_b64 v0, v[2:3] offset:720
	v_and_b32_e32 v2, 0x2000, v46
	v_cmp_ne_u32_e32 vcc, 0, v2
	s_and_saveexec_b64 s[26:27], vcc
	s_cbranch_execz .LBB4_8164
; %bb.8163:                             ;   in Loop: Header=BB4_8141 Depth=2
	ds_read_b64 v[2:3], v0 offset:872
	s_waitcnt lgkmcnt(0)
	v_add_co_u32_e32 v2, vcc, 1, v2
	v_addc_co_u32_e32 v3, vcc, 0, v3, vcc
	ds_write_b64 v0, v[2:3] offset:872
.LBB4_8164:                             ;   in Loop: Header=BB4_8141 Depth=2
	s_or_b64 exec, exec, s[26:27]
	buffer_store_dword v0, off, s[0:3], s33 offset:56 ; 4-byte Folded Spill
	s_nop 0
	buffer_store_dword v1, off, s[0:3], s33 offset:60 ; 4-byte Folded Spill
.LBB4_8165:                             ;   in Loop: Header=BB4_8141 Depth=2
	s_or_b64 exec, exec, s[90:91]
	s_and_saveexec_b64 s[26:27], s[10:11]
	s_cbranch_execz .LBB4_8184
; %bb.8166:                             ;   in Loop: Header=BB4_8141 Depth=2
	s_and_saveexec_b64 s[90:91], s[58:59]
	s_xor_b64 s[90:91], exec, s[90:91]
	s_cbranch_execz .LBB4_8181
; %bb.8167:                             ;   in Loop: Header=BB4_8141 Depth=2
	s_and_saveexec_b64 s[92:93], s[16:17]
	s_cbranch_execz .LBB4_8180
; %bb.8168:                             ;   in Loop: Header=BB4_8141 Depth=2
	s_mov_b64 s[30:31], exec
	v_mbcnt_lo_u32_b32 v0, s30, 0
	v_mbcnt_hi_u32_b32 v0, s31, v0
	v_cmp_eq_u32_e32 vcc, 0, v0
	s_waitcnt vmcnt(0) lgkmcnt(0)
	buffer_wbinvl1_vol
	s_and_saveexec_b64 s[94:95], vcc
	s_cbranch_execz .LBB4_8170
; %bb.8169:                             ;   in Loop: Header=BB4_8141 Depth=2
	s_bcnt1_i32_b64 s9, s[30:31]
	v_mov_b32_e32 v0, s9
	v_mov_b32_e32 v1, v61
	ds_add_u64 v0, v[0:1]
	s_trap 2
.LBB4_8170:                             ;   in Loop: Header=BB4_8141 Depth=2
	s_or_b64 exec, exec, s[94:95]
	s_trap 2
	ds_read_b64 v[0:1], v0
	s_waitcnt lgkmcnt(0)
	v_add_co_u32_e32 v40, vcc, v40, v21
	v_addc_co_u32_e32 v41, vcc, 0, v41, vcc
	v_cmp_lt_u64_e32 vcc, v[0:1], v[40:41]
	s_and_saveexec_b64 s[94:95], vcc
	s_cbranch_execz .LBB4_8179
; %bb.8171:                             ;   in Loop: Header=BB4_8141 Depth=2
	s_mov_b32 s9, 0
	s_mov_b64 s[30:31], 0
                                        ; implicit-def: $sgpr34_sgpr35
                                        ; implicit-def: $sgpr36_sgpr37
	s_branch .LBB4_8173
.LBB4_8172:                             ;   in Loop: Header=BB4_8173 Depth=3
	s_or_b64 exec, exec, s[48:49]
	s_and_b64 vcc, exec, vcc
	s_or_b64 s[30:31], vcc, s[30:31]
	s_andn2_b64 vcc, s[34:35], exec
	s_and_b64 s[34:35], s[36:37], exec
	s_or_b64 s[34:35], vcc, s[34:35]
	s_andn2_b64 exec, exec, s[30:31]
	s_cbranch_execz .LBB4_8177
.LBB4_8173:                             ;   Parent Loop BB4_47 Depth=1
                                        ;     Parent Loop BB4_8141 Depth=2
                                        ; =>    This Inner Loop Header: Depth=3
	s_add_i32 s9, s9, 1
	s_cmpk_lg_i32 s9, 0x2710
	s_cselect_b64 s[38:39], -1, 0
	s_and_b64 vcc, exec, s[38:39]
	s_cbranch_vccz .LBB4_8175
; %bb.8174:                             ;   in Loop: Header=BB4_8173 Depth=3
	s_mov_b64 vcc, -1
	s_or_b64 s[36:37], s[36:37], exec
	s_and_saveexec_b64 s[48:49], s[38:39]
	s_cbranch_execz .LBB4_8172
	s_branch .LBB4_8176
.LBB4_8175:                             ;   in Loop: Header=BB4_8173 Depth=3
	s_trap 2
	ds_read_b64 v[0:1], v0
	s_andn2_b64 s[38:39], s[38:39], exec
	s_mov_b32 s9, 0
	s_waitcnt lgkmcnt(0)
	flat_load_dword v0, v[0:1] glc
	s_waitcnt vmcnt(0) lgkmcnt(0)
	buffer_wbinvl1_vol
	v_cmp_eq_u32_e32 vcc, 0, v0
	s_and_b64 vcc, vcc, exec
	s_or_b64 s[38:39], s[38:39], vcc
	s_mov_b64 vcc, -1
	s_or_b64 s[36:37], s[36:37], exec
	s_and_saveexec_b64 s[48:49], s[38:39]
	s_cbranch_execz .LBB4_8172
.LBB4_8176:                             ;   in Loop: Header=BB4_8173 Depth=3
	s_sleep 1
	s_trap 2
	ds_read_b64 v[0:1], v0
	s_waitcnt lgkmcnt(0)
	s_andn2_b64 s[36:37], s[36:37], exec
	v_cmp_ge_u64_e32 vcc, v[0:1], v[40:41]
	s_orn2_b64 vcc, vcc, exec
	s_branch .LBB4_8172
.LBB4_8177:                             ;   in Loop: Header=BB4_8141 Depth=2
	s_or_b64 exec, exec, s[30:31]
	s_and_saveexec_b64 vcc, s[34:35]
	s_xor_b64 vcc, exec, vcc
	s_cbranch_execz .LBB4_8179
; %bb.8178:                             ;   in Loop: Header=BB4_8141 Depth=2
	v_mov_b32_e32 v0, 1
	ds_write_b32 v0, v0
	s_trap 2
.LBB4_8179:                             ;   in Loop: Header=BB4_8141 Depth=2
	s_or_b64 exec, exec, s[94:95]
	;;#ASMSTART
	s_wakeup
	;;#ASMEND
.LBB4_8180:                             ;   in Loop: Header=BB4_8141 Depth=2
	s_or_b64 exec, exec, s[92:93]
.LBB4_8181:                             ;   in Loop: Header=BB4_8141 Depth=2
	s_andn2_saveexec_b64 s[90:91], s[90:91]
	s_cbranch_execz .LBB4_8183
; %bb.8182:                             ;   in Loop: Header=BB4_8141 Depth=2
	s_waitcnt vmcnt(0) lgkmcnt(0)
	buffer_wbinvl1_vol
	s_barrier
.LBB4_8183:                             ;   in Loop: Header=BB4_8141 Depth=2
	s_or_b64 exec, exec, s[90:91]
.LBB4_8184:                             ;   in Loop: Header=BB4_8141 Depth=2
	s_or_b64 exec, exec, s[26:27]
	s_trap 2
	ds_read_b32 v4, v0
	v_and_b32_e32 v0, 0x4000, v46
	v_cmp_ne_u32_e32 vcc, 0, v0
	s_xor_b64 s[26:27], s[6:7], -1
	s_and_b64 s[90:91], s[26:27], vcc
	s_and_saveexec_b64 s[26:27], s[90:91]
	s_cbranch_execz .LBB4_8203
; %bb.8185:                             ;   in Loop: Header=BB4_8141 Depth=2
	s_and_saveexec_b64 s[90:91], s[58:59]
	s_xor_b64 s[90:91], exec, s[90:91]
	s_cbranch_execz .LBB4_8200
; %bb.8186:                             ;   in Loop: Header=BB4_8141 Depth=2
	s_and_saveexec_b64 s[92:93], s[16:17]
	s_cbranch_execz .LBB4_8199
; %bb.8187:                             ;   in Loop: Header=BB4_8141 Depth=2
	s_mov_b64 s[30:31], exec
	v_mbcnt_lo_u32_b32 v0, s30, 0
	v_mbcnt_hi_u32_b32 v0, s31, v0
	v_cmp_eq_u32_e32 vcc, 0, v0
	s_waitcnt vmcnt(0) lgkmcnt(0)
	buffer_wbinvl1_vol
	s_and_saveexec_b64 s[94:95], vcc
	s_cbranch_execz .LBB4_8189
; %bb.8188:                             ;   in Loop: Header=BB4_8141 Depth=2
	s_bcnt1_i32_b64 s9, s[30:31]
	v_mov_b32_e32 v0, s9
	v_mov_b32_e32 v1, v61
	ds_add_u64 v0, v[0:1]
	s_trap 2
.LBB4_8189:                             ;   in Loop: Header=BB4_8141 Depth=2
	s_or_b64 exec, exec, s[94:95]
	s_trap 2
	ds_read_b64 v[0:1], v0
	s_waitcnt lgkmcnt(0)
	v_add_co_u32_e32 v40, vcc, v40, v21
	v_addc_co_u32_e32 v41, vcc, 0, v41, vcc
	v_cmp_lt_u64_e32 vcc, v[0:1], v[40:41]
	s_and_saveexec_b64 s[94:95], vcc
	s_cbranch_execz .LBB4_8198
; %bb.8190:                             ;   in Loop: Header=BB4_8141 Depth=2
	s_mov_b32 s9, 0
	s_mov_b64 s[30:31], 0
                                        ; implicit-def: $sgpr34_sgpr35
                                        ; implicit-def: $sgpr36_sgpr37
	s_branch .LBB4_8192
.LBB4_8191:                             ;   in Loop: Header=BB4_8192 Depth=3
	s_or_b64 exec, exec, s[48:49]
	s_and_b64 vcc, exec, vcc
	s_or_b64 s[30:31], vcc, s[30:31]
	s_andn2_b64 vcc, s[34:35], exec
	s_and_b64 s[34:35], s[36:37], exec
	s_or_b64 s[34:35], vcc, s[34:35]
	s_andn2_b64 exec, exec, s[30:31]
	s_cbranch_execz .LBB4_8196
.LBB4_8192:                             ;   Parent Loop BB4_47 Depth=1
                                        ;     Parent Loop BB4_8141 Depth=2
                                        ; =>    This Inner Loop Header: Depth=3
	s_add_i32 s9, s9, 1
	s_cmpk_lg_i32 s9, 0x2710
	s_cselect_b64 s[38:39], -1, 0
	s_and_b64 vcc, exec, s[38:39]
	s_cbranch_vccz .LBB4_8194
; %bb.8193:                             ;   in Loop: Header=BB4_8192 Depth=3
	s_mov_b64 vcc, -1
	s_or_b64 s[36:37], s[36:37], exec
	s_and_saveexec_b64 s[48:49], s[38:39]
	s_cbranch_execz .LBB4_8191
	s_branch .LBB4_8195
.LBB4_8194:                             ;   in Loop: Header=BB4_8192 Depth=3
	s_trap 2
	ds_read_b64 v[0:1], v0
	s_andn2_b64 s[38:39], s[38:39], exec
	s_mov_b32 s9, 0
	s_waitcnt lgkmcnt(0)
	flat_load_dword v0, v[0:1] glc
	s_waitcnt vmcnt(0) lgkmcnt(0)
	buffer_wbinvl1_vol
	v_cmp_eq_u32_e32 vcc, 0, v0
	s_and_b64 vcc, vcc, exec
	s_or_b64 s[38:39], s[38:39], vcc
	s_mov_b64 vcc, -1
	s_or_b64 s[36:37], s[36:37], exec
	s_and_saveexec_b64 s[48:49], s[38:39]
	s_cbranch_execz .LBB4_8191
.LBB4_8195:                             ;   in Loop: Header=BB4_8192 Depth=3
	s_sleep 1
	s_trap 2
	ds_read_b64 v[0:1], v0
	s_waitcnt lgkmcnt(0)
	s_andn2_b64 s[36:37], s[36:37], exec
	v_cmp_ge_u64_e32 vcc, v[0:1], v[40:41]
	s_orn2_b64 vcc, vcc, exec
	s_branch .LBB4_8191
.LBB4_8196:                             ;   in Loop: Header=BB4_8141 Depth=2
	s_or_b64 exec, exec, s[30:31]
	s_and_saveexec_b64 vcc, s[34:35]
	s_xor_b64 vcc, exec, vcc
	s_cbranch_execz .LBB4_8198
; %bb.8197:                             ;   in Loop: Header=BB4_8141 Depth=2
	v_mov_b32_e32 v0, 1
	ds_write_b32 v0, v0
	s_trap 2
.LBB4_8198:                             ;   in Loop: Header=BB4_8141 Depth=2
	s_or_b64 exec, exec, s[94:95]
	;;#ASMSTART
	s_wakeup
	;;#ASMEND
.LBB4_8199:                             ;   in Loop: Header=BB4_8141 Depth=2
	s_or_b64 exec, exec, s[92:93]
.LBB4_8200:                             ;   in Loop: Header=BB4_8141 Depth=2
	s_andn2_saveexec_b64 s[90:91], s[90:91]
	s_cbranch_execz .LBB4_8202
; %bb.8201:                             ;   in Loop: Header=BB4_8141 Depth=2
	s_waitcnt vmcnt(0) lgkmcnt(0)
	buffer_wbinvl1_vol
	s_barrier
.LBB4_8202:                             ;   in Loop: Header=BB4_8141 Depth=2
	s_or_b64 exec, exec, s[90:91]
.LBB4_8203:                             ;   in Loop: Header=BB4_8141 Depth=2
	s_or_b64 exec, exec, s[26:27]
	v_sub_u32_e32 v0, v8, v10
	v_min_i32_e32 v9, v9, v0
	s_trap 2
	ds_read_b64 v[0:1], v0
	s_waitcnt lgkmcnt(0)
	v_cmp_eq_u64_e32 vcc, 0, v[0:1]
	s_cbranch_vccnz .LBB4_8211
; %bb.8204:                             ;   in Loop: Header=BB4_8141 Depth=2
	s_trap 2
	ds_read_b64 v[2:3], v0
	s_waitcnt lgkmcnt(0)
	v_cmp_eq_u64_e32 vcc, 0, v[2:3]
	s_cbranch_vccnz .LBB4_8211
; %bb.8205:                             ;   in Loop: Header=BB4_8141 Depth=2
	s_mov_b64 s[26:27], -1
	s_and_saveexec_b64 s[90:91], s[20:21]
	s_cbranch_execz .LBB4_8207
; %bb.8206:                             ;   in Loop: Header=BB4_8141 Depth=2
	ds_read_b32 v5, v0 offset:720
	s_waitcnt lgkmcnt(0)
	v_and_b32_e32 v5, 15, v5
	v_cmp_eq_u32_e32 vcc, 0, v5
	s_orn2_b64 s[26:27], vcc, exec
.LBB4_8207:                             ;   in Loop: Header=BB4_8141 Depth=2
	s_or_b64 exec, exec, s[90:91]
	s_and_saveexec_b64 s[90:91], s[18:19]
	s_cbranch_execz .LBB4_8209
; %bb.8208:                             ;   in Loop: Header=BB4_8141 Depth=2
	ds_read_b32 v5, v0 offset:784
	s_waitcnt lgkmcnt(0)
	v_and_b32_e32 v5, 15, v5
	v_cmp_eq_u32_e32 vcc, 0, v5
	s_and_b64 s[92:93], s[26:27], vcc
	s_andn2_b64 s[26:27], s[26:27], exec
	s_and_b64 s[92:93], s[92:93], exec
	s_or_b64 s[26:27], s[26:27], s[92:93]
.LBB4_8209:                             ;   in Loop: Header=BB4_8141 Depth=2
	s_or_b64 exec, exec, s[90:91]
	buffer_load_dword v6, off, s[0:3], s33 offset:148 ; 4-byte Folded Reload
	buffer_load_dword v16, off, s[0:3], s33 offset:112 ; 4-byte Folded Reload
	v_cmp_eq_u32_e32 vcc, 0, v4
	s_xor_b64 s[26:27], s[26:27], -1
	v_cndmask_b32_e32 v13, 0, v9, vcc
	v_cndmask_b32_e64 v4, 0, 1, s[26:27]
	s_mov_b64 s[92:93], -1
	v_cmp_ne_u32_e32 vcc, 0, v4
	v_mov_b32_e32 v4, 0
	v_mov_b32_e32 v5, v13
	s_cbranch_vccz .LBB4_8216
; %bb.8210:                             ;   in Loop: Header=BB4_8141 Depth=2
	s_and_saveexec_b64 s[26:27], s[92:93]
	s_cbranch_execnz .LBB4_8229
	s_branch .LBB4_8237
.LBB4_8211:                             ;   in Loop: Header=BB4_8141 Depth=2
	s_mov_b64 s[26:27], 0
	s_and_saveexec_b64 s[90:91], s[10:11]
	s_cbranch_execnz .LBB4_8238
.LBB4_8212:                             ;   in Loop: Header=BB4_8141 Depth=2
	s_or_b64 exec, exec, s[90:91]
	s_and_saveexec_b64 s[90:91], s[24:25]
	s_xor_b64 s[90:91], exec, s[90:91]
	s_cbranch_execz .LBB4_8256
.LBB4_8213:                             ;   in Loop: Header=BB4_8141 Depth=2
	v_and_b32_e32 v0, 16, v46
	v_cmp_ne_u32_e32 vcc, 0, v0
	s_and_b64 s[92:93], vcc, s[26:27]
	s_and_saveexec_b64 s[26:27], s[92:93]
	s_cbranch_execz .LBB4_8215
; %bb.8214:                             ;   in Loop: Header=BB4_8141 Depth=2
	s_waitcnt vmcnt(0) lgkmcnt(0)
	buffer_wbinvl1_vol
.LBB4_8215:                             ;   in Loop: Header=BB4_8141 Depth=2
	s_or_b64 exec, exec, s[26:27]
	s_andn2_saveexec_b64 s[26:27], s[90:91]
	s_cbranch_execz .LBB4_8275
	s_branch .LBB4_8257
.LBB4_8216:                             ;   in Loop: Header=BB4_8141 Depth=2
	v_ashrrev_i32_e32 v4, 31, v13
	v_lshrrev_b32_e32 v4, 20, v4
	v_add_u32_e32 v4, v13, v4
	s_waitcnt vmcnt(0)
	v_ashrrev_i32_e32 v15, 12, v4
	buffer_load_dword v4, off, s[0:3], s33 offset:112 ; 4-byte Folded Reload
	s_waitcnt vmcnt(0)
	v_sub_u32_e32 v14, v15, v4
	v_cmp_lt_i32_e32 vcc, 0, v14
	s_and_saveexec_b64 s[26:27], vcc
	s_cbranch_execz .LBB4_8220
; %bb.8217:                             ;   in Loop: Header=BB4_8141 Depth=2
	buffer_load_dword v37, off, s[0:3], s33 offset:256 ; 4-byte Folded Reload
	buffer_load_dword v38, off, s[0:3], s33 offset:260 ; 4-byte Folded Reload
	buffer_load_dword v39, off, s[0:3], s33 offset:264 ; 4-byte Folded Reload
	v_mov_b32_e32 v5, v3
	v_mov_b32_e32 v7, v1
	s_mov_b64 s[90:91], 0
	v_mov_b32_e32 v4, v2
	v_mov_b32_e32 v6, v0
	;; [unrolled: 1-line block ×3, first 2 shown]
.LBB4_8218:                             ;   Parent Loop BB4_47 Depth=1
                                        ;     Parent Loop BB4_8141 Depth=2
                                        ; =>    This Inner Loop Header: Depth=3
	s_waitcnt vmcnt(1)
	v_add_co_u32_e32 v28, vcc, v38, v6
	s_waitcnt vmcnt(0)
	v_addc_co_u32_e32 v29, vcc, v39, v7, vcc
	global_load_dwordx4 v[16:19], v[28:29], off glc slc
	global_load_dwordx4 v[20:23], v[28:29], off offset:1024 glc slc
	global_load_dwordx4 v[24:27], v[28:29], off offset:2048 glc slc
	s_nop 0
	global_load_dwordx4 v[28:31], v[28:29], off offset:3072 glc slc
	v_add_co_u32_e32 v34, vcc, v38, v4
	v_addc_co_u32_e32 v35, vcc, v39, v5, vcc
	v_add_co_u32_e32 v6, vcc, v6, v37
	v_addc_co_u32_e32 v7, vcc, 0, v7, vcc
	v_add_co_u32_e32 v4, vcc, v4, v37
	v_sub_u32_e32 v14, v14, v36
	v_addc_co_u32_e32 v5, vcc, 0, v5, vcc
	v_cmp_gt_i32_e32 vcc, 1, v14
	s_or_b64 s[90:91], vcc, s[90:91]
	s_waitcnt vmcnt(3)
	global_store_dwordx4 v[34:35], v[16:19], off glc slc
	s_waitcnt vmcnt(3)
	global_store_dwordx4 v[34:35], v[20:23], off offset:1024 glc slc
	s_waitcnt vmcnt(3)
	global_store_dwordx4 v[34:35], v[24:27], off offset:2048 glc slc
	;; [unrolled: 2-line block ×3, first 2 shown]
	s_andn2_b64 exec, exec, s[90:91]
	s_cbranch_execnz .LBB4_8218
; %bb.8219:                             ;   in Loop: Header=BB4_8141 Depth=2
	s_or_b64 exec, exec, s[90:91]
	v_mov_b32_e32 v21, v36
.LBB4_8220:                             ;   in Loop: Header=BB4_8141 Depth=2
	s_or_b64 exec, exec, s[26:27]
	v_lshlrev_b32_e32 v7, 12, v15
	v_cmp_ne_u32_e32 vcc, v13, v7
	s_mov_b64 s[92:93], 0
	v_mov_b32_e32 v4, 0
                                        ; implicit-def: $vgpr5
                                        ; implicit-def: $vgpr6
                                        ; implicit-def: $vgpr16
	s_and_saveexec_b64 s[90:91], vcc
	s_cbranch_execz .LBB4_8228
; %bb.8221:                             ;   in Loop: Header=BB4_8141 Depth=2
	buffer_load_dword v5, off, s[0:3], s33 offset:228 ; 4-byte Folded Reload
	v_lshlrev_b32_e32 v4, 6, v14
	v_sub_u32_e32 v6, v13, v7
	v_ashrrev_i32_e32 v15, 31, v6
	v_lshrrev_b32_e32 v15, 22, v15
	v_add_u32_e32 v15, v6, v15
	v_ashrrev_i32_e32 v17, 10, v15
	v_and_b32_e32 v15, 0xfffffc00, v15
	v_sub_u32_e32 v18, v6, v15
	v_cmp_lt_i32_e32 vcc, 15, v18
	s_waitcnt vmcnt(0)
	v_sub_u32_e32 v4, v5, v4
	v_ashrrev_i32_e32 v5, 31, v4
	v_lshrrev_b32_e32 v5, 26, v5
	v_add_u32_e32 v5, v4, v5
	v_ashrrev_i32_e32 v16, 6, v5
	v_and_b32_e32 v5, 0xffffffc0, v5
	v_sub_u32_e32 v14, v4, v5
	v_lshlrev_b32_e32 v4, 4, v14
	v_lshl_add_u32 v5, v16, 10, v4
	v_sub_u32_e32 v4, v6, v5
	v_addc_co_u32_e64 v6, s[26:27], 0, v17, vcc
	v_sub_u32_e32 v17, v6, v16
	v_cmp_lt_i32_e64 s[26:27], 15, v4
	s_and_saveexec_b64 s[92:93], s[26:27]
	s_cbranch_execz .LBB4_8225
; %bb.8222:                             ;   in Loop: Header=BB4_8141 Depth=2
	buffer_load_dword v25, off, s[0:3], s33 offset:68 ; 4-byte Folded Reload
	v_add_u32_e32 v5, v5, v7
	v_ashrrev_i32_e32 v6, 31, v5
	s_mov_b64 s[94:95], 0
	v_mov_b32_e32 v16, v21
.LBB4_8223:                             ;   Parent Loop BB4_47 Depth=1
                                        ;     Parent Loop BB4_8141 Depth=2
                                        ; =>    This Inner Loop Header: Depth=3
	v_add_co_u32_e64 v19, s[26:27], v0, v5
	v_addc_co_u32_e64 v20, s[26:27], v1, v6, s[26:27]
	global_load_dwordx4 v[19:22], v[19:20], off glc slc
	v_add_co_u32_e64 v23, s[26:27], v2, v5
	v_addc_co_u32_e64 v24, s[26:27], v3, v6, s[26:27]
	s_waitcnt vmcnt(1)
	v_add_co_u32_e64 v5, s[26:27], v5, v25
	v_sub_u32_e32 v4, v4, v25
	v_addc_co_u32_e64 v6, s[26:27], 0, v6, s[26:27]
	v_cmp_gt_i32_e64 s[26:27], 16, v4
	v_sub_u32_e32 v17, v17, v16
	s_or_b64 s[94:95], s[26:27], s[94:95]
	s_waitcnt vmcnt(0)
	global_store_dwordx4 v[23:24], v[19:22], off glc slc
	s_andn2_b64 exec, exec, s[94:95]
	s_cbranch_execnz .LBB4_8223
; %bb.8224:                             ;   in Loop: Header=BB4_8141 Depth=2
	s_or_b64 exec, exec, s[94:95]
	v_mov_b32_e32 v21, v16
.LBB4_8225:                             ;   in Loop: Header=BB4_8141 Depth=2
	s_or_b64 exec, exec, s[92:93]
	v_and_b32_e32 v19, 15, v13
	v_cndmask_b32_e32 v5, v18, v19, vcc
	v_mov_b32_e32 v4, 0
	v_cmp_ne_u32_e64 s[26:27], 0, v5
	s_mov_b64 s[94:95], 0
                                        ; implicit-def: $vgpr6
                                        ; implicit-def: $vgpr16
	s_and_saveexec_b64 s[92:93], s[26:27]
	s_cbranch_execz .LBB4_8227
; %bb.8226:                             ;   in Loop: Header=BB4_8141 Depth=2
	v_sub_u32_e32 v4, v18, v19
	v_cndmask_b32_e32 v4, 0, v4, vcc
	v_cmp_lt_i32_e32 vcc, 0, v17
	v_cndmask_b32_e32 v6, 0, v21, vcc
	v_sub_u32_e32 v6, v6, v17
	v_lshl_add_u32 v6, v6, 6, v14
	v_add3_u32 v4, v15, v7, v4
	v_ashrrev_i32_e32 v7, 31, v6
	v_lshrrev_b32_e32 v7, 26, v7
	v_add_u32_e32 v7, v6, v7
	v_ashrrev_i32_e32 v16, 6, v7
	s_mov_b64 s[94:95], exec
.LBB4_8227:                             ;   in Loop: Header=BB4_8141 Depth=2
	s_or_b64 exec, exec, s[92:93]
	s_and_b64 s[92:93], s[94:95], exec
.LBB4_8228:                             ;   in Loop: Header=BB4_8141 Depth=2
	s_or_b64 exec, exec, s[90:91]
	s_and_saveexec_b64 s[26:27], s[92:93]
	s_cbranch_execz .LBB4_8237
.LBB4_8229:                             ;   in Loop: Header=BB4_8141 Depth=2
	v_ashrrev_i32_e32 v7, 31, v5
	v_lshrrev_b32_e32 v7, 22, v7
	v_add_u32_e32 v7, v5, v7
	s_waitcnt vmcnt(0)
	v_ashrrev_i32_e32 v15, 10, v7
	s_waitcnt vmcnt(0)
	v_sub_u32_e32 v7, v15, v16
	v_ashrrev_i32_e32 v14, 31, v6
	v_cmp_lt_i32_e32 vcc, 0, v7
	v_lshrrev_b32_e32 v14, 26, v14
	s_and_saveexec_b64 s[90:91], vcc
	s_cbranch_execz .LBB4_8233
; %bb.8230:                             ;   in Loop: Header=BB4_8141 Depth=2
	buffer_load_dword v39, off, s[0:3], s33 offset:68 ; 4-byte Folded Reload
	v_add_u32_e32 v17, v6, v14
	v_and_b32_e32 v17, 0xffffffc0, v17
	v_sub_u32_e32 v17, v6, v17
	v_lshlrev_b32_e32 v16, 10, v16
	v_add3_u32 v16, v4, v17, v16
	v_ashrrev_i32_e32 v17, 31, v16
	s_mov_b64 s[92:93], 0
	v_mov_b32_e32 v38, v21
.LBB4_8231:                             ;   Parent Loop BB4_47 Depth=1
                                        ;     Parent Loop BB4_8141 Depth=2
                                        ; =>    This Inner Loop Header: Depth=3
	v_add_co_u32_e32 v18, vcc, v16, v0
	v_addc_co_u32_e32 v19, vcc, v17, v1, vcc
	flat_load_ubyte v20, v[18:19] glc slc
	flat_load_ubyte v21, v[18:19] offset:64 glc slc
	flat_load_ubyte v22, v[18:19] offset:128 glc slc
	;; [unrolled: 1-line block ×15, first 2 shown]
	v_add_co_u32_e32 v18, vcc, v16, v2
	v_addc_co_u32_e32 v19, vcc, v17, v3, vcc
	s_waitcnt vmcnt(0)
	v_add_co_u32_e32 v0, vcc, v0, v39
	v_addc_co_u32_e32 v1, vcc, 0, v1, vcc
	v_add_co_u32_e32 v2, vcc, v2, v39
	v_sub_u32_e32 v7, v7, v38
	v_addc_co_u32_e32 v3, vcc, 0, v3, vcc
	v_cmp_gt_i32_e32 vcc, 1, v7
	s_or_b64 s[92:93], vcc, s[92:93]
	s_waitcnt lgkmcnt(0)
	flat_store_byte v[18:19], v20 glc slc
	flat_store_byte v[18:19], v21 offset:64 glc slc
	flat_store_byte v[18:19], v22 offset:128 glc slc
	;; [unrolled: 1-line block ×15, first 2 shown]
	s_andn2_b64 exec, exec, s[92:93]
	s_cbranch_execnz .LBB4_8231
; %bb.8232:                             ;   in Loop: Header=BB4_8141 Depth=2
	s_or_b64 exec, exec, s[92:93]
	v_mov_b32_e32 v21, v38
.LBB4_8233:                             ;   in Loop: Header=BB4_8141 Depth=2
	s_or_b64 exec, exec, s[90:91]
	v_lshlrev_b32_e32 v0, 10, v15
	buffer_load_dword v15, off, s[0:3], s33 offset:72 ; 4-byte Folded Reload
	v_cmp_ne_u32_e32 vcc, v5, v0
	s_and_b64 s[90:91], exec, vcc
	s_mov_b64 exec, s[90:91]
	s_cbranch_execz .LBB4_8237
; %bb.8234:                             ;   in Loop: Header=BB4_8141 Depth=2
	v_add_u32_e32 v1, v6, v14
	v_and_b32_e32 v1, 0xffffffc0, v1
	v_sub_u32_e32 v1, v6, v1
	v_lshlrev_b32_e32 v2, 6, v7
	v_sub_u32_e32 v1, v1, v2
	v_add_u32_e32 v0, v0, v1
	v_sub_u32_e32 v2, v5, v0
	v_cmp_lt_i32_e32 vcc, 0, v2
	s_and_b64 exec, exec, vcc
	s_cbranch_execz .LBB4_8237
; %bb.8235:                             ;   in Loop: Header=BB4_8141 Depth=2
	v_add_u32_e32 v3, v0, v4
	s_trap 2
	ds_read_b64 v[0:1], v0
	v_ashrrev_i32_e32 v4, 31, v3
	s_mov_b64 s[90:91], 0
.LBB4_8236:                             ;   Parent Loop BB4_47 Depth=1
                                        ;     Parent Loop BB4_8141 Depth=2
                                        ; =>    This Inner Loop Header: Depth=3
	s_waitcnt lgkmcnt(0)
	v_add_co_u32_e32 v5, vcc, v0, v3
	v_addc_co_u32_e32 v6, vcc, v1, v4, vcc
	flat_load_ubyte v7, v[5:6] glc slc
	s_waitcnt vmcnt(0)
	v_add_co_u32_e32 v3, vcc, v3, v15
	v_sub_u32_e32 v2, v2, v15
	v_addc_co_u32_e32 v4, vcc, 0, v4, vcc
	v_cmp_gt_i32_e32 vcc, 1, v2
	s_or_b64 s[90:91], vcc, s[90:91]
	s_waitcnt lgkmcnt(0)
	flat_store_byte v[5:6], v7 glc slc
	s_andn2_b64 exec, exec, s[90:91]
	s_cbranch_execnz .LBB4_8236
.LBB4_8237:                             ;   in Loop: Header=BB4_8141 Depth=2
	s_or_b64 exec, exec, s[26:27]
	v_cmp_lt_i32_e64 s[26:27], 0, v13
	s_and_saveexec_b64 s[90:91], s[10:11]
	s_cbranch_execz .LBB4_8212
.LBB4_8238:                             ;   in Loop: Header=BB4_8141 Depth=2
	s_and_saveexec_b64 s[92:93], s[58:59]
	s_xor_b64 s[92:93], exec, s[92:93]
	s_cbranch_execz .LBB4_8253
; %bb.8239:                             ;   in Loop: Header=BB4_8141 Depth=2
	s_and_saveexec_b64 s[94:95], s[16:17]
	s_cbranch_execz .LBB4_8252
; %bb.8240:                             ;   in Loop: Header=BB4_8141 Depth=2
	s_mov_b64 s[34:35], exec
	v_mbcnt_lo_u32_b32 v0, s34, 0
	v_mbcnt_hi_u32_b32 v0, s35, v0
	v_cmp_eq_u32_e32 vcc, 0, v0
	s_waitcnt vmcnt(0) lgkmcnt(0)
	buffer_wbinvl1_vol
	s_and_saveexec_b64 s[30:31], vcc
	s_cbranch_execz .LBB4_8242
; %bb.8241:                             ;   in Loop: Header=BB4_8141 Depth=2
	s_bcnt1_i32_b64 s9, s[34:35]
	v_mov_b32_e32 v0, s9
	v_mov_b32_e32 v1, v61
	ds_add_u64 v0, v[0:1]
	s_trap 2
.LBB4_8242:                             ;   in Loop: Header=BB4_8141 Depth=2
	s_or_b64 exec, exec, s[30:31]
	s_trap 2
	ds_read_b64 v[0:1], v0
	s_waitcnt lgkmcnt(0)
	v_add_co_u32_e32 v40, vcc, v40, v21
	v_addc_co_u32_e32 v41, vcc, 0, v41, vcc
	v_cmp_lt_u64_e32 vcc, v[0:1], v[40:41]
	s_and_saveexec_b64 s[30:31], vcc
	s_cbranch_execz .LBB4_8251
; %bb.8243:                             ;   in Loop: Header=BB4_8141 Depth=2
	s_mov_b32 s9, 0
	s_mov_b64 s[34:35], 0
                                        ; implicit-def: $sgpr36_sgpr37
                                        ; implicit-def: $sgpr38_sgpr39
	s_branch .LBB4_8245
.LBB4_8244:                             ;   in Loop: Header=BB4_8245 Depth=3
	s_or_b64 exec, exec, s[50:51]
	s_and_b64 vcc, exec, vcc
	s_or_b64 s[34:35], vcc, s[34:35]
	s_andn2_b64 vcc, s[36:37], exec
	s_and_b64 s[36:37], s[38:39], exec
	s_or_b64 s[36:37], vcc, s[36:37]
	s_andn2_b64 exec, exec, s[34:35]
	s_cbranch_execz .LBB4_8249
.LBB4_8245:                             ;   Parent Loop BB4_47 Depth=1
                                        ;     Parent Loop BB4_8141 Depth=2
                                        ; =>    This Inner Loop Header: Depth=3
	s_add_i32 s9, s9, 1
	s_cmpk_lg_i32 s9, 0x2710
	s_cselect_b64 s[48:49], -1, 0
	s_and_b64 vcc, exec, s[48:49]
	s_cbranch_vccz .LBB4_8247
; %bb.8246:                             ;   in Loop: Header=BB4_8245 Depth=3
	s_mov_b64 vcc, -1
	s_or_b64 s[38:39], s[38:39], exec
	s_and_saveexec_b64 s[50:51], s[48:49]
	s_cbranch_execz .LBB4_8244
	s_branch .LBB4_8248
.LBB4_8247:                             ;   in Loop: Header=BB4_8245 Depth=3
	s_trap 2
	ds_read_b64 v[0:1], v0
	s_andn2_b64 s[48:49], s[48:49], exec
	s_mov_b32 s9, 0
	s_waitcnt lgkmcnt(0)
	flat_load_dword v0, v[0:1] glc
	s_waitcnt vmcnt(0) lgkmcnt(0)
	buffer_wbinvl1_vol
	v_cmp_eq_u32_e32 vcc, 0, v0
	s_and_b64 vcc, vcc, exec
	s_or_b64 s[48:49], s[48:49], vcc
	s_mov_b64 vcc, -1
	s_or_b64 s[38:39], s[38:39], exec
	s_and_saveexec_b64 s[50:51], s[48:49]
	s_cbranch_execz .LBB4_8244
.LBB4_8248:                             ;   in Loop: Header=BB4_8245 Depth=3
	s_sleep 1
	s_trap 2
	ds_read_b64 v[0:1], v0
	s_waitcnt lgkmcnt(0)
	s_andn2_b64 s[38:39], s[38:39], exec
	v_cmp_ge_u64_e32 vcc, v[0:1], v[40:41]
	s_orn2_b64 vcc, vcc, exec
	s_branch .LBB4_8244
.LBB4_8249:                             ;   in Loop: Header=BB4_8141 Depth=2
	s_or_b64 exec, exec, s[34:35]
	s_and_saveexec_b64 vcc, s[36:37]
	s_xor_b64 vcc, exec, vcc
	s_cbranch_execz .LBB4_8251
; %bb.8250:                             ;   in Loop: Header=BB4_8141 Depth=2
	v_mov_b32_e32 v0, 1
	ds_write_b32 v0, v0
	s_trap 2
.LBB4_8251:                             ;   in Loop: Header=BB4_8141 Depth=2
	s_or_b64 exec, exec, s[30:31]
	;;#ASMSTART
	s_wakeup
	;;#ASMEND
.LBB4_8252:                             ;   in Loop: Header=BB4_8141 Depth=2
	s_or_b64 exec, exec, s[94:95]
.LBB4_8253:                             ;   in Loop: Header=BB4_8141 Depth=2
	s_andn2_saveexec_b64 s[92:93], s[92:93]
	s_cbranch_execz .LBB4_8255
; %bb.8254:                             ;   in Loop: Header=BB4_8141 Depth=2
	s_waitcnt vmcnt(0) lgkmcnt(0)
	buffer_wbinvl1_vol
	s_barrier
.LBB4_8255:                             ;   in Loop: Header=BB4_8141 Depth=2
	s_or_b64 exec, exec, s[92:93]
	s_or_b64 exec, exec, s[90:91]
	s_and_saveexec_b64 s[90:91], s[24:25]
	s_xor_b64 s[90:91], exec, s[90:91]
	s_cbranch_execnz .LBB4_8213
.LBB4_8256:                             ;   in Loop: Header=BB4_8141 Depth=2
	s_andn2_saveexec_b64 s[26:27], s[90:91]
	s_cbranch_execz .LBB4_8275
.LBB4_8257:                             ;   in Loop: Header=BB4_8141 Depth=2
	s_and_saveexec_b64 s[90:91], s[58:59]
	s_xor_b64 s[90:91], exec, s[90:91]
	s_cbranch_execz .LBB4_8272
; %bb.8258:                             ;   in Loop: Header=BB4_8141 Depth=2
	s_and_saveexec_b64 s[92:93], s[16:17]
	s_cbranch_execz .LBB4_8271
; %bb.8259:                             ;   in Loop: Header=BB4_8141 Depth=2
	s_mov_b64 s[30:31], exec
	v_mbcnt_lo_u32_b32 v0, s30, 0
	v_mbcnt_hi_u32_b32 v0, s31, v0
	v_cmp_eq_u32_e32 vcc, 0, v0
	;;#ASMSTART
	s_waitcnt lgkmcnt(0) vmcnt(0)
	;;#ASMEND
	s_and_saveexec_b64 s[94:95], vcc
	s_cbranch_execz .LBB4_8261
; %bb.8260:                             ;   in Loop: Header=BB4_8141 Depth=2
	s_bcnt1_i32_b64 s9, s[30:31]
	v_mov_b32_e32 v0, s9
	v_mov_b32_e32 v1, v61
	s_waitcnt lgkmcnt(0)
	ds_add_u64 v0, v[0:1]
	s_trap 2
.LBB4_8261:                             ;   in Loop: Header=BB4_8141 Depth=2
	s_or_b64 exec, exec, s[94:95]
	s_trap 2
	ds_read_b64 v[0:1], v0
	s_waitcnt lgkmcnt(0)
	v_add_co_u32_e32 v40, vcc, v40, v21
	v_addc_co_u32_e32 v41, vcc, 0, v41, vcc
	v_cmp_lt_u64_e32 vcc, v[0:1], v[40:41]
	s_and_saveexec_b64 s[94:95], vcc
	s_cbranch_execz .LBB4_8270
; %bb.8262:                             ;   in Loop: Header=BB4_8141 Depth=2
	s_mov_b32 s9, 0
	s_mov_b64 s[30:31], 0
                                        ; implicit-def: $sgpr34_sgpr35
                                        ; implicit-def: $sgpr36_sgpr37
	s_branch .LBB4_8264
.LBB4_8263:                             ;   in Loop: Header=BB4_8264 Depth=3
	s_or_b64 exec, exec, s[48:49]
	s_and_b64 vcc, exec, vcc
	s_or_b64 s[30:31], vcc, s[30:31]
	s_andn2_b64 vcc, s[34:35], exec
	s_and_b64 s[34:35], s[36:37], exec
	s_or_b64 s[34:35], vcc, s[34:35]
	s_andn2_b64 exec, exec, s[30:31]
	s_cbranch_execz .LBB4_8268
.LBB4_8264:                             ;   Parent Loop BB4_47 Depth=1
                                        ;     Parent Loop BB4_8141 Depth=2
                                        ; =>    This Inner Loop Header: Depth=3
	s_add_i32 s9, s9, 1
	s_cmpk_lg_i32 s9, 0x2710
	s_cselect_b64 s[38:39], -1, 0
	s_and_b64 vcc, exec, s[38:39]
	s_cbranch_vccz .LBB4_8266
; %bb.8265:                             ;   in Loop: Header=BB4_8264 Depth=3
	s_mov_b64 vcc, -1
	s_or_b64 s[36:37], s[36:37], exec
	s_and_saveexec_b64 s[48:49], s[38:39]
	s_cbranch_execz .LBB4_8263
	s_branch .LBB4_8267
.LBB4_8266:                             ;   in Loop: Header=BB4_8264 Depth=3
	s_trap 2
	ds_read_b64 v[0:1], v0
	s_andn2_b64 s[38:39], s[38:39], exec
	s_mov_b32 s9, 0
	s_waitcnt vmcnt(0) lgkmcnt(0)
	flat_load_dword v0, v[0:1] glc
	s_waitcnt vmcnt(0) lgkmcnt(0)
	buffer_wbinvl1_vol
	v_cmp_eq_u32_e32 vcc, 0, v0
	s_and_b64 vcc, vcc, exec
	s_or_b64 s[38:39], s[38:39], vcc
	s_mov_b64 vcc, -1
	s_or_b64 s[36:37], s[36:37], exec
	s_and_saveexec_b64 s[48:49], s[38:39]
	s_cbranch_execz .LBB4_8263
.LBB4_8267:                             ;   in Loop: Header=BB4_8264 Depth=3
	s_sleep 1
	s_trap 2
	ds_read_b64 v[0:1], v0
	s_waitcnt lgkmcnt(0)
	s_andn2_b64 s[36:37], s[36:37], exec
	v_cmp_ge_u64_e32 vcc, v[0:1], v[40:41]
	s_orn2_b64 vcc, vcc, exec
	s_branch .LBB4_8263
.LBB4_8268:                             ;   in Loop: Header=BB4_8141 Depth=2
	s_or_b64 exec, exec, s[30:31]
	s_and_saveexec_b64 vcc, s[34:35]
	s_xor_b64 vcc, exec, vcc
	s_cbranch_execz .LBB4_8270
; %bb.8269:                             ;   in Loop: Header=BB4_8141 Depth=2
	v_mov_b32_e32 v0, 1
	ds_write_b32 v0, v0
	s_trap 2
.LBB4_8270:                             ;   in Loop: Header=BB4_8141 Depth=2
	s_or_b64 exec, exec, s[94:95]
	;;#ASMSTART
	s_wakeup
	;;#ASMEND
.LBB4_8271:                             ;   in Loop: Header=BB4_8141 Depth=2
	s_or_b64 exec, exec, s[92:93]
.LBB4_8272:                             ;   in Loop: Header=BB4_8141 Depth=2
	s_andn2_saveexec_b64 s[90:91], s[90:91]
	s_cbranch_execz .LBB4_8274
; %bb.8273:                             ;   in Loop: Header=BB4_8141 Depth=2
	;;#ASMSTART
	s_waitcnt lgkmcnt(0) vmcnt(0)
	;;#ASMEND
	s_waitcnt vmcnt(0) lgkmcnt(0)
	s_barrier
.LBB4_8274:                             ;   in Loop: Header=BB4_8141 Depth=2
	s_or_b64 exec, exec, s[90:91]
.LBB4_8275:                             ;   in Loop: Header=BB4_8141 Depth=2
	s_or_b64 exec, exec, s[26:27]
	v_and_b32_e32 v0, 32, v46
	v_cmp_ne_u32_e32 vcc, 0, v0
	s_and_saveexec_b64 s[26:27], vcc
	s_cbranch_execz .LBB4_8140
; %bb.8276:                             ;   in Loop: Header=BB4_8141 Depth=2
	buffer_load_dword v0, off, s[0:3], s33 offset:56 ; 4-byte Folded Reload
	buffer_load_dword v1, off, s[0:3], s33 offset:60 ; 4-byte Folded Reload
	s_waitcnt vmcnt(0)
	v_add_co_u32_e32 v0, vcc, 2, v0
	v_addc_co_u32_e32 v1, vcc, 0, v1, vcc
	buffer_store_dword v0, off, s[0:3], s33 offset:56 ; 4-byte Folded Spill
	s_nop 0
	buffer_store_dword v1, off, s[0:3], s33 offset:60 ; 4-byte Folded Spill
	flat_store_dwordx2 v[32:33], v[0:1]
	s_branch .LBB4_8140
.LBB4_8277:                             ;   in Loop: Header=BB4_47 Depth=1
	s_or_b64 exec, exec, s[40:41]
.LBB4_8278:                             ;   in Loop: Header=BB4_47 Depth=1
	s_or_b64 exec, exec, s[28:29]
	v_cmp_gt_i32_e32 vcc, 2, v2
	s_and_saveexec_b64 s[28:29], vcc
	s_cbranch_execnz .LBB4_8279
; %bb.8399:                             ;   in Loop: Header=BB4_47 Depth=1
	s_getpc_b64 s[98:99]
.Lpost_getpc12:
	s_add_u32 s98, s98, (.LBB4_46-.Lpost_getpc12)&4294967295
	s_addc_u32 s99, s99, (.LBB4_46-.Lpost_getpc12)>>32
	s_setpc_b64 s[98:99]
.LBB4_8279:                             ;   in Loop: Header=BB4_47 Depth=1
	v_cmp_eq_u32_e64 s[42:43], 0, v2
	s_mov_b64 s[40:41], 0
	s_branch .LBB4_8281
.LBB4_8280:                             ;   in Loop: Header=BB4_8281 Depth=2
	s_or_b64 exec, exec, s[26:27]
	v_add_u32_e32 v10, v9, v10
	s_mov_b64 s[42:43], 0
	s_andn2_b64 exec, exec, s[40:41]
	s_cbranch_execnz .LBB4_8281
; %bb.8401:                             ;   in Loop: Header=BB4_47 Depth=1
	s_getpc_b64 s[98:99]
.Lpost_getpc13:
	s_add_u32 s98, s98, (.LBB4_45-.Lpost_getpc13)&4294967295
	s_addc_u32 s99, s99, (.LBB4_45-.Lpost_getpc13)>>32
	s_setpc_b64 s[98:99]
.LBB4_8281:                             ;   Parent Loop BB4_47 Depth=1
                                        ; =>  This Loop Header: Depth=2
                                        ;       Child Loop BB4_8287 Depth 3
                                        ;       Child Loop BB4_8311 Depth 3
	;; [unrolled: 1-line block ×3, first 2 shown]
	v_and_b32_e32 v0, 4, v46
	v_cmp_ne_u32_e32 vcc, 0, v0
	s_and_saveexec_b64 s[90:91], vcc
	s_cbranch_execz .LBB4_8303
; %bb.8282:                             ;   in Loop: Header=BB4_8281 Depth=2
	buffer_load_dword v0, off, s[0:3], s33 offset:56 ; 4-byte Folded Reload
	buffer_load_dword v1, off, s[0:3], s33 offset:60 ; 4-byte Folded Reload
	s_waitcnt vmcnt(0)
	v_add_co_u32_e32 v0, vcc, 2, v0
	v_addc_co_u32_e32 v1, vcc, 0, v1, vcc
	s_waitcnt lgkmcnt(0)
	v_cmp_lt_u64_e32 vcc, v[48:49], v[0:1]
	s_and_saveexec_b64 s[92:93], vcc
	s_cbranch_execz .LBB4_8294
; %bb.8283:                             ;   in Loop: Header=BB4_8281 Depth=2
	v_and_b32_e32 v2, 64, v46
	s_mov_b32 s8, 0
	v_cmp_eq_u32_e32 vcc, 0, v2
	s_mov_b64 s[94:95], 0
                                        ; implicit-def: $sgpr30_sgpr31
                                        ; implicit-def: $sgpr34_sgpr35
                                        ; implicit-def: $sgpr36_sgpr37
	s_branch .LBB4_8287
.LBB4_8284:                             ;   in Loop: Header=BB4_8287 Depth=3
	s_waitcnt vmcnt(0) lgkmcnt(0)
	v_cmp_ge_u64_e64 s[26:27], v[48:49], v[0:1]
	s_or_b64 s[50:51], s[50:51], exec
	s_orn2_b64 s[48:49], s[26:27], exec
.LBB4_8285:                             ;   in Loop: Header=BB4_8287 Depth=3
	s_or_b64 exec, exec, s[54:55]
	s_andn2_b64 s[26:27], s[36:37], exec
	s_and_b64 s[36:37], s[50:51], exec
	s_or_b64 s[36:37], s[26:27], s[36:37]
	s_andn2_b64 s[26:27], s[34:35], exec
	s_and_b64 s[34:35], s[48:49], exec
	s_or_b64 s[34:35], s[26:27], s[34:35]
.LBB4_8286:                             ;   in Loop: Header=BB4_8287 Depth=3
	s_or_b64 exec, exec, s[38:39]
	s_and_b64 s[26:27], exec, s[34:35]
	s_or_b64 s[94:95], s[26:27], s[94:95]
	s_andn2_b64 s[26:27], s[30:31], exec
	s_and_b64 s[30:31], s[36:37], exec
	s_or_b64 s[30:31], s[26:27], s[30:31]
	s_andn2_b64 exec, exec, s[94:95]
	s_cbranch_execz .LBB4_8291
.LBB4_8287:                             ;   Parent Loop BB4_47 Depth=1
                                        ;     Parent Loop BB4_8281 Depth=2
                                        ; =>    This Inner Loop Header: Depth=3
	s_sleep 1
	s_waitcnt vmcnt(0) lgkmcnt(0)
	flat_load_dwordx2 v[48:49], v[32:33] glc
	s_or_b64 s[36:37], s[36:37], exec
	s_or_b64 s[34:35], s[34:35], exec
                                        ; implicit-def: $vgpr2
	s_and_saveexec_b64 s[38:39], vcc
	s_cbranch_execz .LBB4_8286
; %bb.8288:                             ;   in Loop: Header=BB4_8287 Depth=3
	s_cmpk_lt_i32 s8, 0x270f
	s_cselect_b64 s[52:53], -1, 0
	s_cmpk_gt_i32 s8, 0x270e
	s_mov_b64 s[48:49], -1
	s_cbranch_scc0 .LBB4_8290
; %bb.8289:                             ;   in Loop: Header=BB4_8287 Depth=3
	s_trap 2
	ds_read_b64 v[2:3], v0
	s_andn2_b64 s[52:53], s[52:53], exec
	s_mov_b32 s8, 0
	s_mov_b64 s[50:51], 0
	s_waitcnt vmcnt(0) lgkmcnt(0)
	flat_load_dword v2, v[2:3] glc
	s_waitcnt vmcnt(0) lgkmcnt(0)
	buffer_wbinvl1_vol
	v_cmp_eq_u32_e64 s[26:27], 0, v2
	s_and_b64 s[26:27], s[26:27], exec
	s_or_b64 s[52:53], s[52:53], s[26:27]
	s_and_saveexec_b64 s[54:55], s[52:53]
	s_cbranch_execz .LBB4_8285
	s_branch .LBB4_8284
.LBB4_8290:                             ;   in Loop: Header=BB4_8287 Depth=3
	s_add_i32 s8, s8, 1
	s_mov_b64 s[50:51], -1
                                        ; implicit-def: $vgpr2
	s_and_saveexec_b64 s[54:55], s[52:53]
	s_cbranch_execz .LBB4_8285
	s_branch .LBB4_8284
.LBB4_8291:                             ;   in Loop: Header=BB4_8281 Depth=2
	s_or_b64 exec, exec, s[94:95]
	s_xor_b64 s[8:9], s[30:31], -1
	s_and_saveexec_b64 s[26:27], s[8:9]
	s_xor_b64 s[26:27], exec, s[26:27]
	s_cbranch_execz .LBB4_8293
; %bb.8292:                             ;   in Loop: Header=BB4_8281 Depth=2
	v_or_b32_e32 v46, 64, v46
	s_waitcnt lgkmcnt(0)
	ds_write_b32 v0, v2
	s_trap 2
.LBB4_8293:                             ;   in Loop: Header=BB4_8281 Depth=2
	s_or_b64 exec, exec, s[26:27]
.LBB4_8294:                             ;   in Loop: Header=BB4_8281 Depth=2
	s_or_b64 exec, exec, s[92:93]
	v_and_b32_e32 v2, 0x100, v46
	;;#ASMSTART
	s_wakeup
	;;#ASMEND
	v_cmp_ne_u32_e32 vcc, 0, v2
	buffer_load_dword v2, off, s[0:3], s33 offset:56 ; 4-byte Folded Reload
	buffer_load_dword v3, off, s[0:3], s33 offset:60 ; 4-byte Folded Reload
	s_mov_b64 s[26:27], -1
	s_waitcnt vmcnt(0)
	v_and_b32_e32 v6, 7, v2
                                        ; implicit-def: $vgpr2_vgpr3
	s_and_saveexec_b64 s[92:93], vcc
	s_cbranch_execz .LBB4_8298
; %bb.8295:                             ;   in Loop: Header=BB4_8281 Depth=2
	buffer_load_dword v2, off, s[0:3], s33 offset:88 ; 4-byte Folded Reload
	buffer_load_dword v3, off, s[0:3], s33 offset:92 ; 4-byte Folded Reload
	;; [unrolled: 1-line block ×4, first 2 shown]
	s_waitcnt vmcnt(0)
	v_mad_u64_u32 v[4:5], s[8:9], v6, 24, v[2:3]
	flat_load_dword v2, v[4:5]
	s_waitcnt vmcnt(0) lgkmcnt(0)
	v_cmp_ne_u32_e32 vcc, 1, v2
	v_cmp_eq_u32_e64 s[26:27], 1, v2
                                        ; implicit-def: $vgpr2_vgpr3
	s_and_saveexec_b64 s[94:95], s[26:27]
	s_cbranch_execz .LBB4_8297
; %bb.8296:                             ;   in Loop: Header=BB4_8281 Depth=2
	flat_load_dword v2, v[4:5] offset:4 glc
	s_waitcnt vmcnt(0) lgkmcnt(0)
	v_ashrrev_i32_e32 v3, 31, v2
.LBB4_8297:                             ;   in Loop: Header=BB4_8281 Depth=2
	s_or_b64 exec, exec, s[94:95]
	s_orn2_b64 s[26:27], vcc, exec
.LBB4_8298:                             ;   in Loop: Header=BB4_8281 Depth=2
	s_or_b64 exec, exec, s[92:93]
	s_and_saveexec_b64 s[92:93], s[26:27]
	s_cbranch_execz .LBB4_8300
; %bb.8299:                             ;   in Loop: Header=BB4_8281 Depth=2
	buffer_load_dword v2, off, s[0:3], s33 offset:124 ; 4-byte Folded Reload
	s_waitcnt vmcnt(0)
	v_mad_i64_i32 v[2:3], s[8:9], v6, v2, 0
.LBB4_8300:                             ;   in Loop: Header=BB4_8281 Depth=2
	s_or_b64 exec, exec, s[92:93]
	buffer_load_dword v4, off, s[0:3], s33 offset:80 ; 4-byte Folded Reload
	buffer_load_dword v5, off, s[0:3], s33 offset:84 ; 4-byte Folded Reload
	s_waitcnt vmcnt(0)
	v_add_co_u32_e32 v2, vcc, v4, v2
	v_addc_co_u32_e32 v3, vcc, v5, v3, vcc
	ds_write_b64 v0, v[2:3] offset:720
	v_and_b32_e32 v2, 0x2000, v46
	v_cmp_ne_u32_e32 vcc, 0, v2
	s_and_saveexec_b64 s[26:27], vcc
	s_cbranch_execz .LBB4_8302
; %bb.8301:                             ;   in Loop: Header=BB4_8281 Depth=2
	ds_read_b64 v[2:3], v0 offset:872
	s_waitcnt lgkmcnt(0)
	v_add_co_u32_e32 v2, vcc, 1, v2
	v_addc_co_u32_e32 v3, vcc, 0, v3, vcc
	ds_write_b64 v0, v[2:3] offset:872
.LBB4_8302:                             ;   in Loop: Header=BB4_8281 Depth=2
	s_or_b64 exec, exec, s[26:27]
	buffer_store_dword v0, off, s[0:3], s33 offset:56 ; 4-byte Folded Spill
	s_nop 0
	buffer_store_dword v1, off, s[0:3], s33 offset:60 ; 4-byte Folded Spill
.LBB4_8303:                             ;   in Loop: Header=BB4_8281 Depth=2
	s_or_b64 exec, exec, s[90:91]
	s_xor_b64 s[8:9], s[42:43], -1
	s_and_b64 s[8:9], exec, s[8:9]
	s_or_b64 s[40:41], s[8:9], s[40:41]
	s_and_saveexec_b64 s[26:27], s[10:11]
	s_cbranch_execz .LBB4_8322
; %bb.8304:                             ;   in Loop: Header=BB4_8281 Depth=2
	s_and_saveexec_b64 s[8:9], s[58:59]
	s_xor_b64 s[42:43], exec, s[8:9]
	s_cbranch_execz .LBB4_8319
; %bb.8305:                             ;   in Loop: Header=BB4_8281 Depth=2
	s_and_saveexec_b64 s[90:91], s[16:17]
	s_cbranch_execz .LBB4_8318
; %bb.8306:                             ;   in Loop: Header=BB4_8281 Depth=2
	s_mov_b64 s[94:95], exec
	v_mbcnt_lo_u32_b32 v0, s94, 0
	v_mbcnt_hi_u32_b32 v0, s95, v0
	v_cmp_eq_u32_e32 vcc, 0, v0
	s_waitcnt vmcnt(0) lgkmcnt(0)
	buffer_wbinvl1_vol
	s_and_saveexec_b64 s[92:93], vcc
	s_cbranch_execz .LBB4_8308
; %bb.8307:                             ;   in Loop: Header=BB4_8281 Depth=2
	s_bcnt1_i32_b64 s8, s[94:95]
	v_mov_b32_e32 v0, s8
	v_mov_b32_e32 v1, v61
	ds_add_u64 v0, v[0:1]
	s_trap 2
.LBB4_8308:                             ;   in Loop: Header=BB4_8281 Depth=2
	s_or_b64 exec, exec, s[92:93]
	s_trap 2
	ds_read_b64 v[0:1], v0
	s_waitcnt lgkmcnt(0)
	v_add_co_u32_e32 v40, vcc, v40, v21
	v_addc_co_u32_e32 v41, vcc, 0, v41, vcc
	v_cmp_lt_u64_e32 vcc, v[0:1], v[40:41]
	s_and_saveexec_b64 s[92:93], vcc
	s_cbranch_execz .LBB4_8317
; %bb.8309:                             ;   in Loop: Header=BB4_8281 Depth=2
	s_mov_b32 s8, 0
	s_mov_b64 s[94:95], 0
                                        ; implicit-def: $sgpr30_sgpr31
                                        ; implicit-def: $sgpr34_sgpr35
	s_branch .LBB4_8311
.LBB4_8310:                             ;   in Loop: Header=BB4_8311 Depth=3
	s_or_b64 exec, exec, s[38:39]
	s_and_b64 vcc, exec, vcc
	s_or_b64 s[94:95], vcc, s[94:95]
	s_andn2_b64 vcc, s[30:31], exec
	s_and_b64 s[30:31], s[34:35], exec
	s_or_b64 s[30:31], vcc, s[30:31]
	s_andn2_b64 exec, exec, s[94:95]
	s_cbranch_execz .LBB4_8315
.LBB4_8311:                             ;   Parent Loop BB4_47 Depth=1
                                        ;     Parent Loop BB4_8281 Depth=2
                                        ; =>    This Inner Loop Header: Depth=3
	s_add_i32 s8, s8, 1
	s_cmpk_lg_i32 s8, 0x2710
	s_cselect_b64 s[36:37], -1, 0
	s_and_b64 vcc, exec, s[36:37]
	s_cbranch_vccz .LBB4_8313
; %bb.8312:                             ;   in Loop: Header=BB4_8311 Depth=3
	s_mov_b64 vcc, -1
	s_or_b64 s[34:35], s[34:35], exec
	s_and_saveexec_b64 s[38:39], s[36:37]
	s_cbranch_execz .LBB4_8310
	s_branch .LBB4_8314
.LBB4_8313:                             ;   in Loop: Header=BB4_8311 Depth=3
	s_trap 2
	ds_read_b64 v[0:1], v0
	s_andn2_b64 s[36:37], s[36:37], exec
	s_mov_b32 s8, 0
	s_waitcnt lgkmcnt(0)
	flat_load_dword v0, v[0:1] glc
	s_waitcnt vmcnt(0) lgkmcnt(0)
	buffer_wbinvl1_vol
	v_cmp_eq_u32_e32 vcc, 0, v0
	s_and_b64 vcc, vcc, exec
	s_or_b64 s[36:37], s[36:37], vcc
	s_mov_b64 vcc, -1
	s_or_b64 s[34:35], s[34:35], exec
	s_and_saveexec_b64 s[38:39], s[36:37]
	s_cbranch_execz .LBB4_8310
.LBB4_8314:                             ;   in Loop: Header=BB4_8311 Depth=3
	s_sleep 1
	s_trap 2
	ds_read_b64 v[0:1], v0
	s_waitcnt lgkmcnt(0)
	s_andn2_b64 s[34:35], s[34:35], exec
	v_cmp_ge_u64_e32 vcc, v[0:1], v[40:41]
	s_orn2_b64 vcc, vcc, exec
	s_branch .LBB4_8310
.LBB4_8315:                             ;   in Loop: Header=BB4_8281 Depth=2
	s_or_b64 exec, exec, s[94:95]
	s_and_saveexec_b64 s[8:9], s[30:31]
	s_xor_b64 s[8:9], exec, s[8:9]
	s_cbranch_execz .LBB4_8317
; %bb.8316:                             ;   in Loop: Header=BB4_8281 Depth=2
	v_mov_b32_e32 v0, 1
	ds_write_b32 v0, v0
	s_trap 2
.LBB4_8317:                             ;   in Loop: Header=BB4_8281 Depth=2
	s_or_b64 exec, exec, s[92:93]
	;;#ASMSTART
	s_wakeup
	;;#ASMEND
.LBB4_8318:                             ;   in Loop: Header=BB4_8281 Depth=2
	s_or_b64 exec, exec, s[90:91]
.LBB4_8319:                             ;   in Loop: Header=BB4_8281 Depth=2
	s_andn2_saveexec_b64 s[42:43], s[42:43]
	s_cbranch_execz .LBB4_8321
; %bb.8320:                             ;   in Loop: Header=BB4_8281 Depth=2
	s_waitcnt vmcnt(0) lgkmcnt(0)
	buffer_wbinvl1_vol
	s_barrier
.LBB4_8321:                             ;   in Loop: Header=BB4_8281 Depth=2
	s_or_b64 exec, exec, s[42:43]
.LBB4_8322:                             ;   in Loop: Header=BB4_8281 Depth=2
	s_or_b64 exec, exec, s[26:27]
	v_sub_u32_e32 v0, v8, v10
	v_min_i32_e32 v9, v9, v0
	s_and_saveexec_b64 s[8:9], s[24:25]
	s_xor_b64 s[26:27], exec, s[8:9]
	s_cbranch_execz .LBB4_8326
; %bb.8323:                             ;   in Loop: Header=BB4_8281 Depth=2
	s_trap 2
	ds_read_b32 v0, v0
	v_cmp_lt_i32_e32 vcc, 0, v9
	s_waitcnt lgkmcnt(0)
	v_readfirstlane_b32 s8, v0
	s_cmp_eq_u32 s8, 0
	s_cselect_b64 s[8:9], -1, 0
	v_and_b32_e32 v0, 16, v46
	s_and_b64 s[8:9], vcc, s[8:9]
	v_cmp_ne_u32_e32 vcc, 0, v0
	s_and_b64 s[8:9], vcc, s[8:9]
	s_and_saveexec_b64 s[42:43], s[8:9]
	s_cbranch_execz .LBB4_8325
; %bb.8324:                             ;   in Loop: Header=BB4_8281 Depth=2
	s_waitcnt vmcnt(0)
	buffer_wbinvl1_vol
.LBB4_8325:                             ;   in Loop: Header=BB4_8281 Depth=2
	s_or_b64 exec, exec, s[42:43]
.LBB4_8326:                             ;   in Loop: Header=BB4_8281 Depth=2
	s_andn2_saveexec_b64 s[26:27], s[26:27]
	s_cbranch_execz .LBB4_8345
; %bb.8327:                             ;   in Loop: Header=BB4_8281 Depth=2
	s_and_saveexec_b64 s[8:9], s[58:59]
	s_xor_b64 s[42:43], exec, s[8:9]
	s_cbranch_execz .LBB4_8342
; %bb.8328:                             ;   in Loop: Header=BB4_8281 Depth=2
	s_and_saveexec_b64 s[90:91], s[16:17]
	s_cbranch_execz .LBB4_8341
; %bb.8329:                             ;   in Loop: Header=BB4_8281 Depth=2
	s_mov_b64 s[94:95], exec
	v_mbcnt_lo_u32_b32 v0, s94, 0
	v_mbcnt_hi_u32_b32 v0, s95, v0
	v_cmp_eq_u32_e32 vcc, 0, v0
	;;#ASMSTART
	s_waitcnt lgkmcnt(0) vmcnt(0)
	;;#ASMEND
	s_and_saveexec_b64 s[92:93], vcc
	s_cbranch_execz .LBB4_8331
; %bb.8330:                             ;   in Loop: Header=BB4_8281 Depth=2
	s_bcnt1_i32_b64 s8, s[94:95]
	v_mov_b32_e32 v0, s8
	v_mov_b32_e32 v1, v61
	s_waitcnt lgkmcnt(0)
	ds_add_u64 v0, v[0:1]
	s_trap 2
.LBB4_8331:                             ;   in Loop: Header=BB4_8281 Depth=2
	s_or_b64 exec, exec, s[92:93]
	s_trap 2
	ds_read_b64 v[0:1], v0
	s_waitcnt lgkmcnt(0)
	v_add_co_u32_e32 v40, vcc, v40, v21
	v_addc_co_u32_e32 v41, vcc, 0, v41, vcc
	v_cmp_lt_u64_e32 vcc, v[0:1], v[40:41]
	s_and_saveexec_b64 s[92:93], vcc
	s_cbranch_execz .LBB4_8340
; %bb.8332:                             ;   in Loop: Header=BB4_8281 Depth=2
	s_mov_b32 s8, 0
	s_mov_b64 s[94:95], 0
                                        ; implicit-def: $sgpr30_sgpr31
                                        ; implicit-def: $sgpr34_sgpr35
	s_branch .LBB4_8334
.LBB4_8333:                             ;   in Loop: Header=BB4_8334 Depth=3
	s_or_b64 exec, exec, s[38:39]
	s_and_b64 vcc, exec, vcc
	s_or_b64 s[94:95], vcc, s[94:95]
	s_andn2_b64 vcc, s[30:31], exec
	s_and_b64 s[30:31], s[34:35], exec
	s_or_b64 s[30:31], vcc, s[30:31]
	s_andn2_b64 exec, exec, s[94:95]
	s_cbranch_execz .LBB4_8338
.LBB4_8334:                             ;   Parent Loop BB4_47 Depth=1
                                        ;     Parent Loop BB4_8281 Depth=2
                                        ; =>    This Inner Loop Header: Depth=3
	s_add_i32 s8, s8, 1
	s_cmpk_lg_i32 s8, 0x2710
	s_cselect_b64 s[36:37], -1, 0
	s_and_b64 vcc, exec, s[36:37]
	s_cbranch_vccz .LBB4_8336
; %bb.8335:                             ;   in Loop: Header=BB4_8334 Depth=3
	s_mov_b64 vcc, -1
	s_or_b64 s[34:35], s[34:35], exec
	s_and_saveexec_b64 s[38:39], s[36:37]
	s_cbranch_execz .LBB4_8333
	s_branch .LBB4_8337
.LBB4_8336:                             ;   in Loop: Header=BB4_8334 Depth=3
	s_trap 2
	ds_read_b64 v[0:1], v0
	s_andn2_b64 s[36:37], s[36:37], exec
	s_mov_b32 s8, 0
	s_waitcnt vmcnt(0) lgkmcnt(0)
	flat_load_dword v0, v[0:1] glc
	s_waitcnt vmcnt(0) lgkmcnt(0)
	buffer_wbinvl1_vol
	v_cmp_eq_u32_e32 vcc, 0, v0
	s_and_b64 vcc, vcc, exec
	s_or_b64 s[36:37], s[36:37], vcc
	s_mov_b64 vcc, -1
	s_or_b64 s[34:35], s[34:35], exec
	s_and_saveexec_b64 s[38:39], s[36:37]
	s_cbranch_execz .LBB4_8333
.LBB4_8337:                             ;   in Loop: Header=BB4_8334 Depth=3
	s_sleep 1
	s_trap 2
	ds_read_b64 v[0:1], v0
	s_waitcnt lgkmcnt(0)
	s_andn2_b64 s[34:35], s[34:35], exec
	v_cmp_ge_u64_e32 vcc, v[0:1], v[40:41]
	s_orn2_b64 vcc, vcc, exec
	s_branch .LBB4_8333
.LBB4_8338:                             ;   in Loop: Header=BB4_8281 Depth=2
	s_or_b64 exec, exec, s[94:95]
	s_and_saveexec_b64 s[8:9], s[30:31]
	s_xor_b64 s[8:9], exec, s[8:9]
	s_cbranch_execz .LBB4_8340
; %bb.8339:                             ;   in Loop: Header=BB4_8281 Depth=2
	v_mov_b32_e32 v0, 1
	ds_write_b32 v0, v0
	s_trap 2
.LBB4_8340:                             ;   in Loop: Header=BB4_8281 Depth=2
	s_or_b64 exec, exec, s[92:93]
	;;#ASMSTART
	s_wakeup
	;;#ASMEND
.LBB4_8341:                             ;   in Loop: Header=BB4_8281 Depth=2
	s_or_b64 exec, exec, s[90:91]
.LBB4_8342:                             ;   in Loop: Header=BB4_8281 Depth=2
	s_andn2_saveexec_b64 s[42:43], s[42:43]
	s_cbranch_execz .LBB4_8344
; %bb.8343:                             ;   in Loop: Header=BB4_8281 Depth=2
	;;#ASMSTART
	s_waitcnt lgkmcnt(0) vmcnt(0)
	;;#ASMEND
	s_waitcnt vmcnt(0) lgkmcnt(0)
	s_barrier
.LBB4_8344:                             ;   in Loop: Header=BB4_8281 Depth=2
	s_or_b64 exec, exec, s[42:43]
.LBB4_8345:                             ;   in Loop: Header=BB4_8281 Depth=2
	s_or_b64 exec, exec, s[26:27]
	v_and_b32_e32 v0, 32, v46
	v_cmp_ne_u32_e32 vcc, 0, v0
	s_and_saveexec_b64 s[26:27], vcc
	s_cbranch_execz .LBB4_8280
; %bb.8346:                             ;   in Loop: Header=BB4_8281 Depth=2
	buffer_load_dword v0, off, s[0:3], s33 offset:56 ; 4-byte Folded Reload
	buffer_load_dword v1, off, s[0:3], s33 offset:60 ; 4-byte Folded Reload
	s_waitcnt vmcnt(0)
	v_add_co_u32_e32 v0, vcc, 2, v0
	v_addc_co_u32_e32 v1, vcc, 0, v1, vcc
	buffer_store_dword v0, off, s[0:3], s33 offset:56 ; 4-byte Folded Spill
	s_nop 0
	buffer_store_dword v1, off, s[0:3], s33 offset:60 ; 4-byte Folded Spill
	flat_store_dwordx2 v[32:33], v[0:1]
	s_branch .LBB4_8280
.LBB4_8347:
	s_or_b64 exec, exec, s[60:61]
	buffer_load_dword v1, off, s[0:3], s33 offset:336 ; 4-byte Folded Reload
	buffer_load_dword v31, off, s[0:3], s33 offset:340 ; 4-byte Folded Reload
	;; [unrolled: 1-line block ×3, first 2 shown]
	v_readlane_b32 s28, v62, 4
	v_readlane_b32 s29, v62, 5
.LBB4_8348:
	v_readlane_b32 s4, v62, 2
	v_readlane_b32 s5, v62, 3
	s_or_b64 exec, exec, s[4:5]
	v_and_b32_e32 v0, 0x800, v46
	v_cmp_eq_u32_e32 vcc, 0, v0
	s_and_saveexec_b64 s[6:7], vcc
	s_cbranch_execz .LBB4_8381
; %bb.8349:
	v_and_b32_e32 v0, 48, v46
	v_cmp_ne_u32_e32 vcc, 0, v0
	s_and_saveexec_b64 s[4:5], vcc
	s_cbranch_execz .LBB4_8351
; %bb.8350:
	buffer_load_dword v2, off, s[0:3], s33 offset:328 ; 4-byte Folded Reload
	buffer_load_dword v3, off, s[0:3], s33 offset:332 ; 4-byte Folded Reload
	;; [unrolled: 1-line block ×4, first 2 shown]
	s_waitcnt vmcnt(0)
	flat_store_dwordx2 v[2:3], v[4:5] offset:104
.LBB4_8351:
	s_or_b64 exec, exec, s[4:5]
	s_movk_i32 s4, 0x88
	v_and_b32_e32 v0, 0x88, v46
	v_cmp_eq_u32_e32 vcc, s4, v0
	s_and_saveexec_b64 s[10:11], vcc
	s_cbranch_execz .LBB4_8361
; %bb.8352:
	buffer_load_dword v2, off, s[0:3], s33 offset:56 ; 4-byte Folded Reload
	buffer_load_dword v3, off, s[0:3], s33 offset:60 ; 4-byte Folded Reload
	s_mov_b32 s8, 0
	s_waitcnt vmcnt(0)
	v_add_u32_e32 v0, 6, v2
	buffer_load_dword v2, off, s[0:3], s33 offset:88 ; 4-byte Folded Reload
	buffer_load_dword v3, off, s[0:3], s33 offset:92 ; 4-byte Folded Reload
	;; [unrolled: 1-line block ×4, first 2 shown]
	v_and_b32_e32 v0, 7, v0
	s_waitcnt vmcnt(0)
	v_and_b32_e32 v4, 64, v46
	v_mad_u64_u32 v[5:6], s[4:5], v0, 24, v[2:3]
	v_cmp_eq_u32_e64 s[4:5], 0, v4
	flat_load_dwordx2 v[2:3], v[5:6] offset:8 glc
	s_waitcnt vmcnt(0) lgkmcnt(0)
	v_cmp_ne_u64_e32 vcc, -1, v[2:3]
	s_and_b64 s[4:5], vcc, s[4:5]
	s_and_b64 exec, exec, s[4:5]
	s_cbranch_execz .LBB4_8361
; %bb.8353:
	s_mov_b64 s[4:5], 0
                                        ; implicit-def: $sgpr12_sgpr13
                                        ; implicit-def: $sgpr14_sgpr15
	s_branch .LBB4_8356
.LBB4_8354:                             ;   in Loop: Header=BB4_8356 Depth=1
	flat_load_dwordx2 v[3:4], v[5:6] offset:8 glc
	s_waitcnt vmcnt(0)
	s_andn2_b64 s[14:15], s[14:15], exec
	s_waitcnt lgkmcnt(0)
	v_cmp_eq_u64_e32 vcc, -1, v[3:4]
	s_orn2_b64 s[18:19], vcc, exec
.LBB4_8355:                             ;   in Loop: Header=BB4_8356 Depth=1
	s_or_b64 exec, exec, s[20:21]
	s_and_b64 s[16:17], exec, s[18:19]
	s_or_b64 s[4:5], s[16:17], s[4:5]
	s_andn2_b64 s[12:13], s[12:13], exec
	s_and_b64 s[16:17], s[14:15], exec
	s_or_b64 s[12:13], s[12:13], s[16:17]
	s_andn2_b64 exec, exec, s[4:5]
	s_cbranch_execz .LBB4_8359
.LBB4_8356:                             ; =>This Inner Loop Header: Depth=1
	s_cmpk_lt_i32 s8, 0x270f
	s_cselect_b64 s[16:17], -1, 0
	s_and_b64 vcc, exec, s[16:17]
	s_cbranch_vccnz .LBB4_8358
; %bb.8357:                             ;   in Loop: Header=BB4_8356 Depth=1
	s_trap 2
	ds_read_b64 v[2:3], v0
	s_andn2_b64 s[16:17], s[16:17], exec
	s_mov_b32 s8, 0
	s_waitcnt lgkmcnt(0)
	flat_load_dword v2, v[2:3] glc
	s_waitcnt vmcnt(0) lgkmcnt(0)
	buffer_wbinvl1_vol
	v_cmp_eq_u32_e32 vcc, 0, v2
	s_and_b64 s[18:19], vcc, exec
	s_or_b64 s[16:17], s[16:17], s[18:19]
	s_mov_b64 s[18:19], -1
	s_or_b64 s[14:15], s[14:15], exec
	s_and_saveexec_b64 s[20:21], s[16:17]
	s_cbranch_execz .LBB4_8355
	s_branch .LBB4_8354
.LBB4_8358:                             ;   in Loop: Header=BB4_8356 Depth=1
	s_add_i32 s8, s8, 1
                                        ; implicit-def: $vgpr2
	s_mov_b64 s[18:19], -1
	s_or_b64 s[14:15], s[14:15], exec
	s_and_saveexec_b64 s[20:21], s[16:17]
	s_cbranch_execz .LBB4_8355
	s_branch .LBB4_8354
.LBB4_8359:
	s_or_b64 exec, exec, s[4:5]
	s_and_saveexec_b64 s[4:5], s[12:13]
	s_xor_b64 s[4:5], exec, s[4:5]
	s_cbranch_execz .LBB4_8361
; %bb.8360:
	ds_write_b32 v0, v2
	s_trap 2
.LBB4_8361:
	s_or_b64 exec, exec, s[10:11]
	v_and_b32_e32 v0, 0x2000, v46
	v_cmp_ne_u32_e32 vcc, 0, v0
	s_and_saveexec_b64 s[4:5], vcc
	s_cbranch_execz .LBB4_8363
; %bb.8362:
	s_trap 2
	ds_read_b64 v[2:3], v0
	buffer_load_dword v4, off, s[0:3], s33 offset:348 ; 4-byte Folded Reload
	buffer_load_dword v5, off, s[0:3], s33 offset:352 ; 4-byte Folded Reload
	s_waitcnt vmcnt(0) lgkmcnt(0)
	flat_store_dwordx2 v[4:5], v[2:3] offset:16
.LBB4_8363:
	s_or_b64 exec, exec, s[4:5]
	s_waitcnt vmcnt(0)
	v_cmp_ne_u32_e32 vcc, 64, v1
	s_and_b64 exec, exec, vcc
	s_cbranch_execz .LBB4_8381
; %bb.8364:
	v_cmp_ne_u32_sdwa s[4:5], v1, v19 src0_sel:DWORD src1_sel:WORD_0
	s_and_saveexec_b64 s[8:9], s[4:5]
	s_xor_b64 s[4:5], exec, s[8:9]
	s_cbranch_execz .LBB4_8379
; %bb.8365:
	v_and_b32_e32 v0, 63, v31
	v_cmp_eq_u32_e32 vcc, 0, v0
	s_and_saveexec_b64 s[10:11], vcc
	s_cbranch_execz .LBB4_8378
; %bb.8366:
	s_mov_b64 s[14:15], exec
	v_mbcnt_lo_u32_b32 v0, s14, 0
	v_mbcnt_hi_u32_b32 v0, s15, v0
	v_cmp_eq_u32_e32 vcc, 0, v0
	s_waitcnt lgkmcnt(0)
	buffer_wbinvl1_vol
	s_and_saveexec_b64 s[12:13], vcc
	s_cbranch_execz .LBB4_8368
; %bb.8367:
	s_bcnt1_i32_b64 s8, s[14:15]
	v_mov_b32_e32 v2, s8
	v_mov_b32_e32 v3, 0
	ds_add_u64 v0, v[2:3]
	s_trap 2
.LBB4_8368:
	s_or_b64 exec, exec, s[12:13]
	v_lshrrev_b32_e32 v0, 6, v1
	s_trap 2
	ds_read_b64 v[2:3], v0
	s_waitcnt lgkmcnt(0)
	v_add_co_u32_e32 v0, vcc, v40, v0
	v_addc_co_u32_e32 v1, vcc, 0, v41, vcc
	v_cmp_lt_u64_e32 vcc, v[2:3], v[0:1]
	s_and_saveexec_b64 s[12:13], vcc
	s_cbranch_execz .LBB4_8377
; %bb.8369:
	s_mov_b32 s8, 0
	s_mov_b64 s[14:15], 0
                                        ; implicit-def: $sgpr16_sgpr17
                                        ; implicit-def: $sgpr18_sgpr19
	s_branch .LBB4_8371
.LBB4_8370:                             ;   in Loop: Header=BB4_8371 Depth=1
	s_or_b64 exec, exec, s[22:23]
	s_and_b64 s[20:21], exec, s[24:25]
	s_or_b64 s[14:15], s[20:21], s[14:15]
	s_andn2_b64 s[16:17], s[16:17], exec
	s_and_b64 s[20:21], s[18:19], exec
	s_or_b64 s[16:17], s[16:17], s[20:21]
	s_andn2_b64 exec, exec, s[14:15]
	s_cbranch_execz .LBB4_8375
.LBB4_8371:                             ; =>This Inner Loop Header: Depth=1
	s_add_i32 s8, s8, 1
	s_cmpk_lg_i32 s8, 0x2710
	s_cselect_b64 s[20:21], -1, 0
	s_and_b64 vcc, exec, s[20:21]
	s_cbranch_vccz .LBB4_8373
; %bb.8372:                             ;   in Loop: Header=BB4_8371 Depth=1
	s_mov_b64 s[24:25], -1
	s_or_b64 s[18:19], s[18:19], exec
	s_and_saveexec_b64 s[22:23], s[20:21]
	s_cbranch_execz .LBB4_8370
	s_branch .LBB4_8374
.LBB4_8373:                             ;   in Loop: Header=BB4_8371 Depth=1
	s_trap 2
	ds_read_b64 v[2:3], v0
	s_andn2_b64 s[20:21], s[20:21], exec
	s_mov_b32 s8, 0
	s_waitcnt lgkmcnt(0)
	flat_load_dword v2, v[2:3] glc
	s_waitcnt vmcnt(0) lgkmcnt(0)
	buffer_wbinvl1_vol
	v_cmp_eq_u32_e32 vcc, 0, v2
	s_and_b64 s[22:23], vcc, exec
	s_or_b64 s[20:21], s[20:21], s[22:23]
	s_mov_b64 s[24:25], -1
	s_or_b64 s[18:19], s[18:19], exec
	s_and_saveexec_b64 s[22:23], s[20:21]
	s_cbranch_execz .LBB4_8370
.LBB4_8374:                             ;   in Loop: Header=BB4_8371 Depth=1
	s_sleep 1
	s_trap 2
	ds_read_b64 v[2:3], v0
	s_waitcnt lgkmcnt(0)
	s_andn2_b64 s[18:19], s[18:19], exec
	v_cmp_ge_u64_e32 vcc, v[2:3], v[0:1]
	s_orn2_b64 s[24:25], vcc, exec
	s_branch .LBB4_8370
.LBB4_8375:
	s_or_b64 exec, exec, s[14:15]
	s_and_saveexec_b64 s[8:9], s[16:17]
	s_xor_b64 s[8:9], exec, s[8:9]
	s_cbranch_execz .LBB4_8377
; %bb.8376:
	v_mov_b32_e32 v0, 1
	ds_write_b32 v0, v0
	s_trap 2
.LBB4_8377:
	s_or_b64 exec, exec, s[12:13]
	;;#ASMSTART
	s_wakeup
	;;#ASMEND
.LBB4_8378:
	s_or_b64 exec, exec, s[10:11]
.LBB4_8379:
	s_andn2_saveexec_b64 s[4:5], s[4:5]
	s_cbranch_execz .LBB4_8381
; %bb.8380:
	s_waitcnt lgkmcnt(0)
	buffer_wbinvl1_vol
	s_barrier
.LBB4_8381:
	s_or_b64 exec, exec, s[6:7]
.LBB4_8382:
	v_readlane_b32 s4, v62, 0
	v_readlane_b32 s5, v62, 1
	s_andn2_saveexec_b64 s[26:27], s[4:5]
	s_cbranch_execz .LBB4_8384
; %bb.8383:
	s_getpc_b64 s[4:5]
	s_add_u32 s4, s4, __PRETTY_FUNCTION__._ZN10PrimitivesI14__hip_fp8_e5m28FuncProdIS0_E12FanSymmetricILi1EELi0E11ProtoSimpleILi2ELi2ELi0ELi2ELi0ELi0EELi0ELb0ELi0ELi0ELi0EEC2EiiPKiS9_PKvPvmhhhP15ncclDevWorkCollP14ncclDevWorkP2pii@rel32@lo+4
	s_addc_u32 s5, s5, __PRETTY_FUNCTION__._ZN10PrimitivesI14__hip_fp8_e5m28FuncProdIS0_E12FanSymmetricILi1EELi0E11ProtoSimpleILi2ELi2ELi0ELi2ELi0ELi0EELi0ELb0ELi0ELi0ELi0EEC2EiiPKiS9_PKvPvmhhhP15ncclDevWorkCollP14ncclDevWorkP2pii@rel32@hi+12
	s_getpc_b64 s[6:7]
	s_add_u32 s6, s6, __assert_fail@rel32@lo+4
	s_addc_u32 s7, s7, __assert_fail@rel32@hi+12
	s_mov_b64 s[8:9], s[28:29]
	v_mov_b32_e32 v0, s4
	s_waitcnt vmcnt(0)
	v_mov_b32_e32 v1, s5
	s_swappc_b64 s[30:31], s[6:7]
	; divergent unreachable
.LBB4_8384:
	s_or_b64 exec, exec, s[26:27]
	buffer_load_dword v61, off, s[0:3], s33 ; 4-byte Folded Reload
	buffer_load_dword v60, off, s[0:3], s33 offset:4 ; 4-byte Folded Reload
	buffer_load_dword v59, off, s[0:3], s33 offset:8 ; 4-byte Folded Reload
	;; [unrolled: 1-line block ×13, first 2 shown]
	v_readlane_b32 s30, v63, 32
	v_readlane_b32 s31, v63, 33
	;; [unrolled: 1-line block ×34, first 2 shown]
	s_mov_b32 s32, s33
	v_readlane_b32 s4, v63, 34
	s_or_saveexec_b64 s[6:7], -1
	buffer_load_dword v63, off, s[0:3], s33 offset:356 ; 4-byte Folded Reload
	buffer_load_dword v62, off, s[0:3], s33 offset:360 ; 4-byte Folded Reload
	s_mov_b64 exec, s[6:7]
	s_mov_b32 s33, s4
	s_waitcnt vmcnt(0) lgkmcnt(0)
	s_setpc_b64 s[30:31]
.Lfunc_end4:
	.size	_ZN12_GLOBAL__N_17runRingI14__hip_fp8_e5m28FuncProdIS1_E11ProtoSimpleILi2ELi2ELi0ELi2ELi0ELi0EELi0ELi0ELi2ELi0EEEviiP15ncclDevWorkColl, .Lfunc_end4-_ZN12_GLOBAL__N_17runRingI14__hip_fp8_e5m28FuncProdIS1_E11ProtoSimpleILi2ELi2ELi0ELi2ELi0ELi0EELi0ELi0ELi2ELi0EEEviiP15ncclDevWorkColl
                                        ; -- End function
	.set .L_ZN12_GLOBAL__N_17runRingI14__hip_fp8_e5m28FuncProdIS1_E11ProtoSimpleILi2ELi2ELi0ELi2ELi0ELi0EELi0ELi0ELi2ELi0EEEviiP15ncclDevWorkColl.num_vgpr, max(64, .L__assert_fail.num_vgpr)
	.set .L_ZN12_GLOBAL__N_17runRingI14__hip_fp8_e5m28FuncProdIS1_E11ProtoSimpleILi2ELi2ELi0ELi2ELi0ELi0EELi0ELi0ELi2ELi0EEEviiP15ncclDevWorkColl.num_agpr, max(0, .L__assert_fail.num_agpr)
	.set .L_ZN12_GLOBAL__N_17runRingI14__hip_fp8_e5m28FuncProdIS1_E11ProtoSimpleILi2ELi2ELi0ELi2ELi0ELi0EELi0ELi0ELi2ELi0EEEviiP15ncclDevWorkColl.numbered_sgpr, max(100, .L__assert_fail.numbered_sgpr)
	.set .L_ZN12_GLOBAL__N_17runRingI14__hip_fp8_e5m28FuncProdIS1_E11ProtoSimpleILi2ELi2ELi0ELi2ELi0ELi0EELi0ELi0ELi2ELi0EEEviiP15ncclDevWorkColl.num_named_barrier, max(0, .L__assert_fail.num_named_barrier)
	.set .L_ZN12_GLOBAL__N_17runRingI14__hip_fp8_e5m28FuncProdIS1_E11ProtoSimpleILi2ELi2ELi0ELi2ELi0ELi0EELi0ELi0ELi2ELi0EEEviiP15ncclDevWorkColl.private_seg_size, 368+max(.L__assert_fail.private_seg_size)
	.set .L_ZN12_GLOBAL__N_17runRingI14__hip_fp8_e5m28FuncProdIS1_E11ProtoSimpleILi2ELi2ELi0ELi2ELi0ELi0EELi0ELi0ELi2ELi0EEEviiP15ncclDevWorkColl.uses_vcc, or(1, .L__assert_fail.uses_vcc)
	.set .L_ZN12_GLOBAL__N_17runRingI14__hip_fp8_e5m28FuncProdIS1_E11ProtoSimpleILi2ELi2ELi0ELi2ELi0ELi0EELi0ELi0ELi2ELi0EEEviiP15ncclDevWorkColl.uses_flat_scratch, or(0, .L__assert_fail.uses_flat_scratch)
	.set .L_ZN12_GLOBAL__N_17runRingI14__hip_fp8_e5m28FuncProdIS1_E11ProtoSimpleILi2ELi2ELi0ELi2ELi0ELi0EELi0ELi0ELi2ELi0EEEviiP15ncclDevWorkColl.has_dyn_sized_stack, or(0, .L__assert_fail.has_dyn_sized_stack)
	.set .L_ZN12_GLOBAL__N_17runRingI14__hip_fp8_e5m28FuncProdIS1_E11ProtoSimpleILi2ELi2ELi0ELi2ELi0ELi0EELi0ELi0ELi2ELi0EEEviiP15ncclDevWorkColl.has_recursion, or(1, .L__assert_fail.has_recursion)
	.set .L_ZN12_GLOBAL__N_17runRingI14__hip_fp8_e5m28FuncProdIS1_E11ProtoSimpleILi2ELi2ELi0ELi2ELi0ELi0EELi0ELi0ELi2ELi0EEEviiP15ncclDevWorkColl.has_indirect_call, or(0, .L__assert_fail.has_indirect_call)
	.section	.AMDGPU.csdata,"",@progbits
; Function info:
; codeLenInByte = 233008
; TotalNumSgprs: 104
; NumVgprs: 64
; ScratchSize: 432
; MemoryBound: 1
	.text
	.p2align	2                               ; -- Begin function _Z51ncclDevFunc_AllReduce_RING_SIMPLE_Prod_f8e5m2_0_0_2v
	.type	_Z51ncclDevFunc_AllReduce_RING_SIMPLE_Prod_f8e5m2_0_0_2v,@function
_Z51ncclDevFunc_AllReduce_RING_SIMPLE_Prod_f8e5m2_0_0_2v: ; @_Z51ncclDevFunc_AllReduce_RING_SIMPLE_Prod_f8e5m2_0_0_2v
; %bb.0:
	s_waitcnt vmcnt(0) expcnt(0) lgkmcnt(0)
	s_mov_b32 s4, s33
	s_mov_b32 s33, s32
	s_or_saveexec_b64 s[6:7], -1
	buffer_store_dword v43, off, s[0:3], s33 offset:20 ; 4-byte Folded Spill
	buffer_store_dword v44, off, s[0:3], s33 offset:24 ; 4-byte Folded Spill
	s_mov_b64 exec, s[6:7]
	v_writelane_b32 v44, s4, 38
	v_writelane_b32 v44, s100, 36
	;; [unrolled: 1-line block ×3, first 2 shown]
	s_addk_i32 s32, 0x800
	buffer_store_dword v40, off, s[0:3], s33 offset:12 ; 4-byte Folded Spill
	buffer_store_dword v41, off, s[0:3], s33 offset:8 ; 4-byte Folded Spill
	;; [unrolled: 1-line block ×3, first 2 shown]
	buffer_store_dword v62, off, s[0:3], s33 ; 4-byte Folded Spill
	v_writelane_b32 v44, s34, 0
	v_writelane_b32 v44, s35, 1
	v_writelane_b32 v44, s36, 2
	v_writelane_b32 v44, s37, 3
	v_writelane_b32 v44, s38, 4
	v_writelane_b32 v44, s39, 5
	v_writelane_b32 v44, s48, 6
	v_writelane_b32 v44, s49, 7
	v_writelane_b32 v44, s50, 8
	v_writelane_b32 v44, s51, 9
	v_writelane_b32 v44, s52, 10
	v_writelane_b32 v44, s53, 11
	v_writelane_b32 v44, s54, 12
	v_writelane_b32 v44, s55, 13
	v_writelane_b32 v44, s64, 14
	v_writelane_b32 v44, s65, 15
	v_writelane_b32 v44, s66, 16
	v_writelane_b32 v44, s67, 17
	v_writelane_b32 v44, s68, 18
	v_writelane_b32 v44, s69, 19
	v_writelane_b32 v44, s70, 20
	v_writelane_b32 v44, s71, 21
	v_writelane_b32 v44, s80, 22
	v_writelane_b32 v44, s81, 23
	v_writelane_b32 v44, s82, 24
	v_writelane_b32 v44, s83, 25
	v_writelane_b32 v44, s84, 26
	v_writelane_b32 v44, s85, 27
	v_writelane_b32 v44, s86, 28
	v_writelane_b32 v44, s87, 29
	v_writelane_b32 v44, s96, 30
	v_writelane_b32 v44, s97, 31
	v_writelane_b32 v44, s98, 32
	v_writelane_b32 v44, s99, 33
	v_writelane_b32 v44, s30, 34
	v_writelane_b32 v44, s31, 35
	s_trap 2
	ds_read_b32 v0, v0
                                        ; implicit-def: $vgpr43 : SGPR spill to VGPR lane
	v_mov_b32_e32 v40, v31
	v_writelane_b32 v43, s12, 0
	v_writelane_b32 v43, s8, 1
	;; [unrolled: 1-line block ×3, first 2 shown]
	s_waitcnt lgkmcnt(0)
	v_cmp_gt_i32_e32 vcc, 1, v0
	s_cbranch_vccnz .LBB5_8
; %bb.1:
	s_mov_b32 s6, 0
	v_and_b32_e32 v41, 0x3ff, v40
	v_mov_b32_e32 v42, 6
	s_branch .LBB5_3
.LBB5_2:                                ;   in Loop: Header=BB5_3 Depth=1
	s_or_b64 exec, exec, s[8:9]
	s_trap 2
	ds_read_b32 v0, v0
	s_add_i32 s6, s6, 1
	s_waitcnt lgkmcnt(0)
	v_cmp_lt_i32_e32 vcc, s6, v0
	s_cbranch_vccz .LBB5_8
.LBB5_3:                                ; =>This Inner Loop Header: Depth=1
	s_trap 2
	ds_read_b32 v0, v0
	s_cmp_eq_u32 s6, 0
	s_cbranch_scc1 .LBB5_6
; %bb.4:                                ;   in Loop: Header=BB5_3 Depth=1
	s_trap 2
	s_waitcnt lgkmcnt(0)
	ds_read_b32 v1, v0
	s_waitcnt lgkmcnt(0)
	v_xor_b32_e32 v1, v1, v0
	v_and_b32_e32 v1, 0xff0000, v1
	v_cmp_eq_u32_e32 vcc, 0, v1
	s_cbranch_vccnz .LBB5_6
; %bb.5:                                ;   in Loop: Header=BB5_3 Depth=1
	s_waitcnt vmcnt(0)
	s_barrier
	ds_read_b32 v0, v0
.LBB5_6:                                ;   in Loop: Header=BB5_3 Depth=1
	s_waitcnt lgkmcnt(0)
	v_lshlrev_b32_sdwa v1, v42, v0 dst_sel:DWORD dst_unused:UNUSED_PAD src0_sel:DWORD src1_sel:BYTE_2
	v_cmp_lt_u32_e32 vcc, v41, v1
	s_and_saveexec_b64 s[8:9], vcc
	s_cbranch_execz .LBB5_2
; %bb.7:                                ;   in Loop: Header=BB5_3 Depth=1
	v_writelane_b32 v43, s6, 3
	v_writelane_b32 v43, s8, 4
	s_mov_b64 s[4:5], src_shared_base
	s_getpc_b64 s[6:7]
	s_add_u32 s6, s6, _ZN12_GLOBAL__N_17runRingI14__hip_fp8_e5m28FuncProdIS1_E11ProtoSimpleILi2ELi2ELi0ELi2ELi0ELi0EELi0ELi0ELi2ELi0EEEviiP15ncclDevWorkColl@rel32@lo+4
	s_addc_u32 s7, s7, _ZN12_GLOBAL__N_17runRingI14__hip_fp8_e5m28FuncProdIS1_E11ProtoSimpleILi2ELi2ELi0ELi2ELi0ELi0EELi0ELi0ELi2ELi0EEEviiP15ncclDevWorkColl@rel32@hi+12
	v_writelane_b32 v43, s9, 5
	s_or_saveexec_b64 s[100:101], -1
	buffer_store_dword v43, off, s[0:3], s33 offset:16 ; 4-byte Folded Spill
	s_mov_b64 exec, s[100:101]
	v_readlane_b32 s8, v43, 1
	v_readlane_b32 s9, v43, 2
	;; [unrolled: 1-line block ×3, first 2 shown]
	v_mov_b32_e32 v31, v40
	v_mov_b32_e32 v0, v41
	;; [unrolled: 1-line block ×3, first 2 shown]
	s_swappc_b64 s[30:31], s[6:7]
	s_or_saveexec_b64 s[100:101], -1
	buffer_load_dword v43, off, s[0:3], s33 offset:16 ; 4-byte Folded Reload
	s_mov_b64 exec, s[100:101]
	s_waitcnt vmcnt(0)
	v_readlane_b32 s8, v43, 4
	v_readlane_b32 s9, v43, 5
	;; [unrolled: 1-line block ×3, first 2 shown]
	s_branch .LBB5_2
.LBB5_8:
	buffer_load_dword v62, off, s[0:3], s33 ; 4-byte Folded Reload
	buffer_load_dword v42, off, s[0:3], s33 offset:4 ; 4-byte Folded Reload
	buffer_load_dword v41, off, s[0:3], s33 offset:8 ; 4-byte Folded Reload
	;; [unrolled: 1-line block ×3, first 2 shown]
	v_readlane_b32 s30, v44, 34
	v_readlane_b32 s31, v44, 35
	;; [unrolled: 1-line block ×36, first 2 shown]
	s_mov_b32 s32, s33
	v_readlane_b32 s4, v44, 38
	v_readlane_b32 s100, v44, 36
	v_readlane_b32 s101, v44, 37
	s_or_saveexec_b64 s[6:7], -1
	buffer_load_dword v43, off, s[0:3], s33 offset:20 ; 4-byte Folded Reload
	buffer_load_dword v44, off, s[0:3], s33 offset:24 ; 4-byte Folded Reload
	s_mov_b64 exec, s[6:7]
	s_mov_b32 s33, s4
	s_waitcnt vmcnt(0)
	s_setpc_b64 s[30:31]
.Lfunc_end5:
	.size	_Z51ncclDevFunc_AllReduce_RING_SIMPLE_Prod_f8e5m2_0_0_2v, .Lfunc_end5-_Z51ncclDevFunc_AllReduce_RING_SIMPLE_Prod_f8e5m2_0_0_2v
                                        ; -- End function
	.set .L_Z51ncclDevFunc_AllReduce_RING_SIMPLE_Prod_f8e5m2_0_0_2v.num_vgpr, max(63, .L_ZN12_GLOBAL__N_17runRingI14__hip_fp8_e5m28FuncProdIS1_E11ProtoSimpleILi2ELi2ELi0ELi2ELi0ELi0EELi0ELi0ELi2ELi0EEEviiP15ncclDevWorkColl.num_vgpr)
	.set .L_Z51ncclDevFunc_AllReduce_RING_SIMPLE_Prod_f8e5m2_0_0_2v.num_agpr, max(0, .L_ZN12_GLOBAL__N_17runRingI14__hip_fp8_e5m28FuncProdIS1_E11ProtoSimpleILi2ELi2ELi0ELi2ELi0ELi0EELi0ELi0ELi2ELi0EEEviiP15ncclDevWorkColl.num_agpr)
	.set .L_Z51ncclDevFunc_AllReduce_RING_SIMPLE_Prod_f8e5m2_0_0_2v.numbered_sgpr, max(102, .L_ZN12_GLOBAL__N_17runRingI14__hip_fp8_e5m28FuncProdIS1_E11ProtoSimpleILi2ELi2ELi0ELi2ELi0ELi0EELi0ELi0ELi2ELi0EEEviiP15ncclDevWorkColl.numbered_sgpr)
	.set .L_Z51ncclDevFunc_AllReduce_RING_SIMPLE_Prod_f8e5m2_0_0_2v.num_named_barrier, max(0, .L_ZN12_GLOBAL__N_17runRingI14__hip_fp8_e5m28FuncProdIS1_E11ProtoSimpleILi2ELi2ELi0ELi2ELi0ELi0EELi0ELi0ELi2ELi0EEEviiP15ncclDevWorkColl.num_named_barrier)
	.set .L_Z51ncclDevFunc_AllReduce_RING_SIMPLE_Prod_f8e5m2_0_0_2v.private_seg_size, 32+max(.L_ZN12_GLOBAL__N_17runRingI14__hip_fp8_e5m28FuncProdIS1_E11ProtoSimpleILi2ELi2ELi0ELi2ELi0ELi0EELi0ELi0ELi2ELi0EEEviiP15ncclDevWorkColl.private_seg_size)
	.set .L_Z51ncclDevFunc_AllReduce_RING_SIMPLE_Prod_f8e5m2_0_0_2v.uses_vcc, or(1, .L_ZN12_GLOBAL__N_17runRingI14__hip_fp8_e5m28FuncProdIS1_E11ProtoSimpleILi2ELi2ELi0ELi2ELi0ELi0EELi0ELi0ELi2ELi0EEEviiP15ncclDevWorkColl.uses_vcc)
	.set .L_Z51ncclDevFunc_AllReduce_RING_SIMPLE_Prod_f8e5m2_0_0_2v.uses_flat_scratch, or(0, .L_ZN12_GLOBAL__N_17runRingI14__hip_fp8_e5m28FuncProdIS1_E11ProtoSimpleILi2ELi2ELi0ELi2ELi0ELi0EELi0ELi0ELi2ELi0EEEviiP15ncclDevWorkColl.uses_flat_scratch)
	.set .L_Z51ncclDevFunc_AllReduce_RING_SIMPLE_Prod_f8e5m2_0_0_2v.has_dyn_sized_stack, or(0, .L_ZN12_GLOBAL__N_17runRingI14__hip_fp8_e5m28FuncProdIS1_E11ProtoSimpleILi2ELi2ELi0ELi2ELi0ELi0EELi0ELi0ELi2ELi0EEEviiP15ncclDevWorkColl.has_dyn_sized_stack)
	.set .L_Z51ncclDevFunc_AllReduce_RING_SIMPLE_Prod_f8e5m2_0_0_2v.has_recursion, or(1, .L_ZN12_GLOBAL__N_17runRingI14__hip_fp8_e5m28FuncProdIS1_E11ProtoSimpleILi2ELi2ELi0ELi2ELi0ELi0EELi0ELi0ELi2ELi0EEEviiP15ncclDevWorkColl.has_recursion)
	.set .L_Z51ncclDevFunc_AllReduce_RING_SIMPLE_Prod_f8e5m2_0_0_2v.has_indirect_call, or(0, .L_ZN12_GLOBAL__N_17runRingI14__hip_fp8_e5m28FuncProdIS1_E11ProtoSimpleILi2ELi2ELi0ELi2ELi0ELi0EELi0ELi0ELi2ELi0EEEviiP15ncclDevWorkColl.has_indirect_call)
	.section	.AMDGPU.csdata,"",@progbits
; Function info:
; codeLenInByte = 1124
; TotalNumSgprs: 106
; NumVgprs: 64
; ScratchSize: 464
; MemoryBound: 0
	.text
	.p2align	2                               ; -- Begin function _ZN12_GLOBAL__N_17runRingI14__hip_fp8_e5m28FuncProdIS1_E11ProtoSimpleILi2ELi2ELi0ELi4ELi0ELi0EELi0ELi0ELi4ELi0EEEviiP15ncclDevWorkColl
	.type	_ZN12_GLOBAL__N_17runRingI14__hip_fp8_e5m28FuncProdIS1_E11ProtoSimpleILi2ELi2ELi0ELi4ELi0ELi0EELi0ELi0ELi4ELi0EEEviiP15ncclDevWorkColl,@function
_ZN12_GLOBAL__N_17runRingI14__hip_fp8_e5m28FuncProdIS1_E11ProtoSimpleILi2ELi2ELi0ELi4ELi0ELi0EELi0ELi0ELi4ELi0EEEviiP15ncclDevWorkColl: ; @_ZN12_GLOBAL__N_17runRingI14__hip_fp8_e5m28FuncProdIS1_E11ProtoSimpleILi2ELi2ELi0ELi4ELi0ELi0EELi0ELi0ELi4ELi0EEEviiP15ncclDevWorkColl
; %bb.0:
	s_waitcnt vmcnt(0) expcnt(0) lgkmcnt(0)
	s_mov_b32 s4, s33
	s_mov_b32 s33, s32
	s_or_saveexec_b64 s[6:7], -1
	buffer_store_dword v63, off, s[0:3], s33 offset:588 ; 4-byte Folded Spill
	buffer_store_dword v62, off, s[0:3], s33 offset:592 ; 4-byte Folded Spill
	s_mov_b64 exec, s[6:7]
	v_writelane_b32 v63, s4, 34
	s_add_i32 s32, s32, 0x9800
	buffer_store_dword v40, off, s[0:3], s33 offset:52 ; 4-byte Folded Spill
	buffer_store_dword v41, off, s[0:3], s33 offset:48 ; 4-byte Folded Spill
	;; [unrolled: 1-line block ×13, first 2 shown]
	buffer_store_dword v61, off, s[0:3], s33 ; 4-byte Folded Spill
	v_writelane_b32 v63, s34, 0
	v_writelane_b32 v63, s35, 1
	;; [unrolled: 1-line block ×34, first 2 shown]
	buffer_store_dword v0, off, s[0:3], s33 offset:348 ; 4-byte Folded Spill
	s_trap 2
	flat_load_dword v5, v[2:3]
	ds_read_b32 v6, v0
	s_mov_b64 s[28:29], s[8:9]
                                        ; implicit-def: $vgpr17_vgpr18
                                        ; implicit-def: $vgpr7_vgpr8
                                        ; kill: killed $vgpr7_vgpr8
                                        ; implicit-def: $vgpr10_vgpr11
	s_waitcnt lgkmcnt(0)
	v_readfirstlane_b32 s66, v6
	s_waitcnt vmcnt(0)
	v_cmp_ne_u32_sdwa s[4:5], v6, v5 src0_sel:DWORD src1_sel:BYTE_0
	s_and_saveexec_b64 s[6:7], s[4:5]
	s_xor_b64 s[4:5], exec, s[6:7]
	s_cbranch_execz .LBB6_6
; %bb.1:
	v_not_b32_sdwa v4, v5 dst_sel:DWORD dst_unused:UNUSED_PAD src0_sel:BYTE_0
	v_cmp_ne_u32_sdwa s[6:7], v6, v5 src0_sel:DWORD src1_sel:BYTE_1
                                        ; implicit-def: $vgpr17_vgpr18
                                        ; implicit-def: $vgpr7_vgpr8
                                        ; kill: killed $vgpr7_vgpr8
                                        ; implicit-def: $vgpr10_vgpr11
	s_and_saveexec_b64 s[8:9], s[6:7]
	s_xor_b64 s[6:7], exec, s[8:9]
	s_cbranch_execz .LBB6_3
; %bb.2:
	flat_load_dwordx4 v[7:10], v[2:3] offset:72
	flat_load_dwordx2 v[11:12], v[2:3] offset:96
	v_add_u32_e32 v4, v6, v4
	v_ashrrev_i32_e32 v5, 31, v4
	s_waitcnt vmcnt(0) lgkmcnt(0)
	v_mul_lo_u32 v5, v9, v5
	v_mad_u64_u32 v[6:7], s[8:9], v9, v4, v[7:8]
	v_mul_lo_u32 v4, v10, v4
	v_lshrrev_b64 v[17:18], 12, v[11:12]
	v_mov_b32_e32 v11, v10
	v_mov_b32_e32 v10, v9
	v_add3_u32 v7, v4, v7, v5
	buffer_store_dword v6, off, s[0:3], s33 offset:528 ; 4-byte Folded Spill
	s_nop 0
	buffer_store_dword v7, off, s[0:3], s33 offset:532 ; 4-byte Folded Spill
                                        ; implicit-def: $vgpr5
                                        ; implicit-def: $vgpr4
.LBB6_3:
	s_andn2_saveexec_b64 s[6:7], s[6:7]
	s_cbranch_execz .LBB6_5
; %bb.4:
	flat_load_dwordx4 v[6:9], v[2:3] offset:72
	flat_load_dwordx4 v[10:13], v[2:3] offset:88
	v_add_u32_sdwa v0, v5, v4 dst_sel:DWORD dst_unused:UNUSED_PAD src0_sel:BYTE_1 src1_sel:DWORD
	v_ashrrev_i32_e32 v4, 31, v0
	s_waitcnt vmcnt(0) lgkmcnt(0)
	v_mul_lo_u32 v4, v8, v4
	v_mad_u64_u32 v[5:6], s[8:9], v8, v0, v[6:7]
	v_mul_lo_u32 v0, v9, v0
	v_lshrrev_b32_e32 v17, 1, v13
	v_add3_u32 v6, v0, v6, v4
	buffer_store_dword v5, off, s[0:3], s33 offset:528 ; 4-byte Folded Spill
	s_nop 0
	buffer_store_dword v6, off, s[0:3], s33 offset:532 ; 4-byte Folded Spill
.LBB6_5:
	s_or_b64 exec, exec, s[6:7]
.LBB6_6:
	s_andn2_saveexec_b64 s[4:5], s[4:5]
	s_cbranch_execz .LBB6_8
; %bb.7:
	flat_load_dwordx2 v[4:5], v[2:3] offset:96
	flat_load_dwordx2 v[10:11], v[2:3] offset:72
	s_waitcnt vmcnt(0) lgkmcnt(0)
	v_lshlrev_b64 v[17:18], 9, v[4:5]
	v_mov_b32_e32 v4, 0
	v_mov_b32_e32 v5, 0
	buffer_store_dword v4, off, s[0:3], s33 offset:528 ; 4-byte Folded Spill
	s_nop 0
	buffer_store_dword v5, off, s[0:3], s33 offset:532 ; 4-byte Folded Spill
.LBB6_8:
	s_or_b64 exec, exec, s[4:5]
	s_trap 2
	ds_read_b64 v[4:5], v0
	s_waitcnt lgkmcnt(0)
	v_cmp_ne_u32_e32 vcc, -1, v4
	v_cndmask_b32_e64 v18, 0, 1, vcc
	v_cmp_ne_u32_e32 vcc, -1, v5
	v_addc_co_u32_e64 v6, s[4:5], 0, v18, vcc
	v_lshlrev_b32_e32 v4, 1, v6
	v_cmp_le_u32_e64 s[4:5], v4, v1
	s_and_saveexec_b64 s[6:7], s[4:5]
	s_xor_b64 s[6:7], exec, s[6:7]
                                        ; implicit-def: $vgpr62 : SGPR spill to VGPR lane
	v_writelane_b32 v62, s6, 0
	v_writelane_b32 v62, s7, 1
	s_cbranch_execnz .LBB6_9
; %bb.13767:
	s_getpc_b64 s[98:99]
.Lpost_getpc17:
	s_add_u32 s98, s98, (.LBB6_13758-.Lpost_getpc17)&4294967295
	s_addc_u32 s99, s99, (.LBB6_13758-.Lpost_getpc17)>>32
	s_setpc_b64 s[98:99]
.LBB6_9:
	buffer_store_dword v10, off, s[0:3], s33 offset:536 ; 4-byte Folded Spill
	s_nop 0
	buffer_store_dword v11, off, s[0:3], s33 offset:540 ; 4-byte Folded Spill
	buffer_store_dword v12, off, s[0:3], s33 offset:544 ; 4-byte Folded Spill
	;; [unrolled: 1-line block ×3, first 2 shown]
	flat_load_dwordx4 v[10:13], v[2:3] offset:16
	s_nop 0
	flat_load_dwordx2 v[4:5], v[2:3] offset:104
	flat_load_ushort v8, v[2:3] offset:8
	flat_load_dword v7, v[2:3] offset:4
	s_trap 2
	s_load_dword s4, s[28:29], 0x0
	v_mov_b32_e32 v9, 0
	s_waitcnt lgkmcnt(0)
	s_cmp_lt_u32 s12, s4
	s_cselect_b32 s4, 12, 18
	s_add_u32 s4, s28, s4
	s_addc_u32 s5, s29, 0
	global_load_ushort v0, v9, s[4:5]
	s_waitcnt vmcnt(0)
	ds_read_b32 v9, v0
	buffer_store_dword v0, off, s[0:3], s33 offset:568 ; 4-byte Folded Spill
	buffer_load_dword v0, off, s[0:3], s33 offset:348 ; 4-byte Folded Reload
	s_waitcnt lgkmcnt(0)
	v_readfirstlane_b32 s8, v9
	s_waitcnt vmcnt(0)
	v_cmp_ge_i32_e64 s[4:5], v0, v18
	v_mov_b32_e32 v0, 4
	s_and_saveexec_b64 s[6:7], s[4:5]
	s_cbranch_execz .LBB6_19
; %bb.10:
	buffer_load_dword v0, off, s[0:3], s33 offset:348 ; 4-byte Folded Reload
	s_waitcnt vmcnt(0)
	v_cmp_ge_u32_e64 s[4:5], v0, v6
                                        ; implicit-def: $vgpr0
	s_and_saveexec_b64 s[10:11], s[4:5]
	s_xor_b64 s[4:5], exec, s[10:11]
	s_cbranch_execz .LBB6_16
; %bb.11:
	buffer_load_dword v0, off, s[0:3], s33 offset:348 ; 4-byte Folded Reload
	v_cndmask_b32_e64 v9, 0, 1, vcc
	v_sub_u32_e32 v9, v1, v9
	s_waitcnt vmcnt(0)
	v_cmp_ge_u32_e32 vcc, v0, v9
	s_and_saveexec_b64 s[10:11], vcc
	s_xor_b64 s[10:11], exec, s[10:11]
; %bb.12:
                                        ; implicit-def: $vgpr6
; %bb.13:
	s_or_saveexec_b64 s[10:11], s[10:11]
	v_mov_b32_e32 v0, 16
	s_xor_b64 exec, exec, s[10:11]
	s_cbranch_execz .LBB6_15
; %bb.14:
	buffer_load_dword v0, off, s[0:3], s33 offset:348 ; 4-byte Folded Reload
	v_sub_u32_e32 v6, v1, v6
	s_waitcnt vmcnt(0)
	v_cmp_lt_i32_e32 vcc, v0, v6
	v_cndmask_b32_e64 v0, 32, 0, vcc
.LBB6_15:
	s_or_b64 exec, exec, s[10:11]
.LBB6_16:
	s_andn2_saveexec_b64 s[4:5], s[4:5]
; %bb.17:
	v_mov_b32_e32 v0, 8
; %bb.18:
	s_or_b64 exec, exec, s[4:5]
.LBB6_19:
	s_or_b64 exec, exec, s[6:7]
	v_and_b32_e32 v6, 36, v0
	v_cmp_ne_u32_e32 vcc, 0, v6
	v_mov_b32_e32 v6, -1
	buffer_store_dword v0, off, s[0:3], s33 offset:72 ; 4-byte Folded Spill
	s_and_saveexec_b64 s[4:5], vcc
	s_cbranch_execz .LBB6_21
; %bb.20:
	s_trap 2
	ds_read_b32 v6, v0
.LBB6_21:
	s_or_b64 exec, exec, s[4:5]
	buffer_load_dword v0, off, s[0:3], s33 offset:72 ; 4-byte Folded Reload
	s_waitcnt vmcnt(0)
	v_and_b32_e32 v9, 24, v0
	v_cmp_ne_u32_e64 s[4:5], 0, v9
	s_and_saveexec_b64 s[6:7], s[4:5]
	s_cbranch_execz .LBB6_23
; %bb.22:
	s_trap 2
	s_waitcnt lgkmcnt(0)
	ds_read_b32 v6, v0
.LBB6_23:
	s_or_b64 exec, exec, s[6:7]
	v_lshrrev_b64 v[7:8], 31, v[7:8]
	v_mov_b32_e32 v8, 0
	v_mov_b32_e32 v9, 0
	buffer_store_dword v8, off, s[0:3], s33 offset:560 ; 4-byte Folded Spill
	s_nop 0
	buffer_store_dword v9, off, s[0:3], s33 offset:564 ; 4-byte Folded Spill
	v_mov_b32_e32 v8, 0
	v_mov_b32_e32 v9, 0
	buffer_store_dword v8, off, s[0:3], s33 offset:292 ; 4-byte Folded Spill
	s_nop 0
	buffer_store_dword v9, off, s[0:3], s33 offset:296 ; 4-byte Folded Spill
	buffer_store_dword v10, off, s[0:3], s33 offset:300 ; 4-byte Folded Spill
	;; [unrolled: 1-line block ×3, first 2 shown]
	v_and_b32_e32 v9, 3, v7
                                        ; implicit-def: $vgpr7_vgpr8
                                        ; kill: killed $vgpr7_vgpr8
                                        ; implicit-def: $vgpr7_vgpr8
                                        ; kill: killed $vgpr7_vgpr8
	;; [unrolled: 2-line block ×3, first 2 shown]
                                        ; implicit-def: $vgpr7_vgpr8
                                        ; implicit-def: $vgpr0
                                        ; kill: killed $vgpr0
                                        ; kill: killed $vgpr7_vgpr8
                                        ; implicit-def: $vgpr7_vgpr8
                                        ; kill: killed $vgpr7_vgpr8
	s_and_saveexec_b64 s[4:5], vcc
	s_cbranch_execz .LBB6_33
; %bb.24:
	s_trap 2
	ds_read_b64 v[14:15], v0
	s_waitcnt lgkmcnt(1)
	v_ashrrev_i32_e32 v7, 31, v6
	v_lshlrev_b64 v[7:8], 3, v[6:7]
	s_movk_i32 s6, 0xa8
	s_waitcnt lgkmcnt(0)
	v_add_co_u32_e32 v7, vcc, v14, v7
	v_addc_co_u32_e32 v8, vcc, v15, v8, vcc
	flat_load_dwordx2 v[7:8], v[7:8]
	v_and_b32_e32 v14, 0xffff, v9
	s_waitcnt vmcnt(0) lgkmcnt(0)
	v_mad_u64_u32 v[7:8], s[6:7], v14, s6, v[7:8]
	flat_load_dword v14, v[7:8] offset:640
	s_waitcnt vmcnt(0) lgkmcnt(0)
	v_cmp_eq_u32_e32 vcc, 1, v14
                                        ; implicit-def: $vgpr14_vgpr15
                                        ; kill: killed $vgpr14_vgpr15
	s_and_saveexec_b64 s[6:7], vcc
	s_cbranch_execz .LBB6_26
; %bb.25:
	flat_load_dwordx2 v[19:20], v[7:8] offset:648
	s_waitcnt vmcnt(0) lgkmcnt(0)
	flat_load_dwordx2 v[14:15], v[19:20]
	s_trap 2
	s_waitcnt vmcnt(0) lgkmcnt(0)
	ds_write_b64 v0, v[14:15]
	flat_load_dwordx2 v[14:15], v[19:20] offset:8
	s_waitcnt vmcnt(0) lgkmcnt(0)
	ds_write_b64 v0, v[14:15]
	buffer_store_dword v19, off, s[0:3], s33 offset:580 ; 4-byte Folded Spill
	s_nop 0
	buffer_store_dword v20, off, s[0:3], s33 offset:584 ; 4-byte Folded Spill
	flat_load_dwordx2 v[14:15], v[19:20] offset:16
	s_waitcnt vmcnt(0) lgkmcnt(0)
	ds_write_b64 v0, v[14:15]
	buffer_load_dword v0, off, s[0:3], s33 offset:72 ; 4-byte Folded Reload
	s_waitcnt vmcnt(0)
	v_or_b32_e32 v0, 0x2000, v0
	buffer_store_dword v0, off, s[0:3], s33 offset:72 ; 4-byte Folded Spill
.LBB6_26:
	s_or_b64 exec, exec, s[6:7]
	flat_load_dwordx2 v[14:15], v[7:8] offset:608
	buffer_load_dword v0, off, s[0:3], s33 offset:72 ; 4-byte Folded Reload
	s_waitcnt vmcnt(0) lgkmcnt(0)
	v_add_co_u32_e32 v14, vcc, 3, v14
	v_and_b32_e32 v16, 32, v0
	v_addc_co_u32_e32 v15, vcc, 0, v15, vcc
	v_and_b32_e32 v14, -4, v14
	buffer_store_dword v14, off, s[0:3], s33 offset:84 ; 4-byte Folded Spill
	s_nop 0
	buffer_store_dword v15, off, s[0:3], s33 offset:88 ; 4-byte Folded Spill
	v_cmp_ne_u32_e32 vcc, 0, v16
                                        ; implicit-def: $vgpr14_vgpr15
                                        ; kill: killed $vgpr14_vgpr15
	s_and_saveexec_b64 s[6:7], vcc
	s_cbranch_execz .LBB6_28
; %bb.27:
	flat_load_dwordx2 v[14:15], v[7:8] offset:560
	s_waitcnt vmcnt(0) lgkmcnt(0)
	buffer_store_dword v14, off, s[0:3], s33 offset:64 ; 4-byte Folded Spill
	s_nop 0
	buffer_store_dword v15, off, s[0:3], s33 offset:68 ; 4-byte Folded Spill
	buffer_load_dword v19, off, s[0:3], s33 offset:84 ; 4-byte Folded Reload
	buffer_load_dword v20, off, s[0:3], s33 offset:88 ; 4-byte Folded Reload
	s_waitcnt vmcnt(0)
	flat_store_dwordx2 v[14:15], v[19:20]
.LBB6_28:
	s_or_b64 exec, exec, s[6:7]
	v_add_co_u32_e32 v14, vcc, 0x1f8, v7
	v_addc_co_u32_e32 v15, vcc, 0, v8, vcc
	buffer_store_dword v14, off, s[0:3], s33 offset:560 ; 4-byte Folded Spill
	s_nop 0
	buffer_store_dword v15, off, s[0:3], s33 offset:564 ; 4-byte Folded Spill
	buffer_load_dword v0, off, s[0:3], s33 offset:72 ; 4-byte Folded Reload
	v_mov_b32_e32 v15, 0
	v_mov_b32_e32 v16, 0
	buffer_store_dword v15, off, s[0:3], s33 offset:292 ; 4-byte Folded Spill
	s_nop 0
	buffer_store_dword v16, off, s[0:3], s33 offset:296 ; 4-byte Folded Spill
	buffer_store_dword v17, off, s[0:3], s33 offset:300 ; 4-byte Folded Spill
	;; [unrolled: 1-line block ×3, first 2 shown]
	s_waitcnt vmcnt(0)
	v_and_b32_e32 v14, 4, v0
	v_cmp_ne_u32_e32 vcc, 0, v14
                                        ; implicit-def: $vgpr14_vgpr15
                                        ; implicit-def: $vgpr0
                                        ; kill: killed $vgpr0
                                        ; kill: killed $vgpr14_vgpr15
                                        ; implicit-def: $vgpr14_vgpr15
                                        ; kill: killed $vgpr14_vgpr15
	s_and_saveexec_b64 s[6:7], vcc
	s_cbranch_execz .LBB6_32
; %bb.29:
	buffer_load_dword v0, off, s[0:3], s33 offset:72 ; 4-byte Folded Reload
	s_waitcnt vmcnt(0)
	v_and_b32_e32 v14, 0x800, v0
	v_cmp_eq_u32_e32 vcc, 0, v14
	s_and_saveexec_b64 s[10:11], vcc
	s_cbranch_execz .LBB6_31
; %bb.30:
	s_trap 2
	buffer_load_dword v14, off, s[0:3], s33 offset:560 ; 4-byte Folded Reload
	buffer_load_dword v15, off, s[0:3], s33 offset:564 ; 4-byte Folded Reload
	s_waitcnt vmcnt(0)
	ds_write_b64 v0, v[14:15]
.LBB6_31:
	s_or_b64 exec, exec, s[10:11]
	flat_load_dwordx2 v[14:15], v[7:8] offset:552
	s_waitcnt vmcnt(0) lgkmcnt(0)
	buffer_store_dword v14, off, s[0:3], s33 offset:64 ; 4-byte Folded Spill
	s_nop 0
	buffer_store_dword v15, off, s[0:3], s33 offset:68 ; 4-byte Folded Spill
	flat_load_dwordx2 v[14:15], v[14:15] glc
	s_waitcnt vmcnt(0) lgkmcnt(0)
	buffer_store_dword v14, off, s[0:3], s33 offset:56 ; 4-byte Folded Spill
	s_nop 0
	buffer_store_dword v15, off, s[0:3], s33 offset:60 ; 4-byte Folded Spill
	flat_load_dwordx2 v[19:20], v[7:8] offset:600
	flat_load_dword v0, v[7:8] offset:576
	s_waitcnt vmcnt(0) lgkmcnt(0)
	v_cmp_eq_u64_e32 vcc, 0, v[19:20]
	flat_load_dwordx2 v[7:8], v[7:8] offset:520
	v_mov_b32_e32 v14, v19
	buffer_store_dword v0, off, s[0:3], s33 offset:324 ; 4-byte Folded Spill
	s_waitcnt vmcnt(0) lgkmcnt(0)
	buffer_store_dword v7, off, s[0:3], s33 offset:284 ; 4-byte Folded Spill
	s_nop 0
	buffer_store_dword v8, off, s[0:3], s33 offset:288 ; 4-byte Folded Spill
	buffer_load_dword v0, off, s[0:3], s33 offset:72 ; 4-byte Folded Reload
	v_mov_b32_e32 v15, v20
	buffer_store_dword v14, off, s[0:3], s33 offset:292 ; 4-byte Folded Spill
	s_nop 0
	buffer_store_dword v15, off, s[0:3], s33 offset:296 ; 4-byte Folded Spill
	buffer_store_dword v16, off, s[0:3], s33 offset:300 ; 4-byte Folded Spill
	;; [unrolled: 1-line block ×3, first 2 shown]
	s_waitcnt vmcnt(4)
	v_or_b32_e32 v7, 0x100, v0
	v_cndmask_b32_e32 v0, v7, v0, vcc
	buffer_store_dword v0, off, s[0:3], s33 offset:72 ; 4-byte Folded Spill
.LBB6_32:
	s_or_b64 exec, exec, s[6:7]
.LBB6_33:
	s_or_b64 exec, exec, s[4:5]
	buffer_load_dword v0, off, s[0:3], s33 offset:72 ; 4-byte Folded Reload
	s_waitcnt vmcnt(0)
	v_and_b32_e32 v7, 24, v0
	v_cmp_ne_u32_e32 vcc, 0, v7
                                        ; implicit-def: $vgpr7_vgpr8
                                        ; kill: killed $vgpr7_vgpr8
	s_and_saveexec_b64 s[4:5], vcc
	s_cbranch_execz .LBB6_41
; %bb.34:
	s_trap 2
	ds_read_b64 v[14:15], v0
	s_waitcnt lgkmcnt(0)
	v_ashrrev_i32_e32 v7, 31, v6
	v_lshlrev_b64 v[6:7], 3, v[6:7]
	v_and_b32_e32 v8, 0xffff, v9
	s_movk_i32 s6, 0xa8
	v_add_co_u32_e32 v6, vcc, v14, v6
	v_addc_co_u32_e32 v7, vcc, v15, v7, vcc
	flat_load_dwordx2 v[6:7], v[6:7]
	s_waitcnt vmcnt(0) lgkmcnt(0)
	v_mad_u64_u32 v[6:7], s[6:7], v8, s6, v[6:7]
	buffer_store_dword v6, off, s[0:3], s33 offset:560 ; 4-byte Folded Spill
	s_nop 0
	buffer_store_dword v7, off, s[0:3], s33 offset:564 ; 4-byte Folded Spill
	buffer_load_dword v0, off, s[0:3], s33 offset:72 ; 4-byte Folded Reload
	flat_load_dwordx4 v[19:22], v[6:7] offset:96
	s_waitcnt vmcnt(0) lgkmcnt(0)
	buffer_store_dword v19, off, s[0:3], s33 offset:292 ; 4-byte Folded Spill
	s_nop 0
	buffer_store_dword v20, off, s[0:3], s33 offset:296 ; 4-byte Folded Spill
	buffer_store_dword v21, off, s[0:3], s33 offset:300 ; 4-byte Folded Spill
	;; [unrolled: 1-line block ×3, first 2 shown]
	v_or_b32_e32 v6, 0x100, v0
	v_cmp_eq_u64_e32 vcc, 0, v[19:20]
	v_cndmask_b32_e32 v0, v6, v0, vcc
	v_and_b32_e32 v6, 16, v0
	v_cmp_ne_u32_e32 vcc, 0, v6
	buffer_store_dword v0, off, s[0:3], s33 offset:72 ; 4-byte Folded Spill
                                        ; implicit-def: $vgpr6_vgpr7
                                        ; kill: killed $vgpr6_vgpr7
	s_and_saveexec_b64 s[6:7], vcc
	s_cbranch_execz .LBB6_36
; %bb.35:
	buffer_load_dword v6, off, s[0:3], s33 offset:560 ; 4-byte Folded Reload
	buffer_load_dword v7, off, s[0:3], s33 offset:564 ; 4-byte Folded Reload
	s_waitcnt vmcnt(0)
	flat_load_dwordx2 v[8:9], v[6:7] offset:48
	s_waitcnt vmcnt(0) lgkmcnt(0)
	buffer_store_dword v8, off, s[0:3], s33 offset:64 ; 4-byte Folded Spill
	s_nop 0
	buffer_store_dword v9, off, s[0:3], s33 offset:68 ; 4-byte Folded Spill
	flat_load_dwordx2 v[8:9], v[6:7] offset:120
	s_waitcnt vmcnt(0) lgkmcnt(0)
	buffer_store_dword v8, off, s[0:3], s33 offset:308 ; 4-byte Folded Spill
	s_nop 0
	buffer_store_dword v9, off, s[0:3], s33 offset:312 ; 4-byte Folded Spill
	flat_load_dwordx2 v[6:7], v[6:7] offset:16
	s_waitcnt vmcnt(0) lgkmcnt(0)
	buffer_store_dword v6, off, s[0:3], s33 offset:284 ; 4-byte Folded Spill
	s_nop 0
	buffer_store_dword v7, off, s[0:3], s33 offset:288 ; 4-byte Folded Spill
.LBB6_36:
	s_or_b64 exec, exec, s[6:7]
	buffer_load_dword v6, off, s[0:3], s33 offset:292 ; 4-byte Folded Reload
	buffer_load_dword v7, off, s[0:3], s33 offset:296 ; 4-byte Folded Reload
	;; [unrolled: 1-line block ×4, first 2 shown]
	s_waitcnt vmcnt(1)
	v_add_co_u32_e32 v6, vcc, 3, v8
	s_waitcnt vmcnt(0)
	v_addc_co_u32_e32 v7, vcc, 0, v9, vcc
	v_and_b32_e32 v6, -4, v6
	buffer_store_dword v6, off, s[0:3], s33 offset:84 ; 4-byte Folded Spill
	s_nop 0
	buffer_store_dword v7, off, s[0:3], s33 offset:88 ; 4-byte Folded Spill
	buffer_load_dword v0, off, s[0:3], s33 offset:72 ; 4-byte Folded Reload
	s_waitcnt vmcnt(0)
	v_and_b32_e32 v6, 8, v0
	v_cmp_ne_u32_e32 vcc, 0, v6
	s_and_saveexec_b64 s[6:7], vcc
	s_cbranch_execz .LBB6_40
; %bb.37:
	buffer_load_dword v0, off, s[0:3], s33 offset:72 ; 4-byte Folded Reload
	s_waitcnt vmcnt(0)
	v_and_b32_e32 v6, 0x800, v0
	v_cmp_eq_u32_e32 vcc, 0, v6
	s_and_saveexec_b64 s[10:11], vcc
	s_cbranch_execz .LBB6_39
; %bb.38:
	s_trap 2
	buffer_load_dword v6, off, s[0:3], s33 offset:560 ; 4-byte Folded Reload
	buffer_load_dword v7, off, s[0:3], s33 offset:564 ; 4-byte Folded Reload
	s_waitcnt vmcnt(0)
	ds_write_b64 v0, v[6:7]
.LBB6_39:
	s_or_b64 exec, exec, s[10:11]
	buffer_load_dword v6, off, s[0:3], s33 offset:560 ; 4-byte Folded Reload
	buffer_load_dword v7, off, s[0:3], s33 offset:564 ; 4-byte Folded Reload
	s_waitcnt vmcnt(0)
	flat_load_dwordx2 v[8:9], v[6:7] offset:56
	s_waitcnt vmcnt(0) lgkmcnt(0)
	buffer_store_dword v8, off, s[0:3], s33 offset:64 ; 4-byte Folded Spill
	s_nop 0
	buffer_store_dword v9, off, s[0:3], s33 offset:68 ; 4-byte Folded Spill
	flat_load_dwordx2 v[8:9], v[8:9] glc
	s_waitcnt vmcnt(0) lgkmcnt(0)
	buffer_store_dword v8, off, s[0:3], s33 offset:56 ; 4-byte Folded Spill
	s_nop 0
	buffer_store_dword v9, off, s[0:3], s33 offset:60 ; 4-byte Folded Spill
	flat_load_dword v0, v[6:7] offset:72
	s_nop 0
	flat_load_dwordx2 v[6:7], v[6:7] offset:16
	s_waitcnt vmcnt(0) lgkmcnt(0)
	buffer_store_dword v0, off, s[0:3], s33 offset:324 ; 4-byte Folded Spill
	buffer_store_dword v6, off, s[0:3], s33 offset:284 ; 4-byte Folded Spill
	s_nop 0
	buffer_store_dword v7, off, s[0:3], s33 offset:288 ; 4-byte Folded Spill
.LBB6_40:
	s_or_b64 exec, exec, s[6:7]
.LBB6_41:
	s_or_b64 exec, exec, s[4:5]
	buffer_load_dword v0, off, s[0:3], s33 offset:348 ; 4-byte Folded Reload
	s_waitcnt vmcnt(0)
	v_cmp_eq_u32_e64 s[4:5], 0, v0
	s_and_saveexec_b64 s[6:7], s[4:5]
	s_cbranch_execz .LBB6_43
; %bb.42:
	s_waitcnt lgkmcnt(0)
	flat_load_dwordx2 v[6:7], v[2:3] offset:32
	v_mov_b32_e32 v8, v12
	v_mov_b32_e32 v9, v13
	ds_write2_b64 v0, v[8:9], v[10:11] offset1:1
	s_trap 2
	s_waitcnt vmcnt(0) lgkmcnt(0)
	ds_write_b64 v0, v[6:7]
	ds_write_b64 v0, v[4:5]
.LBB6_43:
	s_or_b64 exec, exec, s[6:7]
	v_mov_b32_e32 v4, 0
	v_mov_b32_e32 v5, 0
	buffer_store_dword v4, off, s[0:3], s33 offset:76 ; 4-byte Folded Spill
	s_nop 0
	buffer_store_dword v5, off, s[0:3], s33 offset:80 ; 4-byte Folded Spill
	buffer_load_dword v5, off, s[0:3], s33 offset:536 ; 4-byte Folded Reload
	s_waitcnt lgkmcnt(0)
	buffer_load_dword v6, off, s[0:3], s33 offset:540 ; 4-byte Folded Reload
	buffer_load_dword v7, off, s[0:3], s33 offset:544 ; 4-byte Folded Reload
	;; [unrolled: 1-line block ×3, first 2 shown]
	s_waitcnt vmcnt(2)
	v_cmp_lt_i64_e32 vcc, 0, v[5:6]
	s_mov_b64 s[6:7], exec
	v_writelane_b32 v62, s6, 2
	v_writelane_b32 v62, s7, 3
	s_and_b64 s[6:7], s[6:7], vcc
	s_mov_b64 exec, s[6:7]
	s_cbranch_execnz .LBB6_44
; %bb.13769:
	s_getpc_b64 s[98:99]
.Lpost_getpc18:
	s_add_u32 s98, s98, (.LBB6_13724-.Lpost_getpc18)&4294967295
	s_addc_u32 s99, s99, (.LBB6_13724-.Lpost_getpc18)>>32
	s_setpc_b64 s[98:99]
.LBB6_44:
	flat_load_dword v2, v[2:3] offset:4
	v_mov_b32_e32 v34, 0
	buffer_load_dword v4, off, s[0:3], s33 offset:348 ; 4-byte Folded Reload
	buffer_load_dword v3, off, s[0:3], s33 offset:324 ; 4-byte Folded Reload
	v_and_b32_e32 v11, 0x3ffffe00, v17
	buffer_store_dword v31, off, s[0:3], s33 offset:576 ; 4-byte Folded Spill
	v_mov_b32_e32 v12, v34
	v_writelane_b32 v62, s28, 4
	s_ashr_i32 s67, s66, 31
	v_lshrrev_b32_e32 v39, 6, v1
	v_writelane_b32 v62, s29, 5
	v_and_b32_e32 v0, 63, v31
	v_cmp_eq_u32_e64 s[6:7], 64, v1
	v_cmp_ne_u32_e64 s[10:11], 64, v1
	s_movk_i32 s9, 0x400
	s_mov_b32 s56, -1
	v_mov_b32_e32 v9, 0
	s_mov_b32 s57, 0xffffff
	s_movk_i32 s68, 0xffc0
	s_mov_b64 s[60:61], 0
	s_movk_i32 s69, 0xfc00
	v_mov_b32_e32 v10, 0
	s_movk_i32 s70, 0x1000
	s_movk_i32 s71, 0x108
	;; [unrolled: 1-line block ×4, first 2 shown]
	s_brev_b32 s82, 1
	s_mov_b64 s[76:77], 0x7f800000
	s_movk_i32 s44, 0x80
	s_mov_b64 s[78:79], 0x47600001
	s_movk_i32 s45, 0x72
	;; [unrolled: 2-line block ×3, first 2 shown]
	s_waitcnt vmcnt(0)
	v_cmp_ge_i32_e32 vcc, v4, v1
	v_ashrrev_i32_e32 v3, 31, v3
	buffer_store_dword v3, off, s[0:3], s33 offset:344 ; 4-byte Folded Spill
	s_trap 2
	buffer_store_dword v1, off, s[0:3], s33 offset:572 ; 4-byte Folded Spill
	buffer_load_dword v3, off, s[0:3], s33 offset:568 ; 4-byte Folded Reload
	buffer_load_dword v7, off, s[0:3], s33 offset:308 ; 4-byte Folded Reload
	;; [unrolled: 1-line block ×3, first 2 shown]
	s_waitcnt vmcnt(0)
	v_cmp_ne_u32_sdwa s[58:59], v1, v3 src0_sel:DWORD src1_sel:WORD_0
	v_cmp_eq_u64_e64 s[12:13], 0, v[7:8]
	v_cmp_ne_u64_e64 s[14:15], 0, v[7:8]
	v_mov_b32_e32 v7, 0
	v_mov_b32_e32 v8, 0
	buffer_store_dword v7, off, s[0:3], s33 offset:76 ; 4-byte Folded Spill
	s_nop 0
	buffer_store_dword v8, off, s[0:3], s33 offset:80 ; 4-byte Folded Spill
	buffer_store_dword v11, off, s[0:3], s33 offset:472 ; 4-byte Folded Spill
	s_nop 0
	buffer_store_dword v12, off, s[0:3], s33 offset:476 ; 4-byte Folded Spill
	v_ashrrev_i32_e32 v3, 31, v4
	v_lshlrev_b32_e32 v7, 11, v39
	v_and_b32_e32 v1, 0x3fc0, v1
	buffer_store_dword v7, off, s[0:3], s33 offset:272 ; 4-byte Folded Spill
	v_lshlrev_b32_e32 v7, 12, v39
	v_mad_i64_i32 v[11:12], s[16:17], v11, s66, 0
	s_add_u32 s16, s66, -1
	v_writelane_b32 v62, s16, 6
	v_cmp_eq_u32_e64 s[16:17], 0, v0
	v_lshrrev_b32_e32 v0, 26, v3
	v_lshlrev_b32_e32 v3, 13, v39
	buffer_store_dword v3, off, s[0:3], s33 offset:480 ; 4-byte Folded Spill
	v_lshlrev_b32_e32 v3, 10, v39
	buffer_store_dword v7, off, s[0:3], s33 offset:280 ; 4-byte Folded Spill
	buffer_store_dword v1, off, s[0:3], s33 offset:276 ; 4-byte Folded Spill
	v_subrev_u32_e32 v1, 64, v1
	s_addc_u32 s18, s67, -1
	v_writelane_b32 v62, s18, 7
	v_add_u32_e32 v0, v4, v0
	buffer_store_dword v3, off, s[0:3], s33 offset:316 ; 4-byte Folded Spill
	v_add_u32_e32 v7, 0xfffffc00, v3
	v_ashrrev_i32_e32 v3, 31, v1
	buffer_store_dword v1, off, s[0:3], s33 offset:328 ; 4-byte Folded Spill
	v_add_co_u32_e64 v1, s[18:19], 64, v1
	s_add_i32 s85, s66, s66
	s_not_b32 s20, s66
	v_ashrrev_i32_e32 v8, 6, v0
	v_and_b32_e32 v0, 0xffffffc0, v0
	buffer_store_dword v1, off, s[0:3], s33 offset:336 ; 4-byte Folded Spill
	buffer_store_dword v3, off, s[0:3], s33 offset:332 ; 4-byte Folded Spill
	v_addc_co_u32_e64 v1, s[18:19], 0, v3, s[18:19]
	s_cmp_gt_i32 s66, 0
	v_ashrrev_i32_e32 v13, 31, v7
	buffer_store_dword v1, off, s[0:3], s33 offset:340 ; 4-byte Folded Spill
	v_sub_u32_e32 v1, v4, v0
	v_lshlrev_b32_e32 v0, 13, v8
	v_add_co_u32_e64 v4, s[18:19], s9, v7
	s_cselect_b32 s20, s20, -1
	s_ashr_i32 s21, s8, 31
	buffer_store_dword v8, off, s[0:3], s33 offset:320 ; 4-byte Folded Spill
	v_lshlrev_b32_e32 v3, 12, v8
	buffer_store_dword v7, off, s[0:3], s33 offset:352 ; 4-byte Folded Spill
	buffer_store_dword v4, off, s[0:3], s33 offset:360 ; 4-byte Folded Spill
	;; [unrolled: 1-line block ×3, first 2 shown]
	v_addc_co_u32_e64 v4, s[18:19], 0, v13, s[18:19]
	v_lshl_add_u32 v0, v1, 4, v0
	buffer_store_dword v4, off, s[0:3], s33 offset:364 ; 4-byte Folded Spill
	s_add_i32 s86, s20, s85
	s_lshr_b32 s9, s21, 25
	v_cmp_gt_i32_e64 s[18:19], 1, v1
	v_cmp_lt_i32_e64 s[20:21], v1, v18
	buffer_store_dword v0, off, s[0:3], s33 offset:484 ; 4-byte Folded Spill
	buffer_store_dword v1, off, s[0:3], s33 offset:460 ; 4-byte Folded Spill
	v_cmp_le_i32_e64 s[22:23], v1, v18
	v_ashrrev_i32_e32 v1, 31, v0
	v_sub_u32_e32 v0, v0, v3
	s_add_i32 s8, s8, s9
	buffer_store_dword v0, off, s[0:3], s33 offset:424 ; 4-byte Folded Spill
	v_ashrrev_i32_e32 v0, 31, v0
	s_ashr_i32 s24, s86, 31
	s_ashr_i32 s96, s8, 7
	buffer_store_dword v0, off, s[0:3], s33 offset:428 ; 4-byte Folded Spill
	s_waitcnt lgkmcnt(0)
	v_and_b32_e32 v0, 1, v2
	v_writelane_b32 v62, s24, 8
	s_cmp_gt_i32 s66, 2
	v_cmp_eq_u32_e64 s[24:25], 1, v0
	s_cselect_b64 s[62:63], -1, 0
	s_add_i32 s8, s66, 1
	s_xor_b64 s[72:73], s[24:25], -1
	s_cmp_ge_i32 s8, s66
	s_cselect_b32 s9, s66, 0
	s_sub_i32 s46, s8, s9
	s_ashr_i32 s8, s46, 31
	s_add_i32 s97, s66, -2
	s_xor_b64 s[74:75], vcc, -1
	v_writelane_b32 v62, s8, 9
	s_mov_b32 s9, 0x7c0000
	s_brev_b32 s8, 62
	buffer_store_dword v1, off, s[0:3], s33 offset:488 ; 4-byte Folded Spill
	buffer_store_dword v39, off, s[0:3], s33 offset:100 ; 4-byte Folded Spill
	;; [unrolled: 1-line block ×3, first 2 shown]
	s_nop 0
	buffer_store_dword v12, off, s[0:3], s33 offset:556 ; 4-byte Folded Spill
	s_branch .LBB6_47
.LBB6_45:                               ;   in Loop: Header=BB6_47 Depth=1
	s_or_b64 exec, exec, s[40:41]
.LBB6_46:                               ;   in Loop: Header=BB6_47 Depth=1
	s_or_b64 exec, exec, s[28:29]
	buffer_load_dword v9, off, s[0:3], s33 offset:500 ; 4-byte Folded Reload
	buffer_load_dword v10, off, s[0:3], s33 offset:504 ; 4-byte Folded Reload
	;; [unrolled: 1-line block ×8, first 2 shown]
	s_waitcnt vmcnt(0)
	v_add_co_u32_e32 v9, vcc, v9, v11
	v_addc_co_u32_e32 v10, vcc, v10, v12, vcc
	v_cmp_ge_i64_e32 vcc, v[9:10], v[5:6]
	s_or_b64 s[60:61], vcc, s[60:61]
	s_andn2_b64 exec, exec, s[60:61]
	s_cbranch_execnz .LBB6_47
; %bb.13771:
	s_getpc_b64 s[98:99]
.Lpost_getpc19:
	s_add_u32 s98, s98, (.LBB6_13723-.Lpost_getpc19)&4294967295
	s_addc_u32 s99, s99, (.LBB6_13723-.Lpost_getpc19)>>32
	s_setpc_b64 s[98:99]
.LBB6_47:                               ; =>This Loop Header: Depth=1
                                        ;     Child Loop BB6_57 Depth 2
                                        ;       Child Loop BB6_65 Depth 3
                                        ;       Child Loop BB6_89 Depth 3
	;; [unrolled: 1-line block ×9, first 2 shown]
                                        ;     Child Loop BB6_199 Depth 2
                                        ;       Child Loop BB6_205 Depth 3
                                        ;       Child Loop BB6_229 Depth 3
	;; [unrolled: 1-line block ×3, first 2 shown]
                                        ;     Child Loop BB6_271 Depth 2
                                        ;       Child Loop BB6_274 Depth 3
                                        ;         Child Loop BB6_282 Depth 4
                                        ;         Child Loop BB6_310 Depth 4
	;; [unrolled: 1-line block ×9, first 2 shown]
                                        ;       Child Loop BB6_4588 Depth 3
                                        ;         Child Loop BB6_4594 Depth 4
                                        ;         Child Loop BB6_4622 Depth 4
	;; [unrolled: 1-line block ×3, first 2 shown]
                                        ;     Child Loop BB6_4663 Depth 2
                                        ;       Child Loop BB6_4671 Depth 3
                                        ;       Child Loop BB6_4699 Depth 3
	;; [unrolled: 1-line block ×9, first 2 shown]
                                        ;         Child Loop BB6_7580 Depth 4
                                        ;       Child Loop BB6_7611 Depth 3
                                        ;       Child Loop BB6_8894 Depth 3
                                        ;         Child Loop BB6_8935 Depth 4
                                        ;       Child Loop BB6_13142 Depth 3
                                        ;       Child Loop BB6_13161 Depth 3
                                        ;     Child Loop BB6_13179 Depth 2
                                        ;       Child Loop BB6_13185 Depth 3
                                        ;       Child Loop BB6_13213 Depth 3
	;; [unrolled: 1-line block ×3, first 2 shown]
                                        ;     Child Loop BB6_13255 Depth 2
                                        ;       Child Loop BB6_13258 Depth 3
                                        ;         Child Loop BB6_13266 Depth 4
                                        ;         Child Loop BB6_13294 Depth 4
	;; [unrolled: 1-line block ×9, first 2 shown]
                                        ;           Child Loop BB6_13348 Depth 5
                                        ;         Child Loop BB6_13357 Depth 4
                                        ;         Child Loop BB6_13362 Depth 4
                                        ;           Child Loop BB6_13363 Depth 5
                                        ;         Child Loop BB6_13401 Depth 4
                                        ;         Child Loop BB6_13420 Depth 4
                                        ;       Child Loop BB6_13438 Depth 3
                                        ;         Child Loop BB6_13444 Depth 4
                                        ;         Child Loop BB6_13472 Depth 4
	;; [unrolled: 1-line block ×3, first 2 shown]
                                        ;     Child Loop BB6_13517 Depth 2
                                        ;       Child Loop BB6_13525 Depth 3
                                        ;       Child Loop BB6_13549 Depth 3
	;; [unrolled: 1-line block ×9, first 2 shown]
                                        ;     Child Loop BB6_13657 Depth 2
                                        ;       Child Loop BB6_13663 Depth 3
                                        ;       Child Loop BB6_13687 Depth 3
                                        ;       Child Loop BB6_13710 Depth 3
	v_sub_co_u32_e32 v0, vcc, v5, v9
	buffer_store_dword v9, off, s[0:3], s33 offset:500 ; 4-byte Folded Spill
	s_nop 0
	buffer_store_dword v10, off, s[0:3], s33 offset:504 ; 4-byte Folded Spill
	v_subb_co_u32_e32 v1, vcc, v6, v10, vcc
	buffer_store_dword v0, off, s[0:3], s33 offset:464 ; 4-byte Folded Spill
	s_nop 0
	buffer_store_dword v1, off, s[0:3], s33 offset:468 ; 4-byte Folded Spill
	v_cmp_lt_i64_e32 vcc, v[0:1], v[11:12]
	s_and_saveexec_b64 s[28:29], vcc
	s_cbranch_execz .LBB6_53
; %bb.48:                               ;   in Loop: Header=BB6_47 Depth=1
	buffer_load_dword v2, off, s[0:3], s33 offset:464 ; 4-byte Folded Reload
	buffer_load_dword v3, off, s[0:3], s33 offset:468 ; 4-byte Folded Reload
	v_readlane_b32 s26, v62, 7
	v_mov_b32_e32 v0, s26
	v_readlane_b32 s26, v62, 6
	s_waitcnt vmcnt(0)
	v_add_co_u32_e32 v2, vcc, s26, v2
	s_waitcnt vmcnt(0)
	v_addc_co_u32_e32 v3, vcc, v0, v3, vcc
	v_or_b32_e32 v1, s67, v3
	v_mov_b32_e32 v0, v34
	v_cmp_ne_u64_e32 vcc, 0, v[0:1]
                                        ; implicit-def: $vgpr0_vgpr1
	s_and_saveexec_b64 s[26:27], vcc
	s_xor_b64 s[40:41], exec, s[26:27]
	s_cbranch_execz .LBB6_50
; %bb.49:                               ;   in Loop: Header=BB6_47 Depth=1
	s_ashr_i32 s42, s67, 31
	s_add_u32 s26, s66, s42
	s_mov_b32 s43, s42
	s_addc_u32 s27, s67, s42
	s_xor_b64 s[90:91], s[26:27], s[42:43]
	v_cvt_f32_u32_e32 v0, s90
	v_cvt_f32_u32_e32 v1, s91
	s_sub_u32 s43, 0, s90
	s_subb_u32 s47, 0, s91
	v_ashrrev_i32_e32 v4, 31, v3
	v_mac_f32_e32 v0, 0x4f800000, v1
	v_rcp_f32_e32 v0, v0
	v_mul_f32_e32 v0, 0x5f7ffffc, v0
	v_mul_f32_e32 v1, 0x2f800000, v0
	v_trunc_f32_e32 v1, v1
	v_mac_f32_e32 v0, 0xcf800000, v1
	v_cvt_u32_f32_e32 v1, v1
	v_cvt_u32_f32_e32 v0, v0
	v_readfirstlane_b32 s92, v1
	v_readfirstlane_b32 s26, v0
	s_mul_i32 s27, s43, s92
	s_mul_hi_u32 s94, s43, s26
	s_mul_i32 s93, s47, s26
	s_add_i32 s27, s94, s27
	s_add_i32 s27, s27, s93
	s_mul_i32 s95, s43, s26
	s_mul_i32 s94, s26, s27
	s_mul_hi_u32 vcc_lo, s26, s95
	s_mul_hi_u32 s93, s26, s27
	s_add_u32 s94, vcc_lo, s94
	s_addc_u32 s93, 0, s93
	s_mul_hi_u32 vcc_hi, s92, s95
	s_mul_i32 s95, s92, s95
	s_add_u32 s94, s94, s95
	s_mul_hi_u32 vcc_lo, s92, s27
	s_addc_u32 s93, s93, vcc_hi
	s_addc_u32 s94, vcc_lo, 0
	s_mul_i32 s27, s92, s27
	s_add_u32 s27, s93, s27
	s_addc_u32 s93, 0, s94
	s_add_u32 s94, s26, s27
	s_cselect_b64 s[26:27], -1, 0
	s_cmp_lg_u64 s[26:27], 0
	s_addc_u32 s92, s92, s93
	s_mul_i32 s26, s43, s92
	s_mul_hi_u32 s27, s43, s94
	s_add_i32 s26, s27, s26
	s_mul_i32 s47, s47, s94
	s_add_i32 s26, s26, s47
	s_mul_i32 s43, s43, s94
	s_mul_hi_u32 s47, s92, s43
	s_mul_i32 s93, s92, s43
	s_mul_i32 vcc_lo, s94, s26
	s_mul_hi_u32 s43, s94, s43
	s_mul_hi_u32 s95, s94, s26
	s_add_u32 s43, s43, vcc_lo
	s_addc_u32 s95, 0, s95
	s_add_u32 s43, s43, s93
	s_mul_hi_u32 s27, s92, s26
	s_addc_u32 s43, s95, s47
	s_addc_u32 s27, s27, 0
	s_mul_i32 s26, s92, s26
	s_add_u32 s26, s43, s26
	s_addc_u32 s43, 0, s27
	s_add_u32 s47, s94, s26
	s_cselect_b64 s[26:27], -1, 0
	s_cmp_lg_u64 s[26:27], 0
	v_add_co_u32_e32 v0, vcc, v2, v4
	s_addc_u32 s43, s92, s43
	v_xor_b32_e32 v5, v0, v4
	v_addc_co_u32_e32 v2, vcc, v3, v4, vcc
	v_mad_u64_u32 v[0:1], s[26:27], v5, s43, 0
	v_mul_hi_u32 v3, v5, s47
	v_xor_b32_e32 v6, v2, v4
	v_add_co_u32_e32 v7, vcc, v3, v0
	v_addc_co_u32_e32 v8, vcc, 0, v1, vcc
	v_mad_u64_u32 v[0:1], s[26:27], v6, s47, 0
	v_mad_u64_u32 v[2:3], s[26:27], v6, s43, 0
	v_add_co_u32_e32 v0, vcc, v7, v0
	v_addc_co_u32_e32 v0, vcc, v8, v1, vcc
	v_addc_co_u32_e32 v1, vcc, 0, v3, vcc
	v_add_co_u32_e32 v2, vcc, v0, v2
	v_addc_co_u32_e32 v3, vcc, 0, v1, vcc
	v_mul_lo_u32 v7, s91, v2
	v_mul_lo_u32 v8, s90, v3
	v_mad_u64_u32 v[0:1], s[26:27], s90, v2, 0
	v_add3_u32 v1, v1, v8, v7
	v_sub_u32_e32 v7, v6, v1
	v_mov_b32_e32 v8, s91
	v_sub_co_u32_e32 v0, vcc, v5, v0
	v_subb_co_u32_e64 v5, s[26:27], v7, v8, vcc
	v_subrev_co_u32_e64 v7, s[26:27], s90, v0
	v_subbrev_co_u32_e64 v5, s[26:27], 0, v5, s[26:27]
	v_cmp_le_u32_e64 s[26:27], s91, v5
	v_cndmask_b32_e64 v8, 0, -1, s[26:27]
	v_cmp_le_u32_e64 s[26:27], s90, v7
	v_cndmask_b32_e64 v7, 0, -1, s[26:27]
	v_cmp_eq_u32_e64 s[26:27], s91, v5
	v_cndmask_b32_e64 v5, v8, v7, s[26:27]
	v_add_co_u32_e64 v7, s[26:27], 2, v2
	v_subb_co_u32_e32 v1, vcc, v6, v1, vcc
	v_addc_co_u32_e64 v8, s[26:27], 0, v3, s[26:27]
	v_cmp_le_u32_e32 vcc, s91, v1
	v_add_co_u32_e64 v9, s[26:27], 1, v2
	v_cndmask_b32_e64 v6, 0, -1, vcc
	v_cmp_le_u32_e32 vcc, s90, v0
	v_addc_co_u32_e64 v10, s[26:27], 0, v3, s[26:27]
	v_cndmask_b32_e64 v0, 0, -1, vcc
	v_cmp_eq_u32_e32 vcc, s91, v1
	v_cmp_ne_u32_e64 s[26:27], 0, v5
	v_cndmask_b32_e32 v0, v6, v0, vcc
	v_cndmask_b32_e64 v5, v10, v8, s[26:27]
	v_cmp_ne_u32_e32 vcc, 0, v0
	v_cndmask_b32_e64 v1, v9, v7, s[26:27]
	v_cndmask_b32_e32 v0, v3, v5, vcc
	v_cndmask_b32_e32 v1, v2, v1, vcc
	v_xor_b32_e32 v2, s42, v4
	v_xor_b32_e32 v3, v0, v2
	;; [unrolled: 1-line block ×3, first 2 shown]
	v_sub_co_u32_e32 v0, vcc, v0, v2
	v_subb_co_u32_e32 v1, vcc, v3, v2, vcc
                                        ; implicit-def: $vgpr2
.LBB6_50:                               ;   in Loop: Header=BB6_47 Depth=1
	s_andn2_saveexec_b64 s[40:41], s[40:41]
	s_cbranch_execz .LBB6_52
; %bb.51:                               ;   in Loop: Header=BB6_47 Depth=1
	v_cvt_f32_u32_e32 v0, s66
	s_sub_i32 s26, 0, s66
	v_rcp_iflag_f32_e32 v0, v0
	v_mul_f32_e32 v0, 0x4f7ffffe, v0
	v_cvt_u32_f32_e32 v0, v0
	v_mul_lo_u32 v1, s26, v0
	v_mul_hi_u32 v1, v0, v1
	v_add_u32_e32 v0, v0, v1
	v_mul_hi_u32 v0, v2, v0
	v_mul_lo_u32 v1, v0, s66
	v_sub_u32_e32 v1, v2, v1
	v_cmp_le_u32_e32 vcc, s66, v1
	v_subrev_u32_e32 v2, s66, v1
	v_cndmask_b32_e32 v1, v1, v2, vcc
	v_cmp_le_u32_e64 s[26:27], s66, v1
	v_add_u32_e32 v1, 1, v0
	v_cndmask_b32_e32 v0, v0, v1, vcc
	v_add_u32_e32 v1, 1, v0
	v_cndmask_b32_e64 v0, v0, v1, s[26:27]
	v_mov_b32_e32 v1, v34
.LBB6_52:                               ;   in Loop: Header=BB6_47 Depth=1
	s_or_b64 exec, exec, s[40:41]
	v_add_co_u32_e32 v0, vcc, 15, v0
	v_addc_co_u32_e32 v1, vcc, 0, v1, vcc
	v_and_b32_e32 v0, -16, v0
	buffer_store_dword v0, off, s[0:3], s33 offset:472 ; 4-byte Folded Spill
	s_nop 0
	buffer_store_dword v1, off, s[0:3], s33 offset:476 ; 4-byte Folded Spill
.LBB6_53:                               ;   in Loop: Header=BB6_47 Depth=1
	s_or_b64 exec, exec, s[28:29]
	buffer_load_dword v6, off, s[0:3], s33 offset:472 ; 4-byte Folded Reload
	buffer_load_dword v7, off, s[0:3], s33 offset:476 ; 4-byte Folded Reload
	v_readlane_b32 s26, v62, 8
	v_mov_b32_e32 v13, 0
	s_waitcnt vmcnt(0)
	v_mul_lo_u32 v1, v6, s26
	s_waitcnt vmcnt(0)
	v_mul_lo_u32 v0, v7, s86
	v_mad_u64_u32 v[4:5], s[26:27], v6, s86, 0
	v_add3_u32 v5, v5, v1, v0
	buffer_load_dword v0, off, s[0:3], s33 offset:528 ; 4-byte Folded Reload
	buffer_load_dword v1, off, s[0:3], s33 offset:532 ; 4-byte Folded Reload
	;; [unrolled: 1-line block ×4, first 2 shown]
	s_waitcnt vmcnt(0)
	v_add_co_u32_e32 v0, vcc, v2, v0
	buffer_store_dword v0, off, s[0:3], s33 offset:368 ; 4-byte Folded Spill
	s_waitcnt vmcnt(1)
	v_addc_co_u32_e32 v0, vcc, v3, v1, vcc
	buffer_store_dword v0, off, s[0:3], s33 offset:372 ; 4-byte Folded Spill
	buffer_load_dword v0, off, s[0:3], s33 offset:464 ; 4-byte Folded Reload
	s_nop 0
	buffer_load_dword v1, off, s[0:3], s33 offset:468 ; 4-byte Folded Reload
	s_waitcnt vmcnt(0)
	v_sub_co_u32_e32 v0, vcc, v0, v4
	s_waitcnt vmcnt(0)
	v_subb_co_u32_e32 v1, vcc, v1, v5, vcc
	v_cmp_lt_i64_e32 vcc, v[6:7], v[0:1]
	v_mov_b32_e32 v1, 0
	v_cndmask_b32_e32 v2, v0, v6, vcc
	v_max_i32_e32 v12, 0, v2
	v_add_u32_e32 v0, 31, v12
	v_lshrrev_b32_e32 v0, 1, v0
	v_and_b32_e32 v0, 0x3ffffff0, v0
	v_cmp_lt_i32_e32 vcc, 0, v2
	v_max_i32_e32 v0, s96, v0
	s_and_b64 s[26:27], s[74:75], vcc
	s_and_saveexec_b64 s[28:29], s[26:27]
	s_cbranch_execz .LBB6_195
; %bb.54:                               ;   in Loop: Header=BB6_47 Depth=1
	s_mov_b32 s64, 1
	s_mov_b64 s[42:43], -1
	v_mov_b32_e32 v13, 0
	s_mov_b64 s[40:41], 0
	s_branch .LBB6_57
.LBB6_55:                               ;   in Loop: Header=BB6_57 Depth=2
	s_or_b64 exec, exec, s[90:91]
	buffer_load_dword v6, off, s[0:3], s33 offset:84 ; 4-byte Folded Reload
	buffer_load_dword v7, off, s[0:3], s33 offset:88 ; 4-byte Folded Reload
	;; [unrolled: 1-line block ×4, first 2 shown]
	s_waitcnt vmcnt(0)
	v_add_co_u32_e32 v6, vcc, 2, v6
	v_addc_co_u32_e32 v7, vcc, 0, v7, vcc
	buffer_store_dword v6, off, s[0:3], s33 offset:84 ; 4-byte Folded Spill
	s_nop 0
	buffer_store_dword v7, off, s[0:3], s33 offset:88 ; 4-byte Folded Spill
	flat_store_dwordx2 v[1:2], v[6:7]
.LBB6_56:                               ;   in Loop: Header=BB6_57 Depth=2
	s_or_b64 exec, exec, s[26:27]
	v_add_u32_e32 v13, v0, v13
	v_cmp_ge_i32_e32 vcc, v13, v12
	s_xor_b64 s[26:27], s[42:43], -1
	s_or_b64 s[26:27], s[26:27], vcc
	s_and_b64 s[26:27], exec, s[26:27]
	s_or_b64 s[40:41], s[26:27], s[40:41]
	s_mov_b64 s[42:43], 0
	v_mov_b32_e32 v1, s64
	s_mov_b32 s64, 2
	s_andn2_b64 exec, exec, s[40:41]
	s_cbranch_execz .LBB6_194
.LBB6_57:                               ;   Parent Loop BB6_47 Depth=1
                                        ; =>  This Loop Header: Depth=2
                                        ;       Child Loop BB6_65 Depth 3
                                        ;       Child Loop BB6_89 Depth 3
	;; [unrolled: 1-line block ×9, first 2 shown]
	s_and_saveexec_b64 s[26:27], s[4:5]
	s_cbranch_execz .LBB6_59
; %bb.58:                               ;   in Loop: Header=BB6_57 Depth=2
	s_trap 2
	buffer_load_dword v3, off, s[0:3], s33 offset:368 ; 4-byte Folded Reload
	ds_read_b64 v[1:2], v0
	s_waitcnt vmcnt(0) lgkmcnt(0)
	v_add_co_u32_e32 v1, vcc, v1, v3
	buffer_load_dword v3, off, s[0:3], s33 offset:372 ; 4-byte Folded Reload
	s_waitcnt vmcnt(0)
	v_addc_co_u32_e32 v2, vcc, v2, v3, vcc
	v_add_co_u32_e32 v1, vcc, v1, v4
	v_addc_co_u32_e32 v2, vcc, v2, v5, vcc
	v_ashrrev_i32_e32 v3, 31, v13
	v_add_co_u32_e32 v1, vcc, v1, v13
	v_addc_co_u32_e32 v2, vcc, v2, v3, vcc
	ds_write_b64 v0, v[1:2]
	v_mov_b32_e32 v1, v34
	v_mov_b32_e32 v2, v34
	ds_write_b64 v0, v[1:2]
.LBB6_59:                               ;   in Loop: Header=BB6_57 Depth=2
	s_or_b64 exec, exec, s[26:27]
	v_sub_u32_e32 v1, v12, v13
	v_min_i32_e32 v0, v0, v1
	buffer_load_dword v1, off, s[0:3], s33 offset:72 ; 4-byte Folded Reload
	s_waitcnt vmcnt(0)
	v_and_b32_e32 v1, 8, v1
	v_cmp_ne_u32_e32 vcc, 0, v1
	s_and_saveexec_b64 s[90:91], vcc
	s_cbranch_execz .LBB6_81
; %bb.60:                               ;   in Loop: Header=BB6_57 Depth=2
	buffer_load_dword v1, off, s[0:3], s33 offset:56 ; 4-byte Folded Reload
	buffer_load_dword v2, off, s[0:3], s33 offset:60 ; 4-byte Folded Reload
	s_waitcnt vmcnt(0)
	v_add_co_u32_e32 v6, vcc, 8, v1
	s_waitcnt vmcnt(0)
	v_addc_co_u32_e32 v7, vcc, 0, v2, vcc
	buffer_load_dword v2, off, s[0:3], s33 offset:84 ; 4-byte Folded Reload
	buffer_load_dword v3, off, s[0:3], s33 offset:88 ; 4-byte Folded Reload
	s_waitcnt vmcnt(0)
	v_add_co_u32_e32 v2, vcc, 2, v2
	s_waitcnt vmcnt(0)
	v_addc_co_u32_e32 v3, vcc, 0, v3, vcc
	v_cmp_lt_u64_e32 vcc, v[6:7], v[2:3]
	s_and_saveexec_b64 s[92:93], vcc
	s_cbranch_execz .LBB6_72
; %bb.61:                               ;   in Loop: Header=BB6_57 Depth=2
	buffer_load_dword v1, off, s[0:3], s33 offset:72 ; 4-byte Folded Reload
	s_mov_b32 s65, 0
	s_mov_b64 s[94:95], 0
                                        ; implicit-def: $sgpr30_sgpr31
                                        ; implicit-def: $sgpr34_sgpr35
                                        ; implicit-def: $sgpr36_sgpr37
	s_waitcnt vmcnt(0)
	v_and_b32_e32 v1, 64, v1
	v_cmp_eq_u32_e32 vcc, 0, v1
	s_branch .LBB6_65
.LBB6_62:                               ;   in Loop: Header=BB6_65 Depth=3
	buffer_load_dword v6, off, s[0:3], s33 offset:56 ; 4-byte Folded Reload
	buffer_load_dword v7, off, s[0:3], s33 offset:60 ; 4-byte Folded Reload
	s_or_b64 s[50:51], s[50:51], exec
	s_waitcnt vmcnt(1)
	v_add_co_u32_e64 v6, s[26:27], 8, v6
	s_waitcnt vmcnt(0)
	v_addc_co_u32_e64 v7, s[26:27], 0, v7, s[26:27]
	v_cmp_ge_u64_e64 s[26:27], v[6:7], v[2:3]
	s_orn2_b64 s[48:49], s[26:27], exec
.LBB6_63:                               ;   in Loop: Header=BB6_65 Depth=3
	s_or_b64 exec, exec, s[54:55]
	s_andn2_b64 s[26:27], s[36:37], exec
	s_and_b64 s[36:37], s[50:51], exec
	s_or_b64 s[36:37], s[26:27], s[36:37]
	s_andn2_b64 s[26:27], s[34:35], exec
	s_and_b64 s[34:35], s[48:49], exec
	s_or_b64 s[34:35], s[26:27], s[34:35]
.LBB6_64:                               ;   in Loop: Header=BB6_65 Depth=3
	s_or_b64 exec, exec, s[38:39]
	s_and_b64 s[26:27], exec, s[34:35]
	s_or_b64 s[94:95], s[26:27], s[94:95]
	s_andn2_b64 s[26:27], s[30:31], exec
	s_and_b64 s[30:31], s[36:37], exec
	s_or_b64 s[30:31], s[26:27], s[30:31]
	s_andn2_b64 exec, exec, s[94:95]
	s_cbranch_execz .LBB6_69
.LBB6_65:                               ;   Parent Loop BB6_47 Depth=1
                                        ;     Parent Loop BB6_57 Depth=2
                                        ; =>    This Inner Loop Header: Depth=3
	s_sleep 1
	buffer_load_dword v6, off, s[0:3], s33 offset:64 ; 4-byte Folded Reload
	buffer_load_dword v7, off, s[0:3], s33 offset:68 ; 4-byte Folded Reload
	s_or_b64 s[36:37], s[36:37], exec
	s_or_b64 s[34:35], s[34:35], exec
                                        ; implicit-def: $vgpr1
	s_waitcnt vmcnt(0)
	flat_load_dwordx2 v[6:7], v[6:7] glc
	s_waitcnt vmcnt(0) lgkmcnt(0)
	buffer_store_dword v6, off, s[0:3], s33 offset:56 ; 4-byte Folded Spill
	s_nop 0
	buffer_store_dword v7, off, s[0:3], s33 offset:60 ; 4-byte Folded Spill
	s_and_saveexec_b64 s[38:39], vcc
	s_cbranch_execz .LBB6_64
; %bb.66:                               ;   in Loop: Header=BB6_65 Depth=3
	s_cmpk_lt_i32 s65, 0x270f
	s_cselect_b64 s[52:53], -1, 0
	s_cmpk_gt_i32 s65, 0x270e
	s_mov_b64 s[48:49], -1
	s_cbranch_scc0 .LBB6_68
; %bb.67:                               ;   in Loop: Header=BB6_65 Depth=3
	s_trap 2
	ds_read_b64 v[6:7], v0
	s_andn2_b64 s[52:53], s[52:53], exec
	s_mov_b32 s65, 0
	s_mov_b64 s[50:51], 0
	s_waitcnt vmcnt(0) lgkmcnt(0)
	flat_load_dword v1, v[6:7] glc
	s_waitcnt vmcnt(0) lgkmcnt(0)
	buffer_wbinvl1_vol
	v_cmp_eq_u32_e64 s[26:27], 0, v1
	s_and_b64 s[26:27], s[26:27], exec
	s_or_b64 s[52:53], s[52:53], s[26:27]
	s_and_saveexec_b64 s[54:55], s[52:53]
	s_cbranch_execz .LBB6_63
	s_branch .LBB6_62
.LBB6_68:                               ;   in Loop: Header=BB6_65 Depth=3
	s_add_i32 s65, s65, 1
	s_mov_b64 s[50:51], -1
                                        ; implicit-def: $vgpr1
	s_and_saveexec_b64 s[54:55], s[52:53]
	s_cbranch_execz .LBB6_63
	s_branch .LBB6_62
.LBB6_69:                               ;   in Loop: Header=BB6_57 Depth=2
	s_or_b64 exec, exec, s[94:95]
	s_xor_b64 s[26:27], s[30:31], -1
	s_and_saveexec_b64 s[94:95], s[26:27]
	s_xor_b64 s[26:27], exec, s[94:95]
	s_cbranch_execz .LBB6_71
; %bb.70:                               ;   in Loop: Header=BB6_57 Depth=2
	ds_write_b32 v0, v1
	s_trap 2
	buffer_load_dword v1, off, s[0:3], s33 offset:72 ; 4-byte Folded Reload
	s_waitcnt vmcnt(0)
	v_or_b32_e32 v1, 64, v1
	buffer_store_dword v1, off, s[0:3], s33 offset:72 ; 4-byte Folded Spill
.LBB6_71:                               ;   in Loop: Header=BB6_57 Depth=2
	s_or_b64 exec, exec, s[26:27]
.LBB6_72:                               ;   in Loop: Header=BB6_57 Depth=2
	s_or_b64 exec, exec, s[92:93]
	;;#ASMSTART
	s_wakeup
	;;#ASMEND
	buffer_load_dword v1, off, s[0:3], s33 offset:72 ; 4-byte Folded Reload
	buffer_load_dword v6, off, s[0:3], s33 offset:84 ; 4-byte Folded Reload
	;; [unrolled: 1-line block ×3, first 2 shown]
	s_mov_b64 s[26:27], -1
	s_waitcnt vmcnt(0)
	v_and_b32_e32 v10, 7, v6
	v_and_b32_e32 v1, 0x100, v1
	v_cmp_ne_u32_e32 vcc, 0, v1
                                        ; implicit-def: $vgpr6_vgpr7
	s_and_saveexec_b64 s[92:93], vcc
	s_cbranch_execz .LBB6_76
; %bb.73:                               ;   in Loop: Header=BB6_57 Depth=2
	buffer_load_dword v6, off, s[0:3], s33 offset:292 ; 4-byte Folded Reload
	buffer_load_dword v7, off, s[0:3], s33 offset:296 ; 4-byte Folded Reload
	;; [unrolled: 1-line block ×4, first 2 shown]
	v_ashrrev_i32_e32 v1, 31, v0
	s_waitcnt vmcnt(0)
	v_mad_u64_u32 v[8:9], s[26:27], v10, 24, v[6:7]
	flat_load_dword v6, v[8:9]
	s_nop 0
	flat_store_dwordx2 v[8:9], v[0:1] offset:8
	s_waitcnt vmcnt(0) lgkmcnt(0)
	v_cmp_ne_u32_e32 vcc, 1, v6
	v_cmp_eq_u32_e64 s[26:27], 1, v6
                                        ; implicit-def: $vgpr6_vgpr7
	s_and_saveexec_b64 s[94:95], s[26:27]
	s_cbranch_execz .LBB6_75
; %bb.74:                               ;   in Loop: Header=BB6_57 Depth=2
	flat_load_dword v6, v[8:9] offset:4 glc
	s_waitcnt vmcnt(0) lgkmcnt(0)
	v_ashrrev_i32_e32 v7, 31, v6
.LBB6_75:                               ;   in Loop: Header=BB6_57 Depth=2
	s_or_b64 exec, exec, s[94:95]
	s_orn2_b64 s[26:27], vcc, exec
.LBB6_76:                               ;   in Loop: Header=BB6_57 Depth=2
	s_or_b64 exec, exec, s[92:93]
	s_and_saveexec_b64 s[92:93], s[26:27]
	s_cbranch_execz .LBB6_78
; %bb.77:                               ;   in Loop: Header=BB6_57 Depth=2
	buffer_load_dword v1, off, s[0:3], s33 offset:324 ; 4-byte Folded Reload
	s_waitcnt vmcnt(0)
	v_mad_i64_i32 v[6:7], s[26:27], v10, v1, 0
.LBB6_78:                               ;   in Loop: Header=BB6_57 Depth=2
	s_or_b64 exec, exec, s[92:93]
	buffer_load_dword v8, off, s[0:3], s33 offset:284 ; 4-byte Folded Reload
	buffer_load_dword v9, off, s[0:3], s33 offset:288 ; 4-byte Folded Reload
	;; [unrolled: 1-line block ×3, first 2 shown]
	s_waitcnt vmcnt(0)
	v_add_co_u32_e32 v6, vcc, v8, v6
	s_waitcnt vmcnt(1)
	v_addc_co_u32_e32 v7, vcc, v9, v7, vcc
	s_waitcnt vmcnt(0)
	v_and_b32_e32 v1, 0x2000, v1
	v_cmp_ne_u32_e32 vcc, 0, v1
	ds_write_b64 v0, v[6:7] offset:784
	s_and_saveexec_b64 s[26:27], vcc
	s_cbranch_execz .LBB6_80
; %bb.79:                               ;   in Loop: Header=BB6_57 Depth=2
	ds_read_b64 v[6:7], v0 offset:872
	s_waitcnt lgkmcnt(0)
	v_add_co_u32_e32 v6, vcc, 1, v6
	v_addc_co_u32_e32 v7, vcc, 0, v7, vcc
	ds_write_b64 v0, v[6:7] offset:872
.LBB6_80:                               ;   in Loop: Header=BB6_57 Depth=2
	s_or_b64 exec, exec, s[26:27]
	buffer_store_dword v2, off, s[0:3], s33 offset:84 ; 4-byte Folded Spill
	s_nop 0
	buffer_store_dword v3, off, s[0:3], s33 offset:88 ; 4-byte Folded Spill
.LBB6_81:                               ;   in Loop: Header=BB6_57 Depth=2
	s_or_b64 exec, exec, s[90:91]
	s_and_saveexec_b64 s[26:27], s[10:11]
	s_cbranch_execz .LBB6_100
; %bb.82:                               ;   in Loop: Header=BB6_57 Depth=2
	s_and_saveexec_b64 s[90:91], s[58:59]
	s_xor_b64 s[90:91], exec, s[90:91]
	s_cbranch_execz .LBB6_97
; %bb.83:                               ;   in Loop: Header=BB6_57 Depth=2
	s_and_saveexec_b64 s[92:93], s[16:17]
	s_cbranch_execz .LBB6_96
; %bb.84:                               ;   in Loop: Header=BB6_57 Depth=2
	s_mov_b64 s[30:31], exec
	v_mbcnt_lo_u32_b32 v1, s30, 0
	v_mbcnt_hi_u32_b32 v1, s31, v1
	v_cmp_eq_u32_e32 vcc, 0, v1
	s_waitcnt vmcnt(0) lgkmcnt(0)
	buffer_wbinvl1_vol
	s_and_saveexec_b64 s[94:95], vcc
	s_cbranch_execz .LBB6_86
; %bb.85:                               ;   in Loop: Header=BB6_57 Depth=2
	s_bcnt1_i32_b64 s47, s[30:31]
	v_mov_b32_e32 v1, s47
	v_mov_b32_e32 v2, v34
	ds_add_u64 v0, v[1:2]
	s_trap 2
.LBB6_86:                               ;   in Loop: Header=BB6_57 Depth=2
	s_or_b64 exec, exec, s[94:95]
	s_trap 2
	ds_read_b64 v[1:2], v0
	s_waitcnt lgkmcnt(0)
	buffer_load_dword v6, off, s[0:3], s33 offset:76 ; 4-byte Folded Reload
	buffer_load_dword v7, off, s[0:3], s33 offset:80 ; 4-byte Folded Reload
	s_waitcnt vmcnt(1)
	v_add_co_u32_e32 v6, vcc, v6, v39
	s_waitcnt vmcnt(0)
	v_addc_co_u32_e32 v7, vcc, 0, v7, vcc
	buffer_store_dword v6, off, s[0:3], s33 offset:76 ; 4-byte Folded Spill
	s_nop 0
	buffer_store_dword v7, off, s[0:3], s33 offset:80 ; 4-byte Folded Spill
	v_cmp_lt_u64_e32 vcc, v[1:2], v[6:7]
	s_and_saveexec_b64 s[94:95], vcc
	s_cbranch_execz .LBB6_95
; %bb.87:                               ;   in Loop: Header=BB6_57 Depth=2
	s_mov_b32 s47, 0
	s_mov_b64 s[30:31], 0
                                        ; implicit-def: $sgpr34_sgpr35
                                        ; implicit-def: $sgpr36_sgpr37
	s_branch .LBB6_89
.LBB6_88:                               ;   in Loop: Header=BB6_89 Depth=3
	s_or_b64 exec, exec, s[48:49]
	s_and_b64 vcc, exec, vcc
	s_or_b64 s[30:31], vcc, s[30:31]
	s_andn2_b64 vcc, s[34:35], exec
	s_and_b64 s[34:35], s[36:37], exec
	s_or_b64 s[34:35], vcc, s[34:35]
	s_andn2_b64 exec, exec, s[30:31]
	s_cbranch_execz .LBB6_93
.LBB6_89:                               ;   Parent Loop BB6_47 Depth=1
                                        ;     Parent Loop BB6_57 Depth=2
                                        ; =>    This Inner Loop Header: Depth=3
	s_add_i32 s47, s47, 1
	s_cmpk_lg_i32 s47, 0x2710
	s_cselect_b64 s[38:39], -1, 0
	s_and_b64 vcc, exec, s[38:39]
	s_cbranch_vccz .LBB6_91
; %bb.90:                               ;   in Loop: Header=BB6_89 Depth=3
	s_mov_b64 vcc, -1
	s_or_b64 s[36:37], s[36:37], exec
	s_and_saveexec_b64 s[48:49], s[38:39]
	s_cbranch_execz .LBB6_88
	s_branch .LBB6_92
.LBB6_91:                               ;   in Loop: Header=BB6_89 Depth=3
	s_trap 2
	ds_read_b64 v[1:2], v0
	s_andn2_b64 s[38:39], s[38:39], exec
	s_mov_b32 s47, 0
	s_waitcnt vmcnt(0) lgkmcnt(0)
	flat_load_dword v1, v[1:2] glc
	s_waitcnt vmcnt(0) lgkmcnt(0)
	buffer_wbinvl1_vol
	v_cmp_eq_u32_e32 vcc, 0, v1
	s_and_b64 vcc, vcc, exec
	s_or_b64 s[38:39], s[38:39], vcc
	s_mov_b64 vcc, -1
	s_or_b64 s[36:37], s[36:37], exec
	s_and_saveexec_b64 s[48:49], s[38:39]
	s_cbranch_execz .LBB6_88
.LBB6_92:                               ;   in Loop: Header=BB6_89 Depth=3
	s_sleep 1
	s_trap 2
	ds_read_b64 v[1:2], v0
	s_waitcnt lgkmcnt(0)
	buffer_load_dword v6, off, s[0:3], s33 offset:76 ; 4-byte Folded Reload
	buffer_load_dword v7, off, s[0:3], s33 offset:80 ; 4-byte Folded Reload
	s_andn2_b64 s[36:37], s[36:37], exec
	s_waitcnt vmcnt(0)
	v_cmp_ge_u64_e32 vcc, v[1:2], v[6:7]
	s_orn2_b64 vcc, vcc, exec
	s_branch .LBB6_88
.LBB6_93:                               ;   in Loop: Header=BB6_57 Depth=2
	s_or_b64 exec, exec, s[30:31]
	s_and_saveexec_b64 vcc, s[34:35]
	s_xor_b64 vcc, exec, vcc
	s_cbranch_execz .LBB6_95
; %bb.94:                               ;   in Loop: Header=BB6_57 Depth=2
	v_mov_b32_e32 v1, 1
	ds_write_b32 v0, v1
	s_trap 2
.LBB6_95:                               ;   in Loop: Header=BB6_57 Depth=2
	s_or_b64 exec, exec, s[94:95]
	;;#ASMSTART
	s_wakeup
	;;#ASMEND
.LBB6_96:                               ;   in Loop: Header=BB6_57 Depth=2
	s_or_b64 exec, exec, s[92:93]
.LBB6_97:                               ;   in Loop: Header=BB6_57 Depth=2
	s_andn2_saveexec_b64 s[90:91], s[90:91]
	s_cbranch_execz .LBB6_99
; %bb.98:                               ;   in Loop: Header=BB6_57 Depth=2
	s_waitcnt vmcnt(0) lgkmcnt(0)
	buffer_wbinvl1_vol
	s_barrier
.LBB6_99:                               ;   in Loop: Header=BB6_57 Depth=2
	s_or_b64 exec, exec, s[90:91]
.LBB6_100:                              ;   in Loop: Header=BB6_57 Depth=2
	s_or_b64 exec, exec, s[26:27]
	s_trap 2
	buffer_load_dword v1, off, s[0:3], s33 offset:72 ; 4-byte Folded Reload
	ds_read_b32 v3, v0
	s_xor_b64 s[26:27], s[6:7], -1
	s_waitcnt vmcnt(0)
	v_and_b32_e32 v1, 0x4000, v1
	v_cmp_ne_u32_e32 vcc, 0, v1
	s_and_b64 s[90:91], s[26:27], vcc
	s_and_saveexec_b64 s[26:27], s[90:91]
	s_cbranch_execz .LBB6_119
; %bb.101:                              ;   in Loop: Header=BB6_57 Depth=2
	s_and_saveexec_b64 s[90:91], s[58:59]
	s_xor_b64 s[90:91], exec, s[90:91]
	s_cbranch_execz .LBB6_116
; %bb.102:                              ;   in Loop: Header=BB6_57 Depth=2
	s_and_saveexec_b64 s[92:93], s[16:17]
	s_cbranch_execz .LBB6_115
; %bb.103:                              ;   in Loop: Header=BB6_57 Depth=2
	s_mov_b64 s[30:31], exec
	v_mbcnt_lo_u32_b32 v1, s30, 0
	v_mbcnt_hi_u32_b32 v1, s31, v1
	v_cmp_eq_u32_e32 vcc, 0, v1
	s_waitcnt lgkmcnt(0)
	buffer_wbinvl1_vol
	s_and_saveexec_b64 s[94:95], vcc
	s_cbranch_execz .LBB6_105
; %bb.104:                              ;   in Loop: Header=BB6_57 Depth=2
	s_bcnt1_i32_b64 s47, s[30:31]
	v_mov_b32_e32 v1, s47
	v_mov_b32_e32 v2, v34
	ds_add_u64 v0, v[1:2]
	s_trap 2
.LBB6_105:                              ;   in Loop: Header=BB6_57 Depth=2
	s_or_b64 exec, exec, s[94:95]
	s_trap 2
	ds_read_b64 v[1:2], v0
	s_waitcnt lgkmcnt(0)
	buffer_load_dword v6, off, s[0:3], s33 offset:76 ; 4-byte Folded Reload
	buffer_load_dword v7, off, s[0:3], s33 offset:80 ; 4-byte Folded Reload
	s_waitcnt vmcnt(1)
	v_add_co_u32_e32 v6, vcc, v6, v39
	s_waitcnt vmcnt(0)
	v_addc_co_u32_e32 v7, vcc, 0, v7, vcc
	buffer_store_dword v6, off, s[0:3], s33 offset:76 ; 4-byte Folded Spill
	s_nop 0
	buffer_store_dword v7, off, s[0:3], s33 offset:80 ; 4-byte Folded Spill
	v_cmp_lt_u64_e32 vcc, v[1:2], v[6:7]
	s_and_saveexec_b64 s[94:95], vcc
	s_cbranch_execz .LBB6_114
; %bb.106:                              ;   in Loop: Header=BB6_57 Depth=2
	s_mov_b32 s47, 0
	s_mov_b64 s[30:31], 0
                                        ; implicit-def: $sgpr34_sgpr35
                                        ; implicit-def: $sgpr36_sgpr37
	s_branch .LBB6_108
.LBB6_107:                              ;   in Loop: Header=BB6_108 Depth=3
	s_or_b64 exec, exec, s[48:49]
	s_and_b64 vcc, exec, vcc
	s_or_b64 s[30:31], vcc, s[30:31]
	s_andn2_b64 vcc, s[34:35], exec
	s_and_b64 s[34:35], s[36:37], exec
	s_or_b64 s[34:35], vcc, s[34:35]
	s_andn2_b64 exec, exec, s[30:31]
	s_cbranch_execz .LBB6_112
.LBB6_108:                              ;   Parent Loop BB6_47 Depth=1
                                        ;     Parent Loop BB6_57 Depth=2
                                        ; =>    This Inner Loop Header: Depth=3
	s_add_i32 s47, s47, 1
	s_cmpk_lg_i32 s47, 0x2710
	s_cselect_b64 s[38:39], -1, 0
	s_and_b64 vcc, exec, s[38:39]
	s_cbranch_vccz .LBB6_110
; %bb.109:                              ;   in Loop: Header=BB6_108 Depth=3
	s_mov_b64 vcc, -1
	s_or_b64 s[36:37], s[36:37], exec
	s_and_saveexec_b64 s[48:49], s[38:39]
	s_cbranch_execz .LBB6_107
	s_branch .LBB6_111
.LBB6_110:                              ;   in Loop: Header=BB6_108 Depth=3
	s_trap 2
	ds_read_b64 v[1:2], v0
	s_andn2_b64 s[38:39], s[38:39], exec
	s_mov_b32 s47, 0
	s_waitcnt vmcnt(0) lgkmcnt(0)
	flat_load_dword v1, v[1:2] glc
	s_waitcnt vmcnt(0) lgkmcnt(0)
	buffer_wbinvl1_vol
	v_cmp_eq_u32_e32 vcc, 0, v1
	s_and_b64 vcc, vcc, exec
	s_or_b64 s[38:39], s[38:39], vcc
	s_mov_b64 vcc, -1
	s_or_b64 s[36:37], s[36:37], exec
	s_and_saveexec_b64 s[48:49], s[38:39]
	s_cbranch_execz .LBB6_107
.LBB6_111:                              ;   in Loop: Header=BB6_108 Depth=3
	s_sleep 1
	s_trap 2
	ds_read_b64 v[1:2], v0
	s_waitcnt lgkmcnt(0)
	buffer_load_dword v6, off, s[0:3], s33 offset:76 ; 4-byte Folded Reload
	buffer_load_dword v7, off, s[0:3], s33 offset:80 ; 4-byte Folded Reload
	s_andn2_b64 s[36:37], s[36:37], exec
	s_waitcnt vmcnt(0)
	v_cmp_ge_u64_e32 vcc, v[1:2], v[6:7]
	s_orn2_b64 vcc, vcc, exec
	s_branch .LBB6_107
.LBB6_112:                              ;   in Loop: Header=BB6_57 Depth=2
	s_or_b64 exec, exec, s[30:31]
	s_and_saveexec_b64 vcc, s[34:35]
	s_xor_b64 vcc, exec, vcc
	s_cbranch_execz .LBB6_114
; %bb.113:                              ;   in Loop: Header=BB6_57 Depth=2
	v_mov_b32_e32 v1, 1
	ds_write_b32 v0, v1
	s_trap 2
.LBB6_114:                              ;   in Loop: Header=BB6_57 Depth=2
	s_or_b64 exec, exec, s[94:95]
	;;#ASMSTART
	s_wakeup
	;;#ASMEND
.LBB6_115:                              ;   in Loop: Header=BB6_57 Depth=2
	s_or_b64 exec, exec, s[92:93]
.LBB6_116:                              ;   in Loop: Header=BB6_57 Depth=2
	s_andn2_saveexec_b64 s[90:91], s[90:91]
	s_cbranch_execz .LBB6_118
; %bb.117:                              ;   in Loop: Header=BB6_57 Depth=2
	s_waitcnt vmcnt(0) lgkmcnt(0)
	buffer_wbinvl1_vol
	s_barrier
.LBB6_118:                              ;   in Loop: Header=BB6_57 Depth=2
	s_or_b64 exec, exec, s[90:91]
.LBB6_119:                              ;   in Loop: Header=BB6_57 Depth=2
	s_or_b64 exec, exec, s[26:27]
	s_trap 2
	ds_read_b64 v[1:2], v0
	s_waitcnt lgkmcnt(0)
	v_cmp_eq_u64_e32 vcc, 0, v[1:2]
	s_cbranch_vccnz .LBB6_127
; %bb.120:                              ;   in Loop: Header=BB6_57 Depth=2
	s_trap 2
	ds_read_b64 v[6:7], v0
	s_waitcnt lgkmcnt(0)
	v_cmp_eq_u64_e32 vcc, 0, v[6:7]
	s_cbranch_vccnz .LBB6_127
; %bb.121:                              ;   in Loop: Header=BB6_57 Depth=2
	s_mov_b64 s[26:27], -1
	s_and_saveexec_b64 s[90:91], s[18:19]
	s_cbranch_execz .LBB6_123
; %bb.122:                              ;   in Loop: Header=BB6_57 Depth=2
	ds_read_b32 v8, v0 offset:720
	s_waitcnt lgkmcnt(0)
	v_and_b32_e32 v8, 15, v8
	v_cmp_eq_u32_e32 vcc, 0, v8
	s_orn2_b64 s[26:27], vcc, exec
.LBB6_123:                              ;   in Loop: Header=BB6_57 Depth=2
	s_or_b64 exec, exec, s[90:91]
	s_and_saveexec_b64 s[90:91], s[20:21]
	s_cbranch_execz .LBB6_125
; %bb.124:                              ;   in Loop: Header=BB6_57 Depth=2
	ds_read_b32 v8, v0 offset:784
	s_waitcnt lgkmcnt(0)
	v_and_b32_e32 v8, 15, v8
	v_cmp_eq_u32_e32 vcc, 0, v8
	s_and_b64 s[92:93], s[26:27], vcc
	s_andn2_b64 s[26:27], s[26:27], exec
	s_and_b64 s[92:93], s[92:93], exec
	s_or_b64 s[26:27], s[26:27], s[92:93]
.LBB6_125:                              ;   in Loop: Header=BB6_57 Depth=2
	s_or_b64 exec, exec, s[90:91]
	buffer_load_dword v10, off, s[0:3], s33 offset:348 ; 4-byte Folded Reload
	buffer_load_dword v16, off, s[0:3], s33 offset:320 ; 4-byte Folded Reload
	v_cmp_eq_u32_e32 vcc, 0, v3
	s_xor_b64 s[26:27], s[26:27], -1
	v_cndmask_b32_e32 v3, 0, v0, vcc
	v_cndmask_b32_e64 v8, 0, 1, s[26:27]
	s_mov_b64 s[92:93], -1
	v_cmp_ne_u32_e32 vcc, 0, v8
	v_mov_b32_e32 v8, 0
	v_mov_b32_e32 v9, v3
	s_cbranch_vccz .LBB6_133
; %bb.126:                              ;   in Loop: Header=BB6_57 Depth=2
	s_and_saveexec_b64 s[26:27], s[92:93]
	s_cbranch_execnz .LBB6_146
	s_branch .LBB6_154
.LBB6_127:                              ;   in Loop: Header=BB6_57 Depth=2
	s_mov_b64 s[26:27], 0
	s_and_saveexec_b64 s[90:91], s[10:11]
	s_cbranch_execnz .LBB6_155
.LBB6_128:                              ;   in Loop: Header=BB6_57 Depth=2
	s_or_b64 exec, exec, s[90:91]
                                        ; implicit-def: $vgpr1
	s_and_saveexec_b64 s[90:91], s[24:25]
	s_xor_b64 s[90:91], exec, s[90:91]
	s_cbranch_execz .LBB6_173
.LBB6_129:                              ;   in Loop: Header=BB6_57 Depth=2
	buffer_load_dword v2, off, s[0:3], s33 offset:72 ; 4-byte Folded Reload
	s_waitcnt vmcnt(0)
	v_and_b32_e32 v1, 16, v2
	v_and_b32_e32 v2, 16, v2
	v_cmp_ne_u32_e32 vcc, 0, v2
	s_and_b64 s[92:93], vcc, s[26:27]
	s_and_saveexec_b64 s[26:27], s[92:93]
	s_cbranch_execz .LBB6_131
; %bb.130:                              ;   in Loop: Header=BB6_57 Depth=2
	v_mov_b32_e32 v1, 1
	s_waitcnt lgkmcnt(0)
	buffer_wbinvl1_vol
.LBB6_131:                              ;   in Loop: Header=BB6_57 Depth=2
	s_or_b64 exec, exec, s[26:27]
	s_andn2_saveexec_b64 s[26:27], s[90:91]
	s_cbranch_execnz .LBB6_174
.LBB6_132:                              ;   in Loop: Header=BB6_57 Depth=2
	s_or_b64 exec, exec, s[26:27]
	v_cmp_ne_u32_e32 vcc, 0, v1
	s_and_saveexec_b64 s[26:27], vcc
	s_cbranch_execz .LBB6_56
	s_branch .LBB6_192
.LBB6_133:                              ;   in Loop: Header=BB6_57 Depth=2
	v_ashrrev_i32_e32 v8, 31, v3
	v_lshrrev_b32_e32 v8, 19, v8
	v_add_u32_e32 v8, v3, v8
	v_ashrrev_i32_e32 v15, 13, v8
	buffer_load_dword v8, off, s[0:3], s33 offset:320 ; 4-byte Folded Reload
	s_waitcnt vmcnt(0)
	v_sub_u32_e32 v14, v15, v8
	v_cmp_lt_i32_e32 vcc, 0, v14
	s_and_saveexec_b64 s[90:91], vcc
	s_cbranch_execz .LBB6_137
; %bb.134:                              ;   in Loop: Header=BB6_57 Depth=2
	buffer_load_dword v46, off, s[0:3], s33 offset:480 ; 4-byte Folded Reload
	buffer_load_dword v47, off, s[0:3], s33 offset:484 ; 4-byte Folded Reload
	;; [unrolled: 1-line block ×3, first 2 shown]
	v_mov_b32_e32 v9, v7
	v_mov_b32_e32 v11, v2
	s_mov_b64 s[92:93], 0
	v_mov_b32_e32 v8, v6
	v_mov_b32_e32 v10, v1
	;; [unrolled: 1-line block ×3, first 2 shown]
.LBB6_135:                              ;   Parent Loop BB6_47 Depth=1
                                        ;     Parent Loop BB6_57 Depth=2
                                        ; =>    This Inner Loop Header: Depth=3
	s_waitcnt vmcnt(1)
	v_add_co_u32_e32 v32, vcc, v47, v10
	s_waitcnt vmcnt(0)
	v_addc_co_u32_e32 v33, vcc, v56, v11, vcc
	global_load_dwordx4 v[16:19], v[32:33], off glc slc
	global_load_dwordx4 v[20:23], v[32:33], off offset:1024 glc slc
	global_load_dwordx4 v[24:27], v[32:33], off offset:2048 glc slc
	;; [unrolled: 1-line block ×3, first 2 shown]
	v_add_co_u32_e32 v32, vcc, s70, v32
	v_addc_co_u32_e32 v33, vcc, 0, v33, vcc
	global_load_dwordx4 v[35:38], v[32:33], off glc slc
	global_load_dwordx4 v[48:51], v[32:33], off offset:1024 glc slc
	global_load_dwordx4 v[52:55], v[32:33], off offset:2048 glc slc
	;; [unrolled: 1-line block ×3, first 2 shown]
	v_add_co_u32_e32 v32, vcc, v47, v8
	v_addc_co_u32_e32 v33, vcc, v56, v9, vcc
	v_add_co_u32_e32 v10, vcc, v10, v46
	v_addc_co_u32_e32 v11, vcc, 0, v11, vcc
	v_sub_u32_e32 v14, v14, v45
	v_add_co_u32_e32 v8, vcc, v8, v46
	v_addc_co_u32_e32 v9, vcc, 0, v9, vcc
	v_cmp_gt_i32_e64 s[26:27], 1, v14
	v_add_co_u32_e32 v43, vcc, s70, v32
	s_or_b64 s[92:93], s[26:27], s[92:93]
	v_addc_co_u32_e32 v44, vcc, 0, v33, vcc
	s_waitcnt vmcnt(7)
	global_store_dwordx4 v[32:33], v[16:19], off glc slc
	s_waitcnt vmcnt(7)
	global_store_dwordx4 v[32:33], v[20:23], off offset:1024 glc slc
	s_waitcnt vmcnt(7)
	global_store_dwordx4 v[32:33], v[24:27], off offset:2048 glc slc
	;; [unrolled: 2-line block ×3, first 2 shown]
	s_waitcnt vmcnt(7)
	global_store_dwordx4 v[43:44], v[35:38], off glc slc
	s_waitcnt vmcnt(7)
	global_store_dwordx4 v[43:44], v[48:51], off offset:1024 glc slc
	s_waitcnt vmcnt(7)
	global_store_dwordx4 v[43:44], v[52:55], off offset:2048 glc slc
	;; [unrolled: 2-line block ×3, first 2 shown]
	s_andn2_b64 exec, exec, s[92:93]
	s_cbranch_execnz .LBB6_135
; %bb.136:                              ;   in Loop: Header=BB6_57 Depth=2
	s_or_b64 exec, exec, s[92:93]
	v_mov_b32_e32 v39, v45
.LBB6_137:                              ;   in Loop: Header=BB6_57 Depth=2
	s_or_b64 exec, exec, s[90:91]
	v_lshlrev_b32_e32 v11, 13, v15
	v_cmp_ne_u32_e32 vcc, v3, v11
	s_mov_b64 s[92:93], 0
	v_mov_b32_e32 v8, 0
                                        ; implicit-def: $vgpr9
                                        ; implicit-def: $vgpr10
                                        ; implicit-def: $vgpr16
	s_and_saveexec_b64 s[90:91], vcc
	s_cbranch_execz .LBB6_145
; %bb.138:                              ;   in Loop: Header=BB6_57 Depth=2
	buffer_load_dword v9, off, s[0:3], s33 offset:460 ; 4-byte Folded Reload
	v_lshlrev_b32_e32 v8, 6, v14
	v_sub_u32_e32 v10, v3, v11
	v_ashrrev_i32_e32 v15, 31, v10
	v_lshrrev_b32_e32 v15, 22, v15
	v_add_u32_e32 v15, v10, v15
	v_ashrrev_i32_e32 v17, 10, v15
	v_and_b32_e32 v15, 0xfffffc00, v15
	v_sub_u32_e32 v18, v10, v15
	v_cmp_lt_i32_e32 vcc, 15, v18
	s_waitcnt vmcnt(0)
	v_sub_u32_e32 v8, v9, v8
	v_ashrrev_i32_e32 v9, 31, v8
	v_lshrrev_b32_e32 v9, 26, v9
	v_add_u32_e32 v9, v8, v9
	v_ashrrev_i32_e32 v16, 6, v9
	v_and_b32_e32 v9, 0xffffffc0, v9
	v_sub_u32_e32 v14, v8, v9
	v_lshlrev_b32_e32 v8, 4, v14
	v_lshl_add_u32 v9, v16, 10, v8
	v_sub_u32_e32 v8, v10, v9
	v_addc_co_u32_e64 v10, s[26:27], 0, v17, vcc
	v_sub_u32_e32 v17, v10, v16
	v_cmp_lt_i32_e64 s[26:27], 15, v8
	s_and_saveexec_b64 s[92:93], s[26:27]
	s_cbranch_execz .LBB6_142
; %bb.139:                              ;   in Loop: Header=BB6_57 Depth=2
	buffer_load_dword v16, off, s[0:3], s33 offset:316 ; 4-byte Folded Reload
	v_add_u32_e32 v9, v9, v11
	v_ashrrev_i32_e32 v10, 31, v9
	s_mov_b64 s[94:95], 0
.LBB6_140:                              ;   Parent Loop BB6_47 Depth=1
                                        ;     Parent Loop BB6_57 Depth=2
                                        ; =>    This Inner Loop Header: Depth=3
	v_add_co_u32_e64 v19, s[26:27], v1, v9
	v_addc_co_u32_e64 v20, s[26:27], v2, v10, s[26:27]
	global_load_dwordx4 v[19:22], v[19:20], off glc slc
	v_add_co_u32_e64 v23, s[26:27], v6, v9
	v_addc_co_u32_e64 v24, s[26:27], v7, v10, s[26:27]
	s_waitcnt vmcnt(1)
	v_add_co_u32_e64 v9, s[26:27], v9, v16
	v_sub_u32_e32 v8, v8, v16
	v_addc_co_u32_e64 v10, s[26:27], 0, v10, s[26:27]
	v_cmp_gt_i32_e64 s[26:27], 16, v8
	v_sub_u32_e32 v17, v17, v39
	s_or_b64 s[94:95], s[26:27], s[94:95]
	s_waitcnt vmcnt(0)
	global_store_dwordx4 v[23:24], v[19:22], off glc slc
	s_andn2_b64 exec, exec, s[94:95]
	s_cbranch_execnz .LBB6_140
; %bb.141:                              ;   in Loop: Header=BB6_57 Depth=2
	s_or_b64 exec, exec, s[94:95]
.LBB6_142:                              ;   in Loop: Header=BB6_57 Depth=2
	s_or_b64 exec, exec, s[92:93]
	v_and_b32_e32 v19, 15, v3
	v_cndmask_b32_e32 v9, v18, v19, vcc
	v_mov_b32_e32 v8, 0
	v_cmp_ne_u32_e64 s[26:27], 0, v9
	s_mov_b64 s[94:95], 0
                                        ; implicit-def: $vgpr10
                                        ; implicit-def: $vgpr16
	s_and_saveexec_b64 s[92:93], s[26:27]
	s_cbranch_execz .LBB6_144
; %bb.143:                              ;   in Loop: Header=BB6_57 Depth=2
	v_sub_u32_e32 v8, v18, v19
	v_cndmask_b32_e32 v8, 0, v8, vcc
	v_cmp_lt_i32_e32 vcc, 0, v17
	v_cndmask_b32_e32 v10, 0, v39, vcc
	v_sub_u32_e32 v10, v10, v17
	v_lshl_add_u32 v10, v10, 6, v14
	v_add3_u32 v8, v15, v11, v8
	v_ashrrev_i32_e32 v11, 31, v10
	v_lshrrev_b32_e32 v11, 26, v11
	v_add_u32_e32 v11, v10, v11
	v_ashrrev_i32_e32 v16, 6, v11
	s_mov_b64 s[94:95], exec
.LBB6_144:                              ;   in Loop: Header=BB6_57 Depth=2
	s_or_b64 exec, exec, s[92:93]
	s_and_b64 s[92:93], s[94:95], exec
.LBB6_145:                              ;   in Loop: Header=BB6_57 Depth=2
	s_or_b64 exec, exec, s[90:91]
	s_and_saveexec_b64 s[26:27], s[92:93]
	s_cbranch_execz .LBB6_154
.LBB6_146:                              ;   in Loop: Header=BB6_57 Depth=2
	v_ashrrev_i32_e32 v11, 31, v9
	v_lshrrev_b32_e32 v11, 21, v11
	v_add_u32_e32 v11, v9, v11
	v_ashrrev_i32_e32 v15, 11, v11
	s_waitcnt vmcnt(0)
	v_sub_u32_e32 v11, v15, v16
	v_ashrrev_i32_e32 v14, 31, v10
	v_cmp_lt_i32_e32 vcc, 0, v11
	v_lshrrev_b32_e32 v14, 26, v14
	s_and_saveexec_b64 s[90:91], vcc
	s_cbranch_execz .LBB6_150
; %bb.147:                              ;   in Loop: Header=BB6_57 Depth=2
	buffer_load_dword v46, off, s[0:3], s33 offset:272 ; 4-byte Folded Reload
	v_add_u32_e32 v17, v10, v14
	v_and_b32_e32 v17, 0xffffffc0, v17
	v_sub_u32_e32 v17, v10, v17
	v_lshlrev_b32_e32 v16, 11, v16
	v_add3_u32 v16, v8, v17, v16
	v_ashrrev_i32_e32 v17, 31, v16
	s_mov_b64 s[92:93], 0
	v_mov_b32_e32 v45, v39
.LBB6_148:                              ;   Parent Loop BB6_47 Depth=1
                                        ;     Parent Loop BB6_57 Depth=2
                                        ; =>    This Inner Loop Header: Depth=3
	v_add_co_u32_e32 v18, vcc, v16, v1
	v_addc_co_u32_e32 v19, vcc, v17, v2, vcc
	flat_load_ubyte v20, v[18:19] glc slc
	flat_load_ubyte v21, v[18:19] offset:64 glc slc
	flat_load_ubyte v22, v[18:19] offset:128 glc slc
	;; [unrolled: 1-line block ×31, first 2 shown]
	v_add_co_u32_e32 v18, vcc, v16, v6
	v_addc_co_u32_e32 v19, vcc, v17, v7, vcc
	s_waitcnt vmcnt(0)
	v_add_co_u32_e32 v1, vcc, v1, v46
	v_addc_co_u32_e32 v2, vcc, 0, v2, vcc
	v_add_co_u32_e32 v6, vcc, v6, v46
	v_sub_u32_e32 v11, v11, v45
	v_addc_co_u32_e32 v7, vcc, 0, v7, vcc
	v_cmp_gt_i32_e32 vcc, 1, v11
	s_or_b64 s[92:93], vcc, s[92:93]
	s_waitcnt lgkmcnt(0)
	flat_store_byte v[18:19], v20 glc slc
	flat_store_byte v[18:19], v21 offset:64 glc slc
	flat_store_byte v[18:19], v22 offset:128 glc slc
	;; [unrolled: 1-line block ×31, first 2 shown]
	s_andn2_b64 exec, exec, s[92:93]
	s_cbranch_execnz .LBB6_148
; %bb.149:                              ;   in Loop: Header=BB6_57 Depth=2
	s_or_b64 exec, exec, s[92:93]
	v_mov_b32_e32 v39, v45
.LBB6_150:                              ;   in Loop: Header=BB6_57 Depth=2
	s_or_b64 exec, exec, s[90:91]
	v_lshlrev_b32_e32 v1, 11, v15
	buffer_load_dword v15, off, s[0:3], s33 offset:276 ; 4-byte Folded Reload
	v_cmp_ne_u32_e32 vcc, v9, v1
	s_and_b64 s[90:91], exec, vcc
	s_mov_b64 exec, s[90:91]
	s_cbranch_execz .LBB6_154
; %bb.151:                              ;   in Loop: Header=BB6_57 Depth=2
	v_add_u32_e32 v2, v10, v14
	v_and_b32_e32 v2, 0xffffffc0, v2
	v_sub_u32_e32 v2, v10, v2
	v_lshlrev_b32_e32 v6, 6, v11
	v_sub_u32_e32 v2, v2, v6
	v_add_u32_e32 v1, v1, v2
	v_sub_u32_e32 v6, v9, v1
	v_cmp_lt_i32_e32 vcc, 0, v6
	s_and_b64 exec, exec, vcc
	s_cbranch_execz .LBB6_154
; %bb.152:                              ;   in Loop: Header=BB6_57 Depth=2
	v_add_u32_e32 v7, v1, v8
	s_trap 2
	ds_read_b64 v[1:2], v0
	v_ashrrev_i32_e32 v8, 31, v7
	s_mov_b64 s[90:91], 0
.LBB6_153:                              ;   Parent Loop BB6_47 Depth=1
                                        ;     Parent Loop BB6_57 Depth=2
                                        ; =>    This Inner Loop Header: Depth=3
	s_waitcnt lgkmcnt(0)
	v_add_co_u32_e32 v9, vcc, v1, v7
	v_addc_co_u32_e32 v10, vcc, v2, v8, vcc
	flat_load_ubyte v11, v[9:10] glc slc
	s_waitcnt vmcnt(0)
	v_add_co_u32_e32 v7, vcc, v7, v15
	v_sub_u32_e32 v6, v6, v15
	v_addc_co_u32_e32 v8, vcc, 0, v8, vcc
	v_cmp_gt_i32_e32 vcc, 1, v6
	s_or_b64 s[90:91], vcc, s[90:91]
	s_waitcnt lgkmcnt(0)
	flat_store_byte v[9:10], v11 glc slc
	s_andn2_b64 exec, exec, s[90:91]
	s_cbranch_execnz .LBB6_153
.LBB6_154:                              ;   in Loop: Header=BB6_57 Depth=2
	s_or_b64 exec, exec, s[26:27]
	v_cmp_lt_i32_e64 s[26:27], 0, v3
	s_and_saveexec_b64 s[90:91], s[10:11]
	s_cbranch_execz .LBB6_128
.LBB6_155:                              ;   in Loop: Header=BB6_57 Depth=2
	s_and_saveexec_b64 s[92:93], s[58:59]
	s_xor_b64 s[92:93], exec, s[92:93]
	s_cbranch_execz .LBB6_170
; %bb.156:                              ;   in Loop: Header=BB6_57 Depth=2
	s_and_saveexec_b64 s[94:95], s[16:17]
	s_cbranch_execz .LBB6_169
; %bb.157:                              ;   in Loop: Header=BB6_57 Depth=2
	s_mov_b64 s[34:35], exec
	v_mbcnt_lo_u32_b32 v1, s34, 0
	v_mbcnt_hi_u32_b32 v1, s35, v1
	v_cmp_eq_u32_e32 vcc, 0, v1
	s_waitcnt vmcnt(0) lgkmcnt(0)
	buffer_wbinvl1_vol
	s_and_saveexec_b64 s[30:31], vcc
	s_cbranch_execz .LBB6_159
; %bb.158:                              ;   in Loop: Header=BB6_57 Depth=2
	s_bcnt1_i32_b64 s47, s[34:35]
	v_mov_b32_e32 v1, s47
	v_mov_b32_e32 v2, v34
	ds_add_u64 v0, v[1:2]
	s_trap 2
.LBB6_159:                              ;   in Loop: Header=BB6_57 Depth=2
	s_or_b64 exec, exec, s[30:31]
	s_trap 2
	ds_read_b64 v[1:2], v0
	s_waitcnt lgkmcnt(0)
	buffer_load_dword v6, off, s[0:3], s33 offset:76 ; 4-byte Folded Reload
	buffer_load_dword v7, off, s[0:3], s33 offset:80 ; 4-byte Folded Reload
	s_waitcnt vmcnt(1)
	v_add_co_u32_e32 v6, vcc, v6, v39
	s_waitcnt vmcnt(0)
	v_addc_co_u32_e32 v7, vcc, 0, v7, vcc
	buffer_store_dword v6, off, s[0:3], s33 offset:76 ; 4-byte Folded Spill
	s_nop 0
	buffer_store_dword v7, off, s[0:3], s33 offset:80 ; 4-byte Folded Spill
	v_cmp_lt_u64_e32 vcc, v[1:2], v[6:7]
	s_and_saveexec_b64 s[30:31], vcc
	s_cbranch_execz .LBB6_168
; %bb.160:                              ;   in Loop: Header=BB6_57 Depth=2
	s_mov_b32 s47, 0
	s_mov_b64 s[34:35], 0
                                        ; implicit-def: $sgpr36_sgpr37
                                        ; implicit-def: $sgpr38_sgpr39
	s_branch .LBB6_162
.LBB6_161:                              ;   in Loop: Header=BB6_162 Depth=3
	s_or_b64 exec, exec, s[50:51]
	s_and_b64 vcc, exec, vcc
	s_or_b64 s[34:35], vcc, s[34:35]
	s_andn2_b64 vcc, s[36:37], exec
	s_and_b64 s[36:37], s[38:39], exec
	s_or_b64 s[36:37], vcc, s[36:37]
	s_andn2_b64 exec, exec, s[34:35]
	s_cbranch_execz .LBB6_166
.LBB6_162:                              ;   Parent Loop BB6_47 Depth=1
                                        ;     Parent Loop BB6_57 Depth=2
                                        ; =>    This Inner Loop Header: Depth=3
	s_add_i32 s47, s47, 1
	s_cmpk_lg_i32 s47, 0x2710
	s_cselect_b64 s[48:49], -1, 0
	s_and_b64 vcc, exec, s[48:49]
	s_cbranch_vccz .LBB6_164
; %bb.163:                              ;   in Loop: Header=BB6_162 Depth=3
	s_mov_b64 vcc, -1
	s_or_b64 s[38:39], s[38:39], exec
	s_and_saveexec_b64 s[50:51], s[48:49]
	s_cbranch_execz .LBB6_161
	s_branch .LBB6_165
.LBB6_164:                              ;   in Loop: Header=BB6_162 Depth=3
	s_trap 2
	ds_read_b64 v[1:2], v0
	s_andn2_b64 s[48:49], s[48:49], exec
	s_mov_b32 s47, 0
	s_waitcnt vmcnt(0) lgkmcnt(0)
	flat_load_dword v1, v[1:2] glc
	s_waitcnt vmcnt(0) lgkmcnt(0)
	buffer_wbinvl1_vol
	v_cmp_eq_u32_e32 vcc, 0, v1
	s_and_b64 vcc, vcc, exec
	s_or_b64 s[48:49], s[48:49], vcc
	s_mov_b64 vcc, -1
	s_or_b64 s[38:39], s[38:39], exec
	s_and_saveexec_b64 s[50:51], s[48:49]
	s_cbranch_execz .LBB6_161
.LBB6_165:                              ;   in Loop: Header=BB6_162 Depth=3
	s_sleep 1
	s_trap 2
	ds_read_b64 v[1:2], v0
	s_waitcnt lgkmcnt(0)
	buffer_load_dword v6, off, s[0:3], s33 offset:76 ; 4-byte Folded Reload
	buffer_load_dword v7, off, s[0:3], s33 offset:80 ; 4-byte Folded Reload
	s_andn2_b64 s[38:39], s[38:39], exec
	s_waitcnt vmcnt(0)
	v_cmp_ge_u64_e32 vcc, v[1:2], v[6:7]
	s_orn2_b64 vcc, vcc, exec
	s_branch .LBB6_161
.LBB6_166:                              ;   in Loop: Header=BB6_57 Depth=2
	s_or_b64 exec, exec, s[34:35]
	s_and_saveexec_b64 vcc, s[36:37]
	s_xor_b64 vcc, exec, vcc
	s_cbranch_execz .LBB6_168
; %bb.167:                              ;   in Loop: Header=BB6_57 Depth=2
	v_mov_b32_e32 v1, 1
	ds_write_b32 v0, v1
	s_trap 2
.LBB6_168:                              ;   in Loop: Header=BB6_57 Depth=2
	s_or_b64 exec, exec, s[30:31]
	;;#ASMSTART
	s_wakeup
	;;#ASMEND
.LBB6_169:                              ;   in Loop: Header=BB6_57 Depth=2
	s_or_b64 exec, exec, s[94:95]
.LBB6_170:                              ;   in Loop: Header=BB6_57 Depth=2
	s_andn2_saveexec_b64 s[92:93], s[92:93]
	s_cbranch_execz .LBB6_172
; %bb.171:                              ;   in Loop: Header=BB6_57 Depth=2
	s_waitcnt vmcnt(0) lgkmcnt(0)
	buffer_wbinvl1_vol
	s_barrier
.LBB6_172:                              ;   in Loop: Header=BB6_57 Depth=2
	s_or_b64 exec, exec, s[92:93]
	s_or_b64 exec, exec, s[90:91]
                                        ; implicit-def: $vgpr1
	s_and_saveexec_b64 s[90:91], s[24:25]
	s_xor_b64 s[90:91], exec, s[90:91]
	s_cbranch_execnz .LBB6_129
.LBB6_173:                              ;   in Loop: Header=BB6_57 Depth=2
	s_andn2_saveexec_b64 s[26:27], s[90:91]
	s_cbranch_execz .LBB6_132
.LBB6_174:                              ;   in Loop: Header=BB6_57 Depth=2
	s_and_saveexec_b64 s[90:91], s[58:59]
	s_xor_b64 s[90:91], exec, s[90:91]
	s_cbranch_execz .LBB6_189
; %bb.175:                              ;   in Loop: Header=BB6_57 Depth=2
	s_and_saveexec_b64 s[92:93], s[16:17]
	s_cbranch_execz .LBB6_188
; %bb.176:                              ;   in Loop: Header=BB6_57 Depth=2
	s_mov_b64 s[30:31], exec
	v_mbcnt_lo_u32_b32 v1, s30, 0
	v_mbcnt_hi_u32_b32 v1, s31, v1
	v_cmp_eq_u32_e32 vcc, 0, v1
	;;#ASMSTART
	s_waitcnt lgkmcnt(0) vmcnt(0)
	;;#ASMEND
	s_and_saveexec_b64 s[94:95], vcc
	s_cbranch_execz .LBB6_178
; %bb.177:                              ;   in Loop: Header=BB6_57 Depth=2
	s_bcnt1_i32_b64 s47, s[30:31]
	v_mov_b32_e32 v1, s47
	v_mov_b32_e32 v2, v34
	s_waitcnt lgkmcnt(0)
	ds_add_u64 v0, v[1:2]
	s_trap 2
.LBB6_178:                              ;   in Loop: Header=BB6_57 Depth=2
	s_or_b64 exec, exec, s[94:95]
	s_trap 2
	ds_read_b64 v[1:2], v0
	s_waitcnt lgkmcnt(0)
	buffer_load_dword v6, off, s[0:3], s33 offset:76 ; 4-byte Folded Reload
	buffer_load_dword v7, off, s[0:3], s33 offset:80 ; 4-byte Folded Reload
	s_waitcnt vmcnt(0)
	v_add_co_u32_e32 v6, vcc, v6, v39
	v_addc_co_u32_e32 v7, vcc, 0, v7, vcc
	buffer_store_dword v6, off, s[0:3], s33 offset:76 ; 4-byte Folded Spill
	s_nop 0
	buffer_store_dword v7, off, s[0:3], s33 offset:80 ; 4-byte Folded Spill
	v_cmp_lt_u64_e32 vcc, v[1:2], v[6:7]
	s_and_saveexec_b64 s[94:95], vcc
	s_cbranch_execz .LBB6_187
; %bb.179:                              ;   in Loop: Header=BB6_57 Depth=2
	s_mov_b32 s47, 0
	s_mov_b64 s[30:31], 0
                                        ; implicit-def: $sgpr34_sgpr35
                                        ; implicit-def: $sgpr36_sgpr37
	s_branch .LBB6_181
.LBB6_180:                              ;   in Loop: Header=BB6_181 Depth=3
	s_or_b64 exec, exec, s[48:49]
	s_and_b64 vcc, exec, vcc
	s_or_b64 s[30:31], vcc, s[30:31]
	s_andn2_b64 vcc, s[34:35], exec
	s_and_b64 s[34:35], s[36:37], exec
	s_or_b64 s[34:35], vcc, s[34:35]
	s_andn2_b64 exec, exec, s[30:31]
	s_cbranch_execz .LBB6_185
.LBB6_181:                              ;   Parent Loop BB6_47 Depth=1
                                        ;     Parent Loop BB6_57 Depth=2
                                        ; =>    This Inner Loop Header: Depth=3
	s_add_i32 s47, s47, 1
	s_cmpk_lg_i32 s47, 0x2710
	s_cselect_b64 s[38:39], -1, 0
	s_and_b64 vcc, exec, s[38:39]
	s_cbranch_vccz .LBB6_183
; %bb.182:                              ;   in Loop: Header=BB6_181 Depth=3
	s_mov_b64 vcc, -1
	s_or_b64 s[36:37], s[36:37], exec
	s_and_saveexec_b64 s[48:49], s[38:39]
	s_cbranch_execz .LBB6_180
	s_branch .LBB6_184
.LBB6_183:                              ;   in Loop: Header=BB6_181 Depth=3
	s_trap 2
	ds_read_b64 v[1:2], v0
	s_andn2_b64 s[38:39], s[38:39], exec
	s_mov_b32 s47, 0
	s_waitcnt vmcnt(0) lgkmcnt(0)
	flat_load_dword v1, v[1:2] glc
	s_waitcnt vmcnt(0) lgkmcnt(0)
	buffer_wbinvl1_vol
	v_cmp_eq_u32_e32 vcc, 0, v1
	s_and_b64 vcc, vcc, exec
	s_or_b64 s[38:39], s[38:39], vcc
	s_mov_b64 vcc, -1
	s_or_b64 s[36:37], s[36:37], exec
	s_and_saveexec_b64 s[48:49], s[38:39]
	s_cbranch_execz .LBB6_180
.LBB6_184:                              ;   in Loop: Header=BB6_181 Depth=3
	s_sleep 1
	s_trap 2
	ds_read_b64 v[1:2], v0
	s_waitcnt lgkmcnt(0)
	buffer_load_dword v6, off, s[0:3], s33 offset:76 ; 4-byte Folded Reload
	buffer_load_dword v7, off, s[0:3], s33 offset:80 ; 4-byte Folded Reload
	s_andn2_b64 s[36:37], s[36:37], exec
	s_waitcnt vmcnt(0)
	v_cmp_ge_u64_e32 vcc, v[1:2], v[6:7]
	s_orn2_b64 vcc, vcc, exec
	s_branch .LBB6_180
.LBB6_185:                              ;   in Loop: Header=BB6_57 Depth=2
	s_or_b64 exec, exec, s[30:31]
	s_and_saveexec_b64 vcc, s[34:35]
	s_xor_b64 vcc, exec, vcc
	s_cbranch_execz .LBB6_187
; %bb.186:                              ;   in Loop: Header=BB6_57 Depth=2
	v_mov_b32_e32 v1, 1
	ds_write_b32 v0, v1
	s_trap 2
.LBB6_187:                              ;   in Loop: Header=BB6_57 Depth=2
	s_or_b64 exec, exec, s[94:95]
	;;#ASMSTART
	s_wakeup
	;;#ASMEND
.LBB6_188:                              ;   in Loop: Header=BB6_57 Depth=2
	s_or_b64 exec, exec, s[92:93]
.LBB6_189:                              ;   in Loop: Header=BB6_57 Depth=2
	s_andn2_saveexec_b64 s[90:91], s[90:91]
	s_cbranch_execz .LBB6_191
; %bb.190:                              ;   in Loop: Header=BB6_57 Depth=2
	;;#ASMSTART
	s_waitcnt lgkmcnt(0) vmcnt(0)
	;;#ASMEND
	s_waitcnt vmcnt(0) lgkmcnt(0)
	s_barrier
.LBB6_191:                              ;   in Loop: Header=BB6_57 Depth=2
	s_or_b64 exec, exec, s[90:91]
	buffer_load_dword v1, off, s[0:3], s33 offset:72 ; 4-byte Folded Reload
	s_waitcnt vmcnt(0)
	v_and_b32_e32 v1, 16, v1
	s_or_b64 exec, exec, s[26:27]
	v_cmp_ne_u32_e32 vcc, 0, v1
	s_and_saveexec_b64 s[26:27], vcc
	s_cbranch_execz .LBB6_56
.LBB6_192:                              ;   in Loop: Header=BB6_57 Depth=2
	s_and_saveexec_b64 s[90:91], s[14:15]
	s_cbranch_execz .LBB6_55
; %bb.193:                              ;   in Loop: Header=BB6_57 Depth=2
	buffer_load_dword v1, off, s[0:3], s33 offset:308 ; 4-byte Folded Reload
	buffer_load_dword v2, off, s[0:3], s33 offset:312 ; 4-byte Folded Reload
	v_mov_b32_e32 v3, 1
	s_waitcnt vmcnt(0)
	flat_store_dword v[1:2], v3
	s_branch .LBB6_55
.LBB6_194:                              ;   in Loop: Header=BB6_47 Depth=1
	s_or_b64 exec, exec, s[40:41]
.LBB6_195:                              ;   in Loop: Header=BB6_47 Depth=1
	s_or_b64 exec, exec, s[28:29]
	v_cmp_gt_i32_e32 vcc, 2, v1
	s_and_saveexec_b64 s[28:29], vcc
	s_cbranch_execz .LBB6_267
; %bb.196:                              ;   in Loop: Header=BB6_47 Depth=1
	v_cmp_eq_u32_e64 s[42:43], 0, v1
	s_mov_b64 s[40:41], 0
	s_branch .LBB6_199
.LBB6_197:                              ;   in Loop: Header=BB6_199 Depth=2
	s_or_b64 exec, exec, s[42:43]
	buffer_load_dword v3, off, s[0:3], s33 offset:84 ; 4-byte Folded Reload
	buffer_load_dword v4, off, s[0:3], s33 offset:88 ; 4-byte Folded Reload
	;; [unrolled: 1-line block ×4, first 2 shown]
	s_waitcnt vmcnt(0)
	v_add_co_u32_e32 v3, vcc, 2, v3
	v_addc_co_u32_e32 v4, vcc, 0, v4, vcc
	buffer_store_dword v3, off, s[0:3], s33 offset:84 ; 4-byte Folded Spill
	s_nop 0
	buffer_store_dword v4, off, s[0:3], s33 offset:88 ; 4-byte Folded Spill
	flat_store_dwordx2 v[1:2], v[3:4]
.LBB6_198:                              ;   in Loop: Header=BB6_199 Depth=2
	s_or_b64 exec, exec, s[26:27]
	v_add_u32_e32 v13, v0, v13
	s_mov_b64 s[42:43], 0
	s_andn2_b64 exec, exec, s[40:41]
	s_cbranch_execz .LBB6_266
.LBB6_199:                              ;   Parent Loop BB6_47 Depth=1
                                        ; =>  This Loop Header: Depth=2
                                        ;       Child Loop BB6_205 Depth 3
                                        ;       Child Loop BB6_229 Depth 3
	;; [unrolled: 1-line block ×3, first 2 shown]
	v_sub_u32_e32 v1, v12, v13
	v_min_i32_e32 v0, v0, v1
	buffer_load_dword v1, off, s[0:3], s33 offset:72 ; 4-byte Folded Reload
	s_waitcnt vmcnt(0)
	v_and_b32_e32 v1, 8, v1
	v_cmp_ne_u32_e32 vcc, 0, v1
	s_and_saveexec_b64 s[90:91], vcc
	s_cbranch_execz .LBB6_221
; %bb.200:                              ;   in Loop: Header=BB6_199 Depth=2
	buffer_load_dword v1, off, s[0:3], s33 offset:56 ; 4-byte Folded Reload
	buffer_load_dword v2, off, s[0:3], s33 offset:60 ; 4-byte Folded Reload
	s_waitcnt vmcnt(0)
	v_add_co_u32_e32 v4, vcc, 8, v1
	v_addc_co_u32_e32 v5, vcc, 0, v2, vcc
	buffer_load_dword v2, off, s[0:3], s33 offset:84 ; 4-byte Folded Reload
	buffer_load_dword v3, off, s[0:3], s33 offset:88 ; 4-byte Folded Reload
	s_waitcnt vmcnt(0)
	v_add_co_u32_e32 v2, vcc, 2, v2
	v_addc_co_u32_e32 v3, vcc, 0, v3, vcc
	v_cmp_lt_u64_e32 vcc, v[4:5], v[2:3]
	s_and_saveexec_b64 s[92:93], vcc
	s_cbranch_execz .LBB6_212
; %bb.201:                              ;   in Loop: Header=BB6_199 Depth=2
	buffer_load_dword v1, off, s[0:3], s33 offset:72 ; 4-byte Folded Reload
	s_mov_b32 s64, 0
	s_mov_b64 s[94:95], 0
                                        ; implicit-def: $sgpr30_sgpr31
                                        ; implicit-def: $sgpr34_sgpr35
                                        ; implicit-def: $sgpr36_sgpr37
	s_waitcnt vmcnt(0)
	v_and_b32_e32 v1, 64, v1
	v_cmp_eq_u32_e32 vcc, 0, v1
	s_branch .LBB6_205
.LBB6_202:                              ;   in Loop: Header=BB6_205 Depth=3
	buffer_load_dword v4, off, s[0:3], s33 offset:56 ; 4-byte Folded Reload
	buffer_load_dword v5, off, s[0:3], s33 offset:60 ; 4-byte Folded Reload
	s_or_b64 s[50:51], s[50:51], exec
	s_waitcnt vmcnt(1)
	v_add_co_u32_e64 v4, s[26:27], 8, v4
	s_waitcnt vmcnt(0)
	v_addc_co_u32_e64 v5, s[26:27], 0, v5, s[26:27]
	v_cmp_ge_u64_e64 s[26:27], v[4:5], v[2:3]
	s_orn2_b64 s[48:49], s[26:27], exec
.LBB6_203:                              ;   in Loop: Header=BB6_205 Depth=3
	s_or_b64 exec, exec, s[54:55]
	s_andn2_b64 s[26:27], s[36:37], exec
	s_and_b64 s[36:37], s[50:51], exec
	s_or_b64 s[36:37], s[26:27], s[36:37]
	s_andn2_b64 s[26:27], s[34:35], exec
	s_and_b64 s[34:35], s[48:49], exec
	s_or_b64 s[34:35], s[26:27], s[34:35]
.LBB6_204:                              ;   in Loop: Header=BB6_205 Depth=3
	s_or_b64 exec, exec, s[38:39]
	s_and_b64 s[26:27], exec, s[34:35]
	s_or_b64 s[94:95], s[26:27], s[94:95]
	s_andn2_b64 s[26:27], s[30:31], exec
	s_and_b64 s[30:31], s[36:37], exec
	s_or_b64 s[30:31], s[26:27], s[30:31]
	s_andn2_b64 exec, exec, s[94:95]
	s_cbranch_execz .LBB6_209
.LBB6_205:                              ;   Parent Loop BB6_47 Depth=1
                                        ;     Parent Loop BB6_199 Depth=2
                                        ; =>    This Inner Loop Header: Depth=3
	s_sleep 1
	buffer_load_dword v4, off, s[0:3], s33 offset:64 ; 4-byte Folded Reload
	buffer_load_dword v5, off, s[0:3], s33 offset:68 ; 4-byte Folded Reload
	s_or_b64 s[36:37], s[36:37], exec
	s_or_b64 s[34:35], s[34:35], exec
                                        ; implicit-def: $vgpr1
	s_waitcnt vmcnt(0)
	flat_load_dwordx2 v[4:5], v[4:5] glc
	s_waitcnt vmcnt(0) lgkmcnt(0)
	buffer_store_dword v4, off, s[0:3], s33 offset:56 ; 4-byte Folded Spill
	s_nop 0
	buffer_store_dword v5, off, s[0:3], s33 offset:60 ; 4-byte Folded Spill
	s_and_saveexec_b64 s[38:39], vcc
	s_cbranch_execz .LBB6_204
; %bb.206:                              ;   in Loop: Header=BB6_205 Depth=3
	s_cmpk_lt_i32 s64, 0x270f
	s_cselect_b64 s[52:53], -1, 0
	s_cmpk_gt_i32 s64, 0x270e
	s_mov_b64 s[48:49], -1
	s_cbranch_scc0 .LBB6_208
; %bb.207:                              ;   in Loop: Header=BB6_205 Depth=3
	s_trap 2
	ds_read_b64 v[4:5], v0
	s_andn2_b64 s[52:53], s[52:53], exec
	s_mov_b32 s64, 0
	s_mov_b64 s[50:51], 0
	s_waitcnt vmcnt(0) lgkmcnt(0)
	flat_load_dword v1, v[4:5] glc
	s_waitcnt vmcnt(0) lgkmcnt(0)
	buffer_wbinvl1_vol
	v_cmp_eq_u32_e64 s[26:27], 0, v1
	s_and_b64 s[26:27], s[26:27], exec
	s_or_b64 s[52:53], s[52:53], s[26:27]
	s_and_saveexec_b64 s[54:55], s[52:53]
	s_cbranch_execz .LBB6_203
	s_branch .LBB6_202
.LBB6_208:                              ;   in Loop: Header=BB6_205 Depth=3
	s_add_i32 s64, s64, 1
	s_mov_b64 s[50:51], -1
                                        ; implicit-def: $vgpr1
	s_and_saveexec_b64 s[54:55], s[52:53]
	s_cbranch_execz .LBB6_203
	s_branch .LBB6_202
.LBB6_209:                              ;   in Loop: Header=BB6_199 Depth=2
	s_or_b64 exec, exec, s[94:95]
	s_xor_b64 s[26:27], s[30:31], -1
	s_and_saveexec_b64 s[94:95], s[26:27]
	s_xor_b64 s[26:27], exec, s[94:95]
	s_cbranch_execz .LBB6_211
; %bb.210:                              ;   in Loop: Header=BB6_199 Depth=2
	ds_write_b32 v0, v1
	s_trap 2
	buffer_load_dword v1, off, s[0:3], s33 offset:72 ; 4-byte Folded Reload
	s_waitcnt vmcnt(0)
	v_or_b32_e32 v1, 64, v1
	buffer_store_dword v1, off, s[0:3], s33 offset:72 ; 4-byte Folded Spill
.LBB6_211:                              ;   in Loop: Header=BB6_199 Depth=2
	s_or_b64 exec, exec, s[26:27]
.LBB6_212:                              ;   in Loop: Header=BB6_199 Depth=2
	s_or_b64 exec, exec, s[92:93]
	;;#ASMSTART
	s_wakeup
	;;#ASMEND
	buffer_load_dword v1, off, s[0:3], s33 offset:72 ; 4-byte Folded Reload
	buffer_load_dword v4, off, s[0:3], s33 offset:84 ; 4-byte Folded Reload
	;; [unrolled: 1-line block ×3, first 2 shown]
	s_mov_b64 s[26:27], -1
	s_waitcnt vmcnt(0)
	v_and_b32_e32 v8, 7, v4
	v_and_b32_e32 v1, 0x100, v1
	v_cmp_ne_u32_e32 vcc, 0, v1
                                        ; implicit-def: $vgpr4_vgpr5
	s_and_saveexec_b64 s[92:93], vcc
	s_cbranch_execz .LBB6_216
; %bb.213:                              ;   in Loop: Header=BB6_199 Depth=2
	buffer_load_dword v4, off, s[0:3], s33 offset:292 ; 4-byte Folded Reload
	buffer_load_dword v5, off, s[0:3], s33 offset:296 ; 4-byte Folded Reload
	;; [unrolled: 1-line block ×4, first 2 shown]
	v_ashrrev_i32_e32 v1, 31, v0
	s_waitcnt vmcnt(0)
	v_mad_u64_u32 v[6:7], s[26:27], v8, 24, v[4:5]
	flat_load_dword v4, v[6:7]
	s_nop 0
	flat_store_dwordx2 v[6:7], v[0:1] offset:8
	s_waitcnt vmcnt(0) lgkmcnt(0)
	v_cmp_ne_u32_e32 vcc, 1, v4
	v_cmp_eq_u32_e64 s[26:27], 1, v4
                                        ; implicit-def: $vgpr4_vgpr5
	s_and_saveexec_b64 s[94:95], s[26:27]
	s_cbranch_execz .LBB6_215
; %bb.214:                              ;   in Loop: Header=BB6_199 Depth=2
	flat_load_dword v4, v[6:7] offset:4 glc
	s_waitcnt vmcnt(0) lgkmcnt(0)
	v_ashrrev_i32_e32 v5, 31, v4
.LBB6_215:                              ;   in Loop: Header=BB6_199 Depth=2
	s_or_b64 exec, exec, s[94:95]
	s_orn2_b64 s[26:27], vcc, exec
.LBB6_216:                              ;   in Loop: Header=BB6_199 Depth=2
	s_or_b64 exec, exec, s[92:93]
	s_and_saveexec_b64 s[92:93], s[26:27]
	s_cbranch_execz .LBB6_218
; %bb.217:                              ;   in Loop: Header=BB6_199 Depth=2
	buffer_load_dword v1, off, s[0:3], s33 offset:324 ; 4-byte Folded Reload
	s_waitcnt vmcnt(0)
	v_mad_i64_i32 v[4:5], s[26:27], v8, v1, 0
.LBB6_218:                              ;   in Loop: Header=BB6_199 Depth=2
	s_or_b64 exec, exec, s[92:93]
	buffer_load_dword v6, off, s[0:3], s33 offset:284 ; 4-byte Folded Reload
	buffer_load_dword v7, off, s[0:3], s33 offset:288 ; 4-byte Folded Reload
	;; [unrolled: 1-line block ×3, first 2 shown]
	s_waitcnt vmcnt(0)
	v_add_co_u32_e32 v4, vcc, v6, v4
	v_addc_co_u32_e32 v5, vcc, v7, v5, vcc
	v_and_b32_e32 v1, 0x2000, v1
	v_cmp_ne_u32_e32 vcc, 0, v1
	ds_write_b64 v0, v[4:5] offset:784
	s_and_saveexec_b64 s[26:27], vcc
	s_cbranch_execz .LBB6_220
; %bb.219:                              ;   in Loop: Header=BB6_199 Depth=2
	ds_read_b64 v[4:5], v0 offset:872
	s_waitcnt lgkmcnt(0)
	v_add_co_u32_e32 v4, vcc, 1, v4
	v_addc_co_u32_e32 v5, vcc, 0, v5, vcc
	ds_write_b64 v0, v[4:5] offset:872
.LBB6_220:                              ;   in Loop: Header=BB6_199 Depth=2
	s_or_b64 exec, exec, s[26:27]
	buffer_store_dword v2, off, s[0:3], s33 offset:84 ; 4-byte Folded Spill
	s_nop 0
	buffer_store_dword v3, off, s[0:3], s33 offset:88 ; 4-byte Folded Spill
.LBB6_221:                              ;   in Loop: Header=BB6_199 Depth=2
	s_or_b64 exec, exec, s[90:91]
	s_xor_b64 s[26:27], s[42:43], -1
	s_and_b64 s[26:27], exec, s[26:27]
	s_or_b64 s[40:41], s[26:27], s[40:41]
	s_and_saveexec_b64 s[26:27], s[10:11]
	s_cbranch_execz .LBB6_240
; %bb.222:                              ;   in Loop: Header=BB6_199 Depth=2
	s_and_saveexec_b64 s[42:43], s[58:59]
	s_xor_b64 s[42:43], exec, s[42:43]
	s_cbranch_execz .LBB6_237
; %bb.223:                              ;   in Loop: Header=BB6_199 Depth=2
	s_and_saveexec_b64 s[90:91], s[16:17]
	s_cbranch_execz .LBB6_236
; %bb.224:                              ;   in Loop: Header=BB6_199 Depth=2
	s_mov_b64 s[94:95], exec
	v_mbcnt_lo_u32_b32 v1, s94, 0
	v_mbcnt_hi_u32_b32 v1, s95, v1
	v_cmp_eq_u32_e32 vcc, 0, v1
	s_waitcnt vmcnt(0) lgkmcnt(0)
	buffer_wbinvl1_vol
	s_and_saveexec_b64 s[92:93], vcc
	s_cbranch_execz .LBB6_226
; %bb.225:                              ;   in Loop: Header=BB6_199 Depth=2
	s_bcnt1_i32_b64 s47, s[94:95]
	v_mov_b32_e32 v1, s47
	v_mov_b32_e32 v2, v34
	ds_add_u64 v0, v[1:2]
	s_trap 2
.LBB6_226:                              ;   in Loop: Header=BB6_199 Depth=2
	s_or_b64 exec, exec, s[92:93]
	s_trap 2
	ds_read_b64 v[1:2], v0
	s_waitcnt lgkmcnt(0)
	buffer_load_dword v3, off, s[0:3], s33 offset:76 ; 4-byte Folded Reload
	buffer_load_dword v4, off, s[0:3], s33 offset:80 ; 4-byte Folded Reload
	s_waitcnt vmcnt(1)
	v_add_co_u32_e32 v3, vcc, v3, v39
	s_waitcnt vmcnt(0)
	v_addc_co_u32_e32 v4, vcc, 0, v4, vcc
	buffer_store_dword v3, off, s[0:3], s33 offset:76 ; 4-byte Folded Spill
	s_nop 0
	buffer_store_dword v4, off, s[0:3], s33 offset:80 ; 4-byte Folded Spill
	v_cmp_lt_u64_e32 vcc, v[1:2], v[3:4]
	s_and_saveexec_b64 s[92:93], vcc
	s_cbranch_execz .LBB6_235
; %bb.227:                              ;   in Loop: Header=BB6_199 Depth=2
	s_mov_b32 s47, 0
	s_mov_b64 s[94:95], 0
                                        ; implicit-def: $sgpr30_sgpr31
                                        ; implicit-def: $sgpr34_sgpr35
	s_branch .LBB6_229
.LBB6_228:                              ;   in Loop: Header=BB6_229 Depth=3
	s_or_b64 exec, exec, s[38:39]
	s_and_b64 vcc, exec, vcc
	s_or_b64 s[94:95], vcc, s[94:95]
	s_andn2_b64 vcc, s[30:31], exec
	s_and_b64 s[30:31], s[34:35], exec
	s_or_b64 s[30:31], vcc, s[30:31]
	s_andn2_b64 exec, exec, s[94:95]
	s_cbranch_execz .LBB6_233
.LBB6_229:                              ;   Parent Loop BB6_47 Depth=1
                                        ;     Parent Loop BB6_199 Depth=2
                                        ; =>    This Inner Loop Header: Depth=3
	s_add_i32 s47, s47, 1
	s_cmpk_lg_i32 s47, 0x2710
	s_cselect_b64 s[36:37], -1, 0
	s_and_b64 vcc, exec, s[36:37]
	s_cbranch_vccz .LBB6_231
; %bb.230:                              ;   in Loop: Header=BB6_229 Depth=3
	s_mov_b64 vcc, -1
	s_or_b64 s[34:35], s[34:35], exec
	s_and_saveexec_b64 s[38:39], s[36:37]
	s_cbranch_execz .LBB6_228
	s_branch .LBB6_232
.LBB6_231:                              ;   in Loop: Header=BB6_229 Depth=3
	s_trap 2
	ds_read_b64 v[1:2], v0
	s_andn2_b64 s[36:37], s[36:37], exec
	s_mov_b32 s47, 0
	s_waitcnt vmcnt(0) lgkmcnt(0)
	flat_load_dword v1, v[1:2] glc
	s_waitcnt vmcnt(0) lgkmcnt(0)
	buffer_wbinvl1_vol
	v_cmp_eq_u32_e32 vcc, 0, v1
	s_and_b64 vcc, vcc, exec
	s_or_b64 s[36:37], s[36:37], vcc
	s_mov_b64 vcc, -1
	s_or_b64 s[34:35], s[34:35], exec
	s_and_saveexec_b64 s[38:39], s[36:37]
	s_cbranch_execz .LBB6_228
.LBB6_232:                              ;   in Loop: Header=BB6_229 Depth=3
	s_sleep 1
	s_trap 2
	ds_read_b64 v[1:2], v0
	s_waitcnt lgkmcnt(0)
	buffer_load_dword v3, off, s[0:3], s33 offset:76 ; 4-byte Folded Reload
	buffer_load_dword v4, off, s[0:3], s33 offset:80 ; 4-byte Folded Reload
	s_andn2_b64 s[34:35], s[34:35], exec
	s_waitcnt vmcnt(0)
	v_cmp_ge_u64_e32 vcc, v[1:2], v[3:4]
	s_orn2_b64 vcc, vcc, exec
	s_branch .LBB6_228
.LBB6_233:                              ;   in Loop: Header=BB6_199 Depth=2
	s_or_b64 exec, exec, s[94:95]
	s_and_saveexec_b64 s[94:95], s[30:31]
	s_xor_b64 s[94:95], exec, s[94:95]
	s_cbranch_execz .LBB6_235
; %bb.234:                              ;   in Loop: Header=BB6_199 Depth=2
	v_mov_b32_e32 v1, 1
	ds_write_b32 v0, v1
	s_trap 2
.LBB6_235:                              ;   in Loop: Header=BB6_199 Depth=2
	s_or_b64 exec, exec, s[92:93]
	;;#ASMSTART
	s_wakeup
	;;#ASMEND
.LBB6_236:                              ;   in Loop: Header=BB6_199 Depth=2
	s_or_b64 exec, exec, s[90:91]
.LBB6_237:                              ;   in Loop: Header=BB6_199 Depth=2
	s_andn2_saveexec_b64 s[42:43], s[42:43]
	s_cbranch_execz .LBB6_239
; %bb.238:                              ;   in Loop: Header=BB6_199 Depth=2
	s_waitcnt vmcnt(0) lgkmcnt(0)
	buffer_wbinvl1_vol
	s_barrier
.LBB6_239:                              ;   in Loop: Header=BB6_199 Depth=2
	s_or_b64 exec, exec, s[42:43]
.LBB6_240:                              ;   in Loop: Header=BB6_199 Depth=2
	s_or_b64 exec, exec, s[26:27]
                                        ; implicit-def: $vgpr1
	s_and_saveexec_b64 s[26:27], s[24:25]
	s_xor_b64 s[26:27], exec, s[26:27]
	s_cbranch_execz .LBB6_245
; %bb.241:                              ;   in Loop: Header=BB6_199 Depth=2
	s_trap 2
	buffer_load_dword v2, off, s[0:3], s33 offset:72 ; 4-byte Folded Reload
	ds_read_b32 v1, v0
	v_cmp_lt_i32_e32 vcc, 0, v0
	s_waitcnt lgkmcnt(0)
	v_readfirstlane_b32 s42, v1
	s_cmp_eq_u32 s42, 0
	s_cselect_b64 s[42:43], -1, 0
	s_and_b64 s[42:43], vcc, s[42:43]
	s_waitcnt vmcnt(0)
	v_and_b32_e32 v1, 16, v2
	v_and_b32_e32 v2, 16, v2
	v_cmp_ne_u32_e32 vcc, 0, v2
	s_and_b64 s[90:91], vcc, s[42:43]
	s_and_saveexec_b64 s[42:43], s[90:91]
	s_cbranch_execz .LBB6_243
; %bb.242:                              ;   in Loop: Header=BB6_199 Depth=2
	v_mov_b32_e32 v1, 1
	buffer_wbinvl1_vol
.LBB6_243:                              ;   in Loop: Header=BB6_199 Depth=2
	s_or_b64 exec, exec, s[42:43]
	s_andn2_saveexec_b64 s[26:27], s[26:27]
	s_cbranch_execnz .LBB6_246
.LBB6_244:                              ;   in Loop: Header=BB6_199 Depth=2
	s_or_b64 exec, exec, s[26:27]
	v_cmp_ne_u32_e32 vcc, 0, v1
	s_and_saveexec_b64 s[26:27], vcc
	s_cbranch_execz .LBB6_198
	s_branch .LBB6_264
.LBB6_245:                              ;   in Loop: Header=BB6_199 Depth=2
	s_andn2_saveexec_b64 s[26:27], s[26:27]
	s_cbranch_execz .LBB6_244
.LBB6_246:                              ;   in Loop: Header=BB6_199 Depth=2
	s_and_saveexec_b64 s[42:43], s[58:59]
	s_xor_b64 s[42:43], exec, s[42:43]
	s_cbranch_execz .LBB6_261
; %bb.247:                              ;   in Loop: Header=BB6_199 Depth=2
	s_and_saveexec_b64 s[90:91], s[16:17]
	s_cbranch_execz .LBB6_260
; %bb.248:                              ;   in Loop: Header=BB6_199 Depth=2
	s_mov_b64 s[94:95], exec
	v_mbcnt_lo_u32_b32 v1, s94, 0
	v_mbcnt_hi_u32_b32 v1, s95, v1
	v_cmp_eq_u32_e32 vcc, 0, v1
	;;#ASMSTART
	s_waitcnt lgkmcnt(0) vmcnt(0)
	;;#ASMEND
	s_and_saveexec_b64 s[92:93], vcc
	s_cbranch_execz .LBB6_250
; %bb.249:                              ;   in Loop: Header=BB6_199 Depth=2
	s_bcnt1_i32_b64 s47, s[94:95]
	v_mov_b32_e32 v1, s47
	v_mov_b32_e32 v2, v34
	s_waitcnt lgkmcnt(0)
	ds_add_u64 v0, v[1:2]
	s_trap 2
.LBB6_250:                              ;   in Loop: Header=BB6_199 Depth=2
	s_or_b64 exec, exec, s[92:93]
	s_trap 2
	ds_read_b64 v[1:2], v0
	s_waitcnt lgkmcnt(0)
	buffer_load_dword v3, off, s[0:3], s33 offset:76 ; 4-byte Folded Reload
	buffer_load_dword v4, off, s[0:3], s33 offset:80 ; 4-byte Folded Reload
	s_waitcnt vmcnt(1)
	v_add_co_u32_e32 v3, vcc, v3, v39
	s_waitcnt vmcnt(0)
	v_addc_co_u32_e32 v4, vcc, 0, v4, vcc
	buffer_store_dword v3, off, s[0:3], s33 offset:76 ; 4-byte Folded Spill
	s_nop 0
	buffer_store_dword v4, off, s[0:3], s33 offset:80 ; 4-byte Folded Spill
	v_cmp_lt_u64_e32 vcc, v[1:2], v[3:4]
	s_and_saveexec_b64 s[92:93], vcc
	s_cbranch_execz .LBB6_259
; %bb.251:                              ;   in Loop: Header=BB6_199 Depth=2
	s_mov_b32 s47, 0
	s_mov_b64 s[94:95], 0
                                        ; implicit-def: $sgpr30_sgpr31
                                        ; implicit-def: $sgpr34_sgpr35
	s_branch .LBB6_253
.LBB6_252:                              ;   in Loop: Header=BB6_253 Depth=3
	s_or_b64 exec, exec, s[38:39]
	s_and_b64 vcc, exec, vcc
	s_or_b64 s[94:95], vcc, s[94:95]
	s_andn2_b64 vcc, s[30:31], exec
	s_and_b64 s[30:31], s[34:35], exec
	s_or_b64 s[30:31], vcc, s[30:31]
	s_andn2_b64 exec, exec, s[94:95]
	s_cbranch_execz .LBB6_257
.LBB6_253:                              ;   Parent Loop BB6_47 Depth=1
                                        ;     Parent Loop BB6_199 Depth=2
                                        ; =>    This Inner Loop Header: Depth=3
	s_add_i32 s47, s47, 1
	s_cmpk_lg_i32 s47, 0x2710
	s_cselect_b64 s[36:37], -1, 0
	s_and_b64 vcc, exec, s[36:37]
	s_cbranch_vccz .LBB6_255
; %bb.254:                              ;   in Loop: Header=BB6_253 Depth=3
	s_mov_b64 vcc, -1
	s_or_b64 s[34:35], s[34:35], exec
	s_and_saveexec_b64 s[38:39], s[36:37]
	s_cbranch_execz .LBB6_252
	s_branch .LBB6_256
.LBB6_255:                              ;   in Loop: Header=BB6_253 Depth=3
	s_trap 2
	ds_read_b64 v[1:2], v0
	s_andn2_b64 s[36:37], s[36:37], exec
	s_mov_b32 s47, 0
	s_waitcnt vmcnt(0) lgkmcnt(0)
	flat_load_dword v1, v[1:2] glc
	s_waitcnt vmcnt(0) lgkmcnt(0)
	buffer_wbinvl1_vol
	v_cmp_eq_u32_e32 vcc, 0, v1
	s_and_b64 vcc, vcc, exec
	s_or_b64 s[36:37], s[36:37], vcc
	s_mov_b64 vcc, -1
	s_or_b64 s[34:35], s[34:35], exec
	s_and_saveexec_b64 s[38:39], s[36:37]
	s_cbranch_execz .LBB6_252
.LBB6_256:                              ;   in Loop: Header=BB6_253 Depth=3
	s_sleep 1
	s_trap 2
	ds_read_b64 v[1:2], v0
	s_waitcnt lgkmcnt(0)
	buffer_load_dword v3, off, s[0:3], s33 offset:76 ; 4-byte Folded Reload
	buffer_load_dword v4, off, s[0:3], s33 offset:80 ; 4-byte Folded Reload
	s_andn2_b64 s[34:35], s[34:35], exec
	s_waitcnt vmcnt(0)
	v_cmp_ge_u64_e32 vcc, v[1:2], v[3:4]
	s_orn2_b64 vcc, vcc, exec
	s_branch .LBB6_252
.LBB6_257:                              ;   in Loop: Header=BB6_199 Depth=2
	s_or_b64 exec, exec, s[94:95]
	s_and_saveexec_b64 s[94:95], s[30:31]
	s_xor_b64 s[94:95], exec, s[94:95]
	s_cbranch_execz .LBB6_259
; %bb.258:                              ;   in Loop: Header=BB6_199 Depth=2
	v_mov_b32_e32 v1, 1
	ds_write_b32 v0, v1
	s_trap 2
.LBB6_259:                              ;   in Loop: Header=BB6_199 Depth=2
	s_or_b64 exec, exec, s[92:93]
	;;#ASMSTART
	s_wakeup
	;;#ASMEND
.LBB6_260:                              ;   in Loop: Header=BB6_199 Depth=2
	s_or_b64 exec, exec, s[90:91]
.LBB6_261:                              ;   in Loop: Header=BB6_199 Depth=2
	s_andn2_saveexec_b64 s[42:43], s[42:43]
	s_cbranch_execz .LBB6_263
; %bb.262:                              ;   in Loop: Header=BB6_199 Depth=2
	;;#ASMSTART
	s_waitcnt lgkmcnt(0) vmcnt(0)
	;;#ASMEND
	s_waitcnt vmcnt(0) lgkmcnt(0)
	s_barrier
.LBB6_263:                              ;   in Loop: Header=BB6_199 Depth=2
	s_or_b64 exec, exec, s[42:43]
	buffer_load_dword v1, off, s[0:3], s33 offset:72 ; 4-byte Folded Reload
	s_waitcnt vmcnt(0)
	v_and_b32_e32 v1, 16, v1
	s_or_b64 exec, exec, s[26:27]
	v_cmp_ne_u32_e32 vcc, 0, v1
	s_and_saveexec_b64 s[26:27], vcc
	s_cbranch_execz .LBB6_198
.LBB6_264:                              ;   in Loop: Header=BB6_199 Depth=2
	s_and_saveexec_b64 s[42:43], s[14:15]
	s_cbranch_execz .LBB6_197
; %bb.265:                              ;   in Loop: Header=BB6_199 Depth=2
	buffer_load_dword v1, off, s[0:3], s33 offset:308 ; 4-byte Folded Reload
	buffer_load_dword v2, off, s[0:3], s33 offset:312 ; 4-byte Folded Reload
	v_mov_b32_e32 v3, 1
	s_waitcnt vmcnt(0)
	flat_store_dword v[1:2], v3
	s_branch .LBB6_197
.LBB6_266:                              ;   in Loop: Header=BB6_47 Depth=1
	s_or_b64 exec, exec, s[40:41]
.LBB6_267:                              ;   in Loop: Header=BB6_47 Depth=1
	s_or_b64 exec, exec, s[28:29]
	v_cndmask_b32_e64 v0, 0, 1, s[62:63]
	v_cmp_ne_u32_e64 s[26:27], 1, v0
	s_andn2_b64 vcc, exec, s[62:63]
	s_cbranch_vccnz .LBB6_4660
; %bb.268:                              ;   in Loop: Header=BB6_47 Depth=1
	s_mov_b32 s84, 2
	s_branch .LBB6_271
.LBB6_269:                              ;   in Loop: Header=BB6_271 Depth=2
	s_or_b64 exec, exec, s[42:43]
.LBB6_270:                              ;   in Loop: Header=BB6_271 Depth=2
	s_or_b64 exec, exec, s[40:41]
	s_add_i32 s84, s84, 1
	s_cmp_eq_u32 s84, s66
	s_cbranch_scc1 .LBB6_4660
.LBB6_271:                              ;   Parent Loop BB6_47 Depth=1
                                        ; =>  This Loop Header: Depth=2
                                        ;       Child Loop BB6_274 Depth 3
                                        ;         Child Loop BB6_282 Depth 4
                                        ;         Child Loop BB6_310 Depth 4
	;; [unrolled: 1-line block ×9, first 2 shown]
                                        ;       Child Loop BB6_4588 Depth 3
                                        ;         Child Loop BB6_4594 Depth 4
                                        ;         Child Loop BB6_4622 Depth 4
	;; [unrolled: 1-line block ×3, first 2 shown]
	buffer_load_dword v2, off, s[0:3], s33 offset:472 ; 4-byte Folded Reload
	buffer_load_dword v3, off, s[0:3], s33 offset:476 ; 4-byte Folded Reload
	s_sub_i32 s28, s85, s84
	s_cmp_ge_i32 s28, s66
	s_cselect_b32 s29, s66, 0
	s_sub_i32 s28, s28, s29
	s_ashr_i32 s40, s28, 31
	v_mov_b32_e32 v53, 0
	s_waitcnt vmcnt(0)
	v_mul_lo_u32 v1, v2, s40
	v_mul_lo_u32 v0, v3, s28
	v_mad_u64_u32 v[54:55], s[28:29], v2, s28, 0
	v_add3_u32 v55, v55, v1, v0
	buffer_load_dword v0, off, s[0:3], s33 offset:464 ; 4-byte Folded Reload
	buffer_load_dword v1, off, s[0:3], s33 offset:468 ; 4-byte Folded Reload
	s_waitcnt vmcnt(0)
	v_sub_co_u32_e32 v0, vcc, v0, v54
	v_subb_co_u32_e32 v1, vcc, v1, v55, vcc
	v_cmp_lt_i64_e32 vcc, v[2:3], v[0:1]
	v_cndmask_b32_e32 v0, v0, v2, vcc
	v_max_i32_e32 v50, 0, v0
	v_add_u32_e32 v1, 31, v50
	v_lshrrev_b32_e32 v1, 1, v1
	v_and_b32_e32 v1, 0x3ffffff0, v1
	v_cmp_lt_i32_e32 vcc, 0, v0
	v_max_i32_e32 v51, s96, v1
	s_and_b64 s[28:29], s[74:75], vcc
	v_mov_b32_e32 v0, 0
	s_and_saveexec_b64 s[90:91], s[28:29]
	s_cbranch_execz .LBB6_4585
; %bb.272:                              ;   in Loop: Header=BB6_271 Depth=2
	s_mov_b32 s87, 1
	s_mov_b64 s[94:95], -1
	v_mov_b32_e32 v53, 0
	s_mov_b64 s[92:93], 0
	buffer_store_dword v50, off, s[0:3], s33 offset:400 ; 4-byte Folded Spill
	buffer_store_dword v54, off, s[0:3], s33 offset:408 ; 4-byte Folded Spill
	s_nop 0
	buffer_store_dword v55, off, s[0:3], s33 offset:412 ; 4-byte Folded Spill
	s_branch .LBB6_274
.LBB6_273:                              ;   in Loop: Header=BB6_274 Depth=3
	s_or_b64 exec, exec, s[28:29]
	v_add_u32_e32 v53, v51, v53
	v_cmp_ge_i32_e32 vcc, v53, v50
	s_xor_b64 s[28:29], s[94:95], -1
	s_or_b64 s[28:29], s[28:29], vcc
	s_and_b64 s[28:29], exec, s[28:29]
	s_or_b64 s[92:93], s[28:29], s[92:93]
	s_mov_b64 s[94:95], 0
	v_mov_b32_e32 v0, s87
	s_mov_b32 s87, 2
	s_andn2_b64 exec, exec, s[92:93]
	s_cbranch_execz .LBB6_4584
.LBB6_274:                              ;   Parent Loop BB6_47 Depth=1
                                        ;     Parent Loop BB6_271 Depth=2
                                        ; =>    This Loop Header: Depth=3
                                        ;         Child Loop BB6_282 Depth 4
                                        ;         Child Loop BB6_310 Depth 4
	;; [unrolled: 1-line block ×9, first 2 shown]
	s_and_saveexec_b64 s[28:29], s[4:5]
	s_cbranch_execz .LBB6_276
; %bb.275:                              ;   in Loop: Header=BB6_274 Depth=3
	s_trap 2
	buffer_load_dword v2, off, s[0:3], s33 offset:368 ; 4-byte Folded Reload
	ds_read_b64 v[0:1], v0
	s_waitcnt vmcnt(0) lgkmcnt(0)
	v_add_co_u32_e32 v0, vcc, v0, v2
	buffer_load_dword v2, off, s[0:3], s33 offset:372 ; 4-byte Folded Reload
	s_waitcnt vmcnt(0)
	v_addc_co_u32_e32 v1, vcc, v1, v2, vcc
	v_add_co_u32_e32 v0, vcc, v0, v54
	v_addc_co_u32_e32 v1, vcc, v1, v55, vcc
	v_ashrrev_i32_e32 v2, 31, v53
	v_add_co_u32_e32 v0, vcc, v0, v53
	v_addc_co_u32_e32 v1, vcc, v1, v2, vcc
	ds_write_b64 v0, v[0:1]
	v_mov_b32_e32 v0, v34
	v_mov_b32_e32 v1, v34
	ds_write_b64 v0, v[0:1]
.LBB6_276:                              ;   in Loop: Header=BB6_274 Depth=3
	s_or_b64 exec, exec, s[28:29]
	v_sub_u32_e32 v0, v50, v53
	v_min_i32_e32 v51, v51, v0
	buffer_load_dword v0, off, s[0:3], s33 offset:72 ; 4-byte Folded Reload
	s_waitcnt vmcnt(0)
	v_and_b32_e32 v0, 12, v0
	v_cmp_ne_u32_e32 vcc, 0, v0
	s_and_saveexec_b64 s[40:41], vcc
	s_cbranch_execz .LBB6_302
; %bb.277:                              ;   in Loop: Header=BB6_274 Depth=3
	buffer_load_dword v0, off, s[0:3], s33 offset:72 ; 4-byte Folded Reload
	s_waitcnt vmcnt(0)
	v_and_b32_e32 v4, 8, v0
	buffer_load_dword v0, off, s[0:3], s33 offset:56 ; 4-byte Folded Reload
	buffer_load_dword v1, off, s[0:3], s33 offset:60 ; 4-byte Folded Reload
	s_waitcnt vmcnt(0)
	v_add_co_u32_e32 v2, vcc, v0, v4
	v_addc_co_u32_e32 v3, vcc, 0, v1, vcc
	buffer_load_dword v0, off, s[0:3], s33 offset:84 ; 4-byte Folded Reload
	buffer_load_dword v1, off, s[0:3], s33 offset:88 ; 4-byte Folded Reload
	s_waitcnt vmcnt(0)
	v_add_co_u32_e32 v0, vcc, 2, v0
	v_addc_co_u32_e32 v1, vcc, 0, v1, vcc
	v_cmp_lt_u64_e32 vcc, v[2:3], v[0:1]
	s_and_saveexec_b64 s[42:43], vcc
	s_cbranch_execz .LBB6_289
; %bb.278:                              ;   in Loop: Header=BB6_274 Depth=3
	buffer_load_dword v2, off, s[0:3], s33 offset:72 ; 4-byte Folded Reload
	s_mov_b32 s47, 0
	s_mov_b64 s[30:31], 0
                                        ; implicit-def: $sgpr34_sgpr35
                                        ; implicit-def: $sgpr36_sgpr37
                                        ; implicit-def: $sgpr38_sgpr39
	s_waitcnt vmcnt(0)
	v_and_b32_e32 v2, 64, v2
	v_cmp_eq_u32_e32 vcc, 0, v2
	s_branch .LBB6_282
.LBB6_279:                              ;   in Loop: Header=BB6_282 Depth=4
	buffer_load_dword v5, off, s[0:3], s33 offset:56 ; 4-byte Folded Reload
	buffer_load_dword v6, off, s[0:3], s33 offset:60 ; 4-byte Folded Reload
	s_or_b64 s[52:53], s[52:53], exec
	s_waitcnt vmcnt(1)
	v_add_co_u32_e64 v5, s[28:29], v5, v4
	s_waitcnt vmcnt(0)
	v_addc_co_u32_e64 v6, s[28:29], 0, v6, s[28:29]
	v_cmp_ge_u64_e64 s[28:29], v[5:6], v[0:1]
	s_orn2_b64 s[50:51], s[28:29], exec
.LBB6_280:                              ;   in Loop: Header=BB6_282 Depth=4
	s_or_b64 exec, exec, s[64:65]
	s_andn2_b64 s[28:29], s[38:39], exec
	s_and_b64 s[38:39], s[52:53], exec
	s_or_b64 s[38:39], s[28:29], s[38:39]
	s_andn2_b64 s[28:29], s[36:37], exec
	s_and_b64 s[36:37], s[50:51], exec
	s_or_b64 s[36:37], s[28:29], s[36:37]
.LBB6_281:                              ;   in Loop: Header=BB6_282 Depth=4
	s_or_b64 exec, exec, s[48:49]
	s_and_b64 s[28:29], exec, s[36:37]
	s_or_b64 s[30:31], s[28:29], s[30:31]
	s_andn2_b64 s[28:29], s[34:35], exec
	s_and_b64 s[34:35], s[38:39], exec
	s_or_b64 s[34:35], s[28:29], s[34:35]
	s_andn2_b64 exec, exec, s[30:31]
	s_cbranch_execz .LBB6_286
.LBB6_282:                              ;   Parent Loop BB6_47 Depth=1
                                        ;     Parent Loop BB6_271 Depth=2
                                        ;       Parent Loop BB6_274 Depth=3
                                        ; =>      This Inner Loop Header: Depth=4
	s_sleep 1
	buffer_load_dword v2, off, s[0:3], s33 offset:64 ; 4-byte Folded Reload
	buffer_load_dword v3, off, s[0:3], s33 offset:68 ; 4-byte Folded Reload
	s_or_b64 s[38:39], s[38:39], exec
	s_or_b64 s[36:37], s[36:37], exec
	s_waitcnt vmcnt(0)
	flat_load_dwordx2 v[2:3], v[2:3] glc
	s_waitcnt vmcnt(0) lgkmcnt(0)
	buffer_store_dword v2, off, s[0:3], s33 offset:56 ; 4-byte Folded Spill
	s_nop 0
	buffer_store_dword v3, off, s[0:3], s33 offset:60 ; 4-byte Folded Spill
                                        ; implicit-def: $vgpr2
	s_and_saveexec_b64 s[48:49], vcc
	s_cbranch_execz .LBB6_281
; %bb.283:                              ;   in Loop: Header=BB6_282 Depth=4
	s_cmpk_lt_i32 s47, 0x270f
	s_cselect_b64 s[54:55], -1, 0
	s_cmpk_gt_i32 s47, 0x270e
	s_mov_b64 s[50:51], -1
	s_cbranch_scc0 .LBB6_285
; %bb.284:                              ;   in Loop: Header=BB6_282 Depth=4
	s_trap 2
	ds_read_b64 v[2:3], v0
	s_andn2_b64 s[54:55], s[54:55], exec
	s_mov_b32 s47, 0
	s_mov_b64 s[52:53], 0
	s_waitcnt vmcnt(0) lgkmcnt(0)
	flat_load_dword v2, v[2:3] glc
	s_waitcnt vmcnt(0) lgkmcnt(0)
	buffer_wbinvl1_vol
	v_cmp_eq_u32_e64 s[28:29], 0, v2
	s_and_b64 s[28:29], s[28:29], exec
	s_or_b64 s[54:55], s[54:55], s[28:29]
	s_and_saveexec_b64 s[64:65], s[54:55]
	s_cbranch_execz .LBB6_280
	s_branch .LBB6_279
.LBB6_285:                              ;   in Loop: Header=BB6_282 Depth=4
	s_add_i32 s47, s47, 1
	s_mov_b64 s[52:53], -1
                                        ; implicit-def: $vgpr2
	s_and_saveexec_b64 s[64:65], s[54:55]
	s_cbranch_execz .LBB6_280
	s_branch .LBB6_279
.LBB6_286:                              ;   in Loop: Header=BB6_274 Depth=3
	s_or_b64 exec, exec, s[30:31]
	s_xor_b64 s[28:29], s[34:35], -1
	s_and_saveexec_b64 vcc, s[28:29]
	s_xor_b64 s[28:29], exec, vcc
	s_cbranch_execz .LBB6_288
; %bb.287:                              ;   in Loop: Header=BB6_274 Depth=3
	ds_write_b32 v0, v2
	s_trap 2
	buffer_load_dword v2, off, s[0:3], s33 offset:72 ; 4-byte Folded Reload
	s_waitcnt vmcnt(0)
	v_or_b32_e32 v2, 64, v2
	buffer_store_dword v2, off, s[0:3], s33 offset:72 ; 4-byte Folded Spill
.LBB6_288:                              ;   in Loop: Header=BB6_274 Depth=3
	s_or_b64 exec, exec, s[28:29]
.LBB6_289:                              ;   in Loop: Header=BB6_274 Depth=3
	s_or_b64 exec, exec, s[42:43]
	;;#ASMSTART
	s_wakeup
	;;#ASMEND
	buffer_load_dword v2, off, s[0:3], s33 offset:72 ; 4-byte Folded Reload
	s_waitcnt vmcnt(0)
	v_and_b32_e32 v2, 0x108, v2
	v_cmp_ne_u32_e32 vcc, s71, v2
                                        ; implicit-def: $vgpr2_vgpr3
	s_and_saveexec_b64 s[28:29], vcc
	s_xor_b64 s[28:29], exec, s[28:29]
	s_cbranch_execz .LBB6_291
; %bb.290:                              ;   in Loop: Header=BB6_274 Depth=3
	buffer_load_dword v2, off, s[0:3], s33 offset:84 ; 4-byte Folded Reload
	buffer_load_dword v3, off, s[0:3], s33 offset:88 ; 4-byte Folded Reload
	s_waitcnt vmcnt(0)
	v_mov_b32_e32 v3, v34
                                        ; implicit-def: $vgpr5_vgpr6
                                        ; kill: killed $vgpr5_vgpr6
	v_and_b32_e32 v2, 7, v2
.LBB6_291:                              ;   in Loop: Header=BB6_274 Depth=3
	s_andn2_saveexec_b64 s[28:29], s[28:29]
	s_cbranch_execz .LBB6_293
; %bb.292:                              ;   in Loop: Header=BB6_274 Depth=3
	buffer_load_dword v2, off, s[0:3], s33 offset:84 ; 4-byte Folded Reload
	buffer_load_dword v3, off, s[0:3], s33 offset:88 ; 4-byte Folded Reload
	;; [unrolled: 1-line block ×6, first 2 shown]
	s_waitcnt vmcnt(0)
	v_mov_b32_e32 v3, v34
	v_ashrrev_i32_e32 v52, 31, v51
	v_and_b32_e32 v2, 7, v2
	v_mad_u64_u32 v[5:6], s[42:43], v2, 24, v[5:6]
	flat_store_dwordx2 v[5:6], v[51:52] offset:8
.LBB6_293:                              ;   in Loop: Header=BB6_274 Depth=3
	s_or_b64 exec, exec, s[28:29]
	buffer_load_dword v5, off, s[0:3], s33 offset:72 ; 4-byte Folded Reload
	s_mov_b64 s[28:29], -1
	s_waitcnt vmcnt(0)
	v_and_b32_e32 v5, 0x100, v5
	v_cmp_ne_u32_e32 vcc, 0, v5
                                        ; implicit-def: $vgpr5_vgpr6
	s_and_saveexec_b64 s[42:43], vcc
	s_cbranch_execz .LBB6_297
; %bb.294:                              ;   in Loop: Header=BB6_274 Depth=3
	buffer_load_dword v5, off, s[0:3], s33 offset:292 ; 4-byte Folded Reload
	buffer_load_dword v6, off, s[0:3], s33 offset:296 ; 4-byte Folded Reload
	;; [unrolled: 1-line block ×4, first 2 shown]
	s_waitcnt vmcnt(0)
	v_mad_u64_u32 v[7:8], s[28:29], v2, 24, v[5:6]
	v_mov_b32_e32 v5, v8
	v_mad_u64_u32 v[5:6], s[28:29], v3, 24, v[5:6]
	v_mov_b32_e32 v8, v5
	flat_load_dword v5, v[7:8]
	s_waitcnt vmcnt(0) lgkmcnt(0)
	v_cmp_ne_u32_e32 vcc, 1, v5
	v_cmp_eq_u32_e64 s[28:29], 1, v5
                                        ; implicit-def: $vgpr5_vgpr6
	s_and_saveexec_b64 s[30:31], s[28:29]
	s_cbranch_execz .LBB6_296
; %bb.295:                              ;   in Loop: Header=BB6_274 Depth=3
	flat_load_dword v5, v[7:8] offset:4 glc
	s_waitcnt vmcnt(0) lgkmcnt(0)
	v_ashrrev_i32_e32 v6, 31, v5
.LBB6_296:                              ;   in Loop: Header=BB6_274 Depth=3
	s_or_b64 exec, exec, s[30:31]
	s_orn2_b64 s[28:29], vcc, exec
.LBB6_297:                              ;   in Loop: Header=BB6_274 Depth=3
	s_or_b64 exec, exec, s[42:43]
	s_and_saveexec_b64 s[42:43], s[28:29]
	s_cbranch_execz .LBB6_299
; %bb.298:                              ;   in Loop: Header=BB6_274 Depth=3
	buffer_load_dword v5, off, s[0:3], s33 offset:324 ; 4-byte Folded Reload
	buffer_load_dword v6, off, s[0:3], s33 offset:344 ; 4-byte Folded Reload
	s_waitcnt vmcnt(0)
	v_mul_lo_u32 v3, v3, v5
	v_mul_lo_u32 v7, v2, v6
	v_mad_u64_u32 v[5:6], s[28:29], v2, v5, 0
	v_add3_u32 v6, v6, v7, v3
.LBB6_299:                              ;   in Loop: Header=BB6_274 Depth=3
	s_or_b64 exec, exec, s[42:43]
	v_cmp_eq_u32_e32 vcc, 0, v4
	v_mov_b32_e32 v2, 0xc8
	v_mov_b32_e32 v3, 0x90
	v_cndmask_b32_e32 v4, v2, v3, vcc
	buffer_load_dword v2, off, s[0:3], s33 offset:284 ; 4-byte Folded Reload
	buffer_load_dword v3, off, s[0:3], s33 offset:288 ; 4-byte Folded Reload
	v_add_u32_e32 v4, v0, v4
	s_waitcnt vmcnt(0)
	v_add_co_u32_e32 v2, vcc, v2, v5
	v_addc_co_u32_e32 v3, vcc, v3, v6, vcc
	ds_write_b64 v4, v[2:3] offset:584
	buffer_load_dword v2, off, s[0:3], s33 offset:72 ; 4-byte Folded Reload
	s_waitcnt vmcnt(0)
	v_and_b32_e32 v2, 0x2000, v2
	v_cmp_ne_u32_e32 vcc, 0, v2
	s_and_saveexec_b64 s[28:29], vcc
	s_cbranch_execz .LBB6_301
; %bb.300:                              ;   in Loop: Header=BB6_274 Depth=3
	ds_read_b64 v[2:3], v0 offset:872
	s_waitcnt lgkmcnt(0)
	v_add_co_u32_e32 v2, vcc, 1, v2
	v_addc_co_u32_e32 v3, vcc, 0, v3, vcc
	ds_write_b64 v0, v[2:3] offset:872
.LBB6_301:                              ;   in Loop: Header=BB6_274 Depth=3
	s_or_b64 exec, exec, s[28:29]
	buffer_store_dword v0, off, s[0:3], s33 offset:84 ; 4-byte Folded Spill
	s_nop 0
	buffer_store_dword v1, off, s[0:3], s33 offset:88 ; 4-byte Folded Spill
.LBB6_302:                              ;   in Loop: Header=BB6_274 Depth=3
	s_or_b64 exec, exec, s[40:41]
	s_and_saveexec_b64 s[28:29], s[10:11]
	s_cbranch_execz .LBB6_321
; %bb.303:                              ;   in Loop: Header=BB6_274 Depth=3
	s_and_saveexec_b64 s[40:41], s[58:59]
	s_xor_b64 s[40:41], exec, s[40:41]
	s_cbranch_execz .LBB6_318
; %bb.304:                              ;   in Loop: Header=BB6_274 Depth=3
	s_and_saveexec_b64 s[42:43], s[16:17]
	s_cbranch_execz .LBB6_317
; %bb.305:                              ;   in Loop: Header=BB6_274 Depth=3
	s_mov_b64 s[34:35], exec
	v_mbcnt_lo_u32_b32 v0, s34, 0
	v_mbcnt_hi_u32_b32 v0, s35, v0
	v_cmp_eq_u32_e32 vcc, 0, v0
	s_waitcnt vmcnt(0) lgkmcnt(0)
	buffer_wbinvl1_vol
	s_and_saveexec_b64 s[30:31], vcc
	s_cbranch_execz .LBB6_307
; %bb.306:                              ;   in Loop: Header=BB6_274 Depth=3
	s_bcnt1_i32_b64 s47, s[34:35]
	v_mov_b32_e32 v0, s47
	v_mov_b32_e32 v1, v34
	ds_add_u64 v0, v[0:1]
	s_trap 2
.LBB6_307:                              ;   in Loop: Header=BB6_274 Depth=3
	s_or_b64 exec, exec, s[30:31]
	s_trap 2
	ds_read_b64 v[0:1], v0
	s_waitcnt lgkmcnt(0)
	buffer_load_dword v2, off, s[0:3], s33 offset:76 ; 4-byte Folded Reload
	buffer_load_dword v3, off, s[0:3], s33 offset:80 ; 4-byte Folded Reload
	s_waitcnt vmcnt(1)
	v_add_co_u32_e32 v2, vcc, v2, v39
	s_waitcnt vmcnt(0)
	v_addc_co_u32_e32 v3, vcc, 0, v3, vcc
	buffer_store_dword v2, off, s[0:3], s33 offset:76 ; 4-byte Folded Spill
	s_nop 0
	buffer_store_dword v3, off, s[0:3], s33 offset:80 ; 4-byte Folded Spill
	v_cmp_lt_u64_e32 vcc, v[0:1], v[2:3]
	s_and_saveexec_b64 s[30:31], vcc
	s_cbranch_execz .LBB6_316
; %bb.308:                              ;   in Loop: Header=BB6_274 Depth=3
	s_mov_b32 s47, 0
	s_mov_b64 s[34:35], 0
                                        ; implicit-def: $sgpr36_sgpr37
                                        ; implicit-def: $sgpr38_sgpr39
	s_branch .LBB6_310
.LBB6_309:                              ;   in Loop: Header=BB6_310 Depth=4
	s_or_b64 exec, exec, s[50:51]
	s_and_b64 vcc, exec, vcc
	s_or_b64 s[34:35], vcc, s[34:35]
	s_andn2_b64 vcc, s[36:37], exec
	s_and_b64 s[36:37], s[38:39], exec
	s_or_b64 s[36:37], vcc, s[36:37]
	s_andn2_b64 exec, exec, s[34:35]
	s_cbranch_execz .LBB6_314
.LBB6_310:                              ;   Parent Loop BB6_47 Depth=1
                                        ;     Parent Loop BB6_271 Depth=2
                                        ;       Parent Loop BB6_274 Depth=3
                                        ; =>      This Inner Loop Header: Depth=4
	s_add_i32 s47, s47, 1
	s_cmpk_lg_i32 s47, 0x2710
	s_cselect_b64 s[48:49], -1, 0
	s_and_b64 vcc, exec, s[48:49]
	s_cbranch_vccz .LBB6_312
; %bb.311:                              ;   in Loop: Header=BB6_310 Depth=4
	s_mov_b64 vcc, -1
	s_or_b64 s[38:39], s[38:39], exec
	s_and_saveexec_b64 s[50:51], s[48:49]
	s_cbranch_execz .LBB6_309
	s_branch .LBB6_313
.LBB6_312:                              ;   in Loop: Header=BB6_310 Depth=4
	s_trap 2
	ds_read_b64 v[0:1], v0
	s_andn2_b64 s[48:49], s[48:49], exec
	s_mov_b32 s47, 0
	s_waitcnt vmcnt(0) lgkmcnt(0)
	flat_load_dword v0, v[0:1] glc
	s_waitcnt vmcnt(0) lgkmcnt(0)
	buffer_wbinvl1_vol
	v_cmp_eq_u32_e32 vcc, 0, v0
	s_and_b64 vcc, vcc, exec
	s_or_b64 s[48:49], s[48:49], vcc
	s_mov_b64 vcc, -1
	s_or_b64 s[38:39], s[38:39], exec
	s_and_saveexec_b64 s[50:51], s[48:49]
	s_cbranch_execz .LBB6_309
.LBB6_313:                              ;   in Loop: Header=BB6_310 Depth=4
	s_sleep 1
	s_trap 2
	ds_read_b64 v[0:1], v0
	s_waitcnt lgkmcnt(0)
	buffer_load_dword v2, off, s[0:3], s33 offset:76 ; 4-byte Folded Reload
	buffer_load_dword v3, off, s[0:3], s33 offset:80 ; 4-byte Folded Reload
	s_andn2_b64 s[38:39], s[38:39], exec
	s_waitcnt vmcnt(0)
	v_cmp_ge_u64_e32 vcc, v[0:1], v[2:3]
	s_orn2_b64 vcc, vcc, exec
	s_branch .LBB6_309
.LBB6_314:                              ;   in Loop: Header=BB6_274 Depth=3
	s_or_b64 exec, exec, s[34:35]
	s_and_saveexec_b64 vcc, s[36:37]
	s_xor_b64 vcc, exec, vcc
	s_cbranch_execz .LBB6_316
; %bb.315:                              ;   in Loop: Header=BB6_274 Depth=3
	v_mov_b32_e32 v0, 1
	ds_write_b32 v0, v0
	s_trap 2
.LBB6_316:                              ;   in Loop: Header=BB6_274 Depth=3
	s_or_b64 exec, exec, s[30:31]
	;;#ASMSTART
	s_wakeup
	;;#ASMEND
.LBB6_317:                              ;   in Loop: Header=BB6_274 Depth=3
	s_or_b64 exec, exec, s[42:43]
.LBB6_318:                              ;   in Loop: Header=BB6_274 Depth=3
	s_andn2_saveexec_b64 s[40:41], s[40:41]
	s_cbranch_execz .LBB6_320
; %bb.319:                              ;   in Loop: Header=BB6_274 Depth=3
	s_waitcnt vmcnt(0) lgkmcnt(0)
	buffer_wbinvl1_vol
	s_barrier
.LBB6_320:                              ;   in Loop: Header=BB6_274 Depth=3
	s_or_b64 exec, exec, s[40:41]
.LBB6_321:                              ;   in Loop: Header=BB6_274 Depth=3
	s_or_b64 exec, exec, s[28:29]
	s_trap 2
	buffer_load_dword v1, off, s[0:3], s33 offset:72 ; 4-byte Folded Reload
	ds_read_b32 v0, v0
	s_xor_b64 s[28:29], s[6:7], -1
	s_waitcnt vmcnt(0)
	v_and_b32_e32 v1, 0x4000, v1
	v_cmp_ne_u32_e32 vcc, 0, v1
	s_and_b64 s[40:41], s[28:29], vcc
	s_and_saveexec_b64 s[28:29], s[40:41]
	s_cbranch_execz .LBB6_340
; %bb.322:                              ;   in Loop: Header=BB6_274 Depth=3
	s_and_saveexec_b64 s[40:41], s[58:59]
	s_xor_b64 s[40:41], exec, s[40:41]
	s_cbranch_execz .LBB6_337
; %bb.323:                              ;   in Loop: Header=BB6_274 Depth=3
	s_and_saveexec_b64 s[42:43], s[16:17]
	s_cbranch_execz .LBB6_336
; %bb.324:                              ;   in Loop: Header=BB6_274 Depth=3
	s_mov_b64 s[34:35], exec
	v_mbcnt_lo_u32_b32 v1, s34, 0
	v_mbcnt_hi_u32_b32 v1, s35, v1
	v_cmp_eq_u32_e32 vcc, 0, v1
	s_waitcnt lgkmcnt(0)
	buffer_wbinvl1_vol
	s_and_saveexec_b64 s[30:31], vcc
	s_cbranch_execz .LBB6_326
; %bb.325:                              ;   in Loop: Header=BB6_274 Depth=3
	s_bcnt1_i32_b64 s47, s[34:35]
	v_mov_b32_e32 v1, s47
	v_mov_b32_e32 v2, v34
	ds_add_u64 v0, v[1:2]
	s_trap 2
.LBB6_326:                              ;   in Loop: Header=BB6_274 Depth=3
	s_or_b64 exec, exec, s[30:31]
	s_trap 2
	ds_read_b64 v[1:2], v0
	s_waitcnt lgkmcnt(0)
	buffer_load_dword v3, off, s[0:3], s33 offset:76 ; 4-byte Folded Reload
	buffer_load_dword v4, off, s[0:3], s33 offset:80 ; 4-byte Folded Reload
	s_waitcnt vmcnt(1)
	v_add_co_u32_e32 v3, vcc, v3, v39
	s_waitcnt vmcnt(0)
	v_addc_co_u32_e32 v4, vcc, 0, v4, vcc
	buffer_store_dword v3, off, s[0:3], s33 offset:76 ; 4-byte Folded Spill
	s_nop 0
	buffer_store_dword v4, off, s[0:3], s33 offset:80 ; 4-byte Folded Spill
	v_cmp_lt_u64_e32 vcc, v[1:2], v[3:4]
	s_and_saveexec_b64 s[30:31], vcc
	s_cbranch_execz .LBB6_335
; %bb.327:                              ;   in Loop: Header=BB6_274 Depth=3
	s_mov_b32 s47, 0
	s_mov_b64 s[34:35], 0
                                        ; implicit-def: $sgpr36_sgpr37
                                        ; implicit-def: $sgpr38_sgpr39
	s_branch .LBB6_329
.LBB6_328:                              ;   in Loop: Header=BB6_329 Depth=4
	s_or_b64 exec, exec, s[50:51]
	s_and_b64 vcc, exec, vcc
	s_or_b64 s[34:35], vcc, s[34:35]
	s_andn2_b64 vcc, s[36:37], exec
	s_and_b64 s[36:37], s[38:39], exec
	s_or_b64 s[36:37], vcc, s[36:37]
	s_andn2_b64 exec, exec, s[34:35]
	s_cbranch_execz .LBB6_333
.LBB6_329:                              ;   Parent Loop BB6_47 Depth=1
                                        ;     Parent Loop BB6_271 Depth=2
                                        ;       Parent Loop BB6_274 Depth=3
                                        ; =>      This Inner Loop Header: Depth=4
	s_add_i32 s47, s47, 1
	s_cmpk_lg_i32 s47, 0x2710
	s_cselect_b64 s[48:49], -1, 0
	s_and_b64 vcc, exec, s[48:49]
	s_cbranch_vccz .LBB6_331
; %bb.330:                              ;   in Loop: Header=BB6_329 Depth=4
	s_mov_b64 vcc, -1
	s_or_b64 s[38:39], s[38:39], exec
	s_and_saveexec_b64 s[50:51], s[48:49]
	s_cbranch_execz .LBB6_328
	s_branch .LBB6_332
.LBB6_331:                              ;   in Loop: Header=BB6_329 Depth=4
	s_trap 2
	ds_read_b64 v[1:2], v0
	s_andn2_b64 s[48:49], s[48:49], exec
	s_mov_b32 s47, 0
	s_waitcnt vmcnt(0) lgkmcnt(0)
	flat_load_dword v1, v[1:2] glc
	s_waitcnt vmcnt(0) lgkmcnt(0)
	buffer_wbinvl1_vol
	v_cmp_eq_u32_e32 vcc, 0, v1
	s_and_b64 vcc, vcc, exec
	s_or_b64 s[48:49], s[48:49], vcc
	s_mov_b64 vcc, -1
	s_or_b64 s[38:39], s[38:39], exec
	s_and_saveexec_b64 s[50:51], s[48:49]
	s_cbranch_execz .LBB6_328
.LBB6_332:                              ;   in Loop: Header=BB6_329 Depth=4
	s_sleep 1
	s_trap 2
	ds_read_b64 v[1:2], v0
	s_waitcnt lgkmcnt(0)
	buffer_load_dword v3, off, s[0:3], s33 offset:76 ; 4-byte Folded Reload
	buffer_load_dword v4, off, s[0:3], s33 offset:80 ; 4-byte Folded Reload
	s_andn2_b64 s[38:39], s[38:39], exec
	s_waitcnt vmcnt(0)
	v_cmp_ge_u64_e32 vcc, v[1:2], v[3:4]
	s_orn2_b64 vcc, vcc, exec
	s_branch .LBB6_328
.LBB6_333:                              ;   in Loop: Header=BB6_274 Depth=3
	s_or_b64 exec, exec, s[34:35]
	s_and_saveexec_b64 vcc, s[36:37]
	s_xor_b64 vcc, exec, vcc
	s_cbranch_execz .LBB6_335
; %bb.334:                              ;   in Loop: Header=BB6_274 Depth=3
	v_mov_b32_e32 v1, 1
	ds_write_b32 v0, v1
	s_trap 2
.LBB6_335:                              ;   in Loop: Header=BB6_274 Depth=3
	s_or_b64 exec, exec, s[30:31]
	;;#ASMSTART
	s_wakeup
	;;#ASMEND
.LBB6_336:                              ;   in Loop: Header=BB6_274 Depth=3
	s_or_b64 exec, exec, s[42:43]
.LBB6_337:                              ;   in Loop: Header=BB6_274 Depth=3
	s_andn2_saveexec_b64 s[40:41], s[40:41]
	s_cbranch_execz .LBB6_339
; %bb.338:                              ;   in Loop: Header=BB6_274 Depth=3
	s_waitcnt vmcnt(0) lgkmcnt(0)
	buffer_wbinvl1_vol
	s_barrier
.LBB6_339:                              ;   in Loop: Header=BB6_274 Depth=3
	s_or_b64 exec, exec, s[40:41]
.LBB6_340:                              ;   in Loop: Header=BB6_274 Depth=3
	s_or_b64 exec, exec, s[28:29]
	s_trap 2
	s_waitcnt lgkmcnt(0)
	ds_read_b64 v[42:43], v0
	s_waitcnt lgkmcnt(0)
	v_cmp_eq_u64_e32 vcc, 0, v[42:43]
	s_cbranch_vccnz .LBB6_348
; %bb.341:                              ;   in Loop: Header=BB6_274 Depth=3
	s_trap 2
	ds_read_b64 v[40:41], v0
	s_waitcnt lgkmcnt(0)
	v_cmp_eq_u64_e32 vcc, 0, v[40:41]
	s_cbranch_vccnz .LBB6_348
; %bb.342:                              ;   in Loop: Header=BB6_274 Depth=3
	s_mov_b64 s[40:41], -1
	s_and_saveexec_b64 s[28:29], s[22:23]
	s_cbranch_execz .LBB6_344
; %bb.343:                              ;   in Loop: Header=BB6_274 Depth=3
	ds_read_b32 v1, v0 offset:720
	s_waitcnt lgkmcnt(0)
	v_and_b32_e32 v1, 15, v1
	v_cmp_eq_u32_e32 vcc, 0, v1
	s_orn2_b64 s[40:41], vcc, exec
.LBB6_344:                              ;   in Loop: Header=BB6_274 Depth=3
	s_or_b64 exec, exec, s[28:29]
	s_and_saveexec_b64 s[28:29], s[20:21]
	s_cbranch_execz .LBB6_346
; %bb.345:                              ;   in Loop: Header=BB6_274 Depth=3
	ds_read_b32 v1, v0 offset:784
	s_waitcnt lgkmcnt(0)
	v_and_b32_e32 v1, 15, v1
	v_cmp_eq_u32_e32 vcc, 0, v1
	s_and_b64 s[42:43], s[40:41], vcc
	s_andn2_b64 s[40:41], s[40:41], exec
	s_and_b64 s[42:43], s[42:43], exec
	s_or_b64 s[40:41], s[40:41], s[42:43]
.LBB6_346:                              ;   in Loop: Header=BB6_274 Depth=3
	s_or_b64 exec, exec, s[28:29]
	s_xor_b64 s[40:41], s[40:41], -1
	v_cmp_eq_u32_e32 vcc, 0, v0
	v_cndmask_b32_e64 v0, 0, 1, s[40:41]
	v_cndmask_b32_e32 v52, 0, v51, vcc
	v_cmp_ne_u32_e32 vcc, 0, v0
	buffer_load_dword v2, off, s[0:3], s33 offset:348 ; 4-byte Folded Reload
	buffer_load_dword v0, off, s[0:3], s33 offset:320 ; 4-byte Folded Reload
	s_mov_b64 s[28:29], -1
	v_mov_b32_e32 v3, 0
	v_mov_b32_e32 v8, v52
	s_cbranch_vccz .LBB6_353
; %bb.347:                              ;   in Loop: Header=BB6_274 Depth=3
	s_and_saveexec_b64 s[40:41], s[28:29]
	s_cbranch_execnz .LBB6_3214
	s_branch .LBB6_4542
.LBB6_348:                              ;   in Loop: Header=BB6_274 Depth=3
	s_mov_b64 s[28:29], 0
	s_and_saveexec_b64 s[40:41], s[10:11]
	s_cbranch_execnz .LBB6_4543
.LBB6_349:                              ;   in Loop: Header=BB6_274 Depth=3
	s_or_b64 exec, exec, s[40:41]
                                        ; implicit-def: $vgpr0
	s_and_saveexec_b64 s[40:41], s[24:25]
	s_xor_b64 s[40:41], exec, s[40:41]
	s_cbranch_execz .LBB6_4561
.LBB6_350:                              ;   in Loop: Header=BB6_274 Depth=3
	buffer_load_dword v1, off, s[0:3], s33 offset:72 ; 4-byte Folded Reload
	s_waitcnt vmcnt(0)
	v_and_b32_e32 v0, 16, v1
	v_and_b32_e32 v1, 16, v1
	v_cmp_ne_u32_e32 vcc, 0, v1
	s_and_b64 s[42:43], vcc, s[28:29]
	s_and_saveexec_b64 s[28:29], s[42:43]
	s_cbranch_execz .LBB6_352
; %bb.351:                              ;   in Loop: Header=BB6_274 Depth=3
	v_mov_b32_e32 v0, 1
	s_waitcnt lgkmcnt(0)
	buffer_wbinvl1_vol
.LBB6_352:                              ;   in Loop: Header=BB6_274 Depth=3
	s_or_b64 exec, exec, s[28:29]
	s_andn2_saveexec_b64 s[28:29], s[40:41]
	s_cbranch_execz .LBB6_4580
	s_branch .LBB6_4562
.LBB6_353:                              ;   in Loop: Header=BB6_274 Depth=3
	s_waitcnt vmcnt(0)
	v_ashrrev_i32_e32 v0, 31, v52
	v_lshrrev_b32_e32 v0, 20, v0
	v_add_u32_e32 v0, v52, v0
	v_ashrrev_i32_e32 v1, 12, v0
	buffer_load_dword v0, off, s[0:3], s33 offset:320 ; 4-byte Folded Reload
	s_waitcnt vmcnt(0)
	v_sub_u32_e32 v31, v1, v0
	v_cmp_lt_i32_e32 vcc, 0, v31
	s_and_saveexec_b64 s[40:41], vcc
	s_cbranch_execz .LBB6_2661
; %bb.354:                              ;   in Loop: Header=BB6_274 Depth=3
	buffer_store_dword v1, off, s[0:3], s33 offset:440 ; 4-byte Folded Spill
	buffer_store_dword v52, off, s[0:3], s33 offset:392 ; 4-byte Folded Spill
	;; [unrolled: 1-line block ×4, first 2 shown]
	s_nop 0
	buffer_store_dword v52, off, s[0:3], s33 offset:380 ; 4-byte Folded Spill
	s_trap 2
	buffer_load_dword v2, off, s[0:3], s33 offset:424 ; 4-byte Folded Reload
	buffer_load_dword v3, off, s[0:3], s33 offset:428 ; 4-byte Folded Reload
	ds_read_b64 v[0:1], v0
	s_mov_b64 s[42:43], 0
	s_waitcnt vmcnt(1)
	v_add_co_u32_e32 v5, vcc, v42, v2
	buffer_store_dword v42, off, s[0:3], s33 offset:432 ; 4-byte Folded Spill
	s_nop 0
	buffer_store_dword v43, off, s[0:3], s33 offset:436 ; 4-byte Folded Spill
	s_waitcnt vmcnt(2)
	v_addc_co_u32_e32 v6, vcc, v43, v3, vcc
	s_waitcnt lgkmcnt(0)
	v_add_co_u32_e32 v52, vcc, v0, v2
	v_addc_co_u32_e32 v53, vcc, v1, v3, vcc
	v_add_co_u32_e32 v44, vcc, v40, v2
	buffer_store_dword v40, off, s[0:3], s33 offset:416 ; 4-byte Folded Spill
	s_nop 0
	buffer_store_dword v41, off, s[0:3], s33 offset:420 ; 4-byte Folded Spill
	v_addc_co_u32_e32 v45, vcc, v41, v3, vcc
	s_branch .LBB6_357
.LBB6_355:                              ;   in Loop: Header=BB6_357 Depth=4
	s_or_b64 exec, exec, s[30:31]
.LBB6_356:                              ;   in Loop: Header=BB6_357 Depth=4
	s_or_b64 exec, exec, s[28:29]
	v_lshl_or_b32 v1, v40, 8, v55
	v_lshl_or_b32 v2, v26, 8, v25
	v_lshlrev_b32_e32 v10, 16, v41
	v_lshlrev_b32_e32 v11, 24, v16
	v_lshlrev_b32_e32 v14, 16, v27
	v_lshlrev_b32_e32 v16, 24, v54
	v_or3_b32 v15, v1, v10, v11
	v_or3_b32 v14, v2, v14, v16
	v_lshl_or_b32 v1, v20, 8, v17
	v_lshlrev_b32_e32 v2, 16, v21
	v_lshlrev_b32_e32 v10, 24, v42
	v_or3_b32 v16, v1, v2, v10
	v_lshl_or_b32 v1, v36, 8, v43
	v_lshlrev_b32_e32 v2, 24, v18
	v_lshlrev_b32_e32 v10, 16, v37
	v_or3_b32 v17, v1, v10, v2
	buffer_load_dword v1, off, s[0:3], s33 offset:248 ; 4-byte Folded Reload
	buffer_load_dword v2, off, s[0:3], s33 offset:256 ; 4-byte Folded Reload
	;; [unrolled: 1-line block ×5, first 2 shown]
	v_lshlrev_b32_e32 v8, 24, v8
	v_lshl_or_b32 v9, v12, 8, v9
	v_lshlrev_b32_e32 v0, 24, v0
	s_waitcnt vmcnt(3)
	v_lshl_or_b32 v1, v2, 8, v1
	v_lshlrev_b32_e32 v2, 16, v59
	s_waitcnt vmcnt(2)
	v_lshlrev_b32_e32 v10, 24, v10
	v_or3_b32 v26, v1, v2, v10
	buffer_load_dword v1, off, s[0:3], s33 offset:232 ; 4-byte Folded Reload
	buffer_load_dword v2, off, s[0:3], s33 offset:240 ; 4-byte Folded Reload
	s_waitcnt vmcnt(2)
	v_lshl_or_b32 v11, v18, 8, v11
	s_waitcnt vmcnt(1)
	v_lshlrev_b32_e32 v1, 16, v1
	s_waitcnt vmcnt(0)
	v_lshlrev_b32_e32 v2, 24, v2
	v_or3_b32 v25, v11, v1, v2
	v_lshl_or_b32 v1, v30, 8, v7
	v_lshlrev_b32_e32 v2, 16, v60
	v_lshlrev_b32_e32 v7, 24, v61
	v_or3_b32 v27, v1, v2, v7
	v_lshlrev_b32_e32 v1, 24, v3
	v_lshlrev_b32_e32 v2, 16, v24
	v_lshl_or_b32 v3, v35, 8, v4
	v_or3_b32 v28, v3, v2, v1
	buffer_load_dword v1, off, s[0:3], s33 offset:120 ; 4-byte Folded Reload
	buffer_load_dword v2, off, s[0:3], s33 offset:128 ; 4-byte Folded Reload
	;; [unrolled: 1-line block ×4, first 2 shown]
	s_waitcnt vmcnt(2)
	v_lshl_or_b32 v1, v2, 8, v1
	buffer_load_dword v2, off, s[0:3], s33 offset:136 ; 4-byte Folded Reload
	s_waitcnt vmcnt(2)
	v_lshlrev_b32_e32 v3, 24, v3
	s_waitcnt vmcnt(1)
	v_lshlrev_b32_e32 v4, 24, v4
	;; [unrolled: 2-line block ×3, first 2 shown]
	v_or3_b32 v2, v1, v2, v3
	buffer_load_dword v1, off, s[0:3], s33 offset:92 ; 4-byte Folded Reload
	buffer_load_dword v3, off, s[0:3], s33 offset:104 ; 4-byte Folded Reload
	s_waitcnt vmcnt(1)
	v_lshl_or_b32 v1, v1, 8, v58
	s_waitcnt vmcnt(0)
	v_lshlrev_b32_e32 v3, 16, v3
	v_or3_b32 v1, v1, v3, v4
	buffer_load_dword v3, off, s[0:3], s33 offset:152 ; 4-byte Folded Reload
	buffer_load_dword v4, off, s[0:3], s33 offset:160 ; 4-byte Folded Reload
	;; [unrolled: 1-line block ×3, first 2 shown]
	s_waitcnt vmcnt(1)
	v_lshl_or_b32 v3, v4, 8, v3
	buffer_load_dword v4, off, s[0:3], s33 offset:168 ; 4-byte Folded Reload
	s_waitcnt vmcnt(1)
	v_lshlrev_b32_e32 v7, 24, v7
	s_waitcnt vmcnt(0)
	v_lshlrev_b32_e32 v4, 16, v4
	v_or3_b32 v3, v3, v4, v7
	buffer_load_dword v4, off, s[0:3], s33 offset:208 ; 4-byte Folded Reload
	buffer_load_dword v7, off, s[0:3], s33 offset:200 ; 4-byte Folded Reload
	;; [unrolled: 1-line block ×4, first 2 shown]
	s_waitcnt vmcnt(3)
	v_lshlrev_b32_e32 v4, 24, v4
	s_waitcnt vmcnt(2)
	v_lshlrev_b32_e32 v7, 16, v7
	s_waitcnt vmcnt(0)
	v_lshl_or_b32 v10, v11, 8, v10
	v_or3_b32 v4, v10, v7, v4
	v_lshl_or_b32 v7, v46, 8, v49
	v_lshlrev_b32_e32 v10, 16, v47
	v_or3_b32 v8, v7, v10, v8
	v_lshl_or_b32 v7, v22, 8, v19
	v_lshlrev_b32_e32 v10, 16, v23
	v_lshlrev_b32_e32 v11, 24, v48
	v_or3_b32 v7, v7, v10, v11
	v_lshlrev_b32_e32 v10, 16, v13
	v_lshlrev_b32_e32 v11, 24, v56
	v_or3_b32 v9, v9, v10, v11
	v_lshlrev_b32_e32 v10, 16, v39
	v_lshl_or_b32 v11, v38, 8, v57
	v_or3_b32 v10, v11, v10, v0
	global_store_dwordx4 v[44:45], v[1:4], off glc slc
	global_store_dwordx4 v[44:45], v[25:28], off offset:1024 glc slc
	global_store_dwordx4 v[44:45], v[14:17], off offset:2048 glc slc
	;; [unrolled: 1-line block ×3, first 2 shown]
	buffer_load_dword v0, off, s[0:3], s33 offset:280 ; 4-byte Folded Reload
	buffer_load_dword v39, off, s[0:3], s33 offset:100 ; 4-byte Folded Reload
	s_waitcnt vmcnt(1)
	v_add_co_u32_e32 v5, vcc, v5, v0
	v_addc_co_u32_e32 v6, vcc, 0, v6, vcc
	v_add_co_u32_e32 v52, vcc, v52, v0
	v_addc_co_u32_e32 v53, vcc, 0, v53, vcc
	s_waitcnt vmcnt(0)
	v_sub_u32_e32 v31, v31, v39
	v_cmp_gt_i32_e32 vcc, 1, v31
	s_or_b64 s[42:43], vcc, s[42:43]
	v_add_co_u32_e32 v44, vcc, v44, v0
	v_addc_co_u32_e32 v45, vcc, 0, v45, vcc
	s_andn2_b64 exec, exec, s[42:43]
	s_cbranch_execz .LBB6_2660
.LBB6_357:                              ;   Parent Loop BB6_47 Depth=1
                                        ;     Parent Loop BB6_271 Depth=2
                                        ;       Parent Loop BB6_274 Depth=3
                                        ; =>      This Inner Loop Header: Depth=4
	global_load_dwordx4 v[48:51], v[5:6], off glc slc
	global_load_dwordx4 v[24:27], v[5:6], off offset:1024 glc slc
	global_load_dwordx4 v[20:23], v[5:6], off offset:2048 glc slc
	;; [unrolled: 1-line block ×3, first 2 shown]
	global_load_dwordx4 v[36:39], v[52:53], off glc slc
	global_load_dwordx4 v[0:3], v[52:53], off offset:1024 glc slc
	global_load_dwordx4 v[16:19], v[52:53], off offset:2048 glc slc
	;; [unrolled: 1-line block ×3, first 2 shown]
	v_mov_b32_e32 v4, 0
	v_mov_b32_e32 v7, 0
	s_waitcnt vmcnt(7)
	v_cmp_ne_u16_sdwa vcc, v48, v34 src0_sel:BYTE_0 src1_sel:DWORD
	s_and_saveexec_b64 s[28:29], vcc
	s_cbranch_execz .LBB6_365
; %bb.358:                              ;   in Loop: Header=BB6_357 Depth=4
	v_cmp_ne_u16_sdwa vcc, sext(v48), s80 src0_sel:BYTE_0 src1_sel:DWORD
	v_bfrev_b32_e32 v7, 1
	s_and_saveexec_b64 s[30:31], vcc
	s_cbranch_execz .LBB6_364
; %bb.359:                              ;   in Loop: Header=BB6_357 Depth=4
	v_and_b32_e32 v7, 0x7c, v48
	v_and_b32_e32 v28, 3, v48
	v_cmp_ne_u32_e32 vcc, s81, v7
                                        ; implicit-def: $vgpr7
	s_and_saveexec_b64 s[34:35], vcc
	s_xor_b64 s[34:35], exec, s[34:35]
	s_cbranch_execz .LBB6_361
; %bb.360:                              ;   in Loop: Header=BB6_357 Depth=4
	v_ffbh_u32_e32 v29, v28
	v_min_u32_e32 v32, 32, v29
	v_subrev_u32_e32 v29, 29, v32
	v_lshlrev_b64 v[29:30], v29, v[48:49]
	v_bfe_u32 v7, v48, 2, 5
	v_and_b32_e32 v29, 3, v29
	v_cmp_eq_u32_e32 vcc, 0, v7
	v_sub_u32_e32 v30, 30, v32
	v_cndmask_b32_e32 v28, v28, v29, vcc
	v_lshlrev_b32_e32 v29, 24, v48
	v_cndmask_b32_e32 v7, v7, v30, vcc
	v_and_b32_e32 v29, 0x80000000, v29
	v_lshl_add_u32 v7, v7, 23, v29
	v_lshl_or_b32 v7, v28, 21, v7
	v_add_u32_e32 v7, 0x38000000, v7
                                        ; implicit-def: $vgpr28
.LBB6_361:                              ;   in Loop: Header=BB6_357 Depth=4
	s_andn2_saveexec_b64 s[34:35], s[34:35]
; %bb.362:                              ;   in Loop: Header=BB6_357 Depth=4
	v_mov_b32_e32 v7, -1
	v_cmp_gt_i16_sdwa vcc, sext(v48), v7 src0_sel:BYTE_0 src1_sel:DWORD
	v_mov_b32_e32 v7, 0xff800000
	v_mov_b32_e32 v29, 0x7f800000
	v_cndmask_b32_e32 v7, v7, v29, vcc
	v_cmp_eq_u32_e32 vcc, 0, v28
	v_mov_b32_e32 v28, 0x7f800001
	v_cndmask_b32_e32 v7, v28, v7, vcc
; %bb.363:                              ;   in Loop: Header=BB6_357 Depth=4
	s_or_b64 exec, exec, s[34:35]
.LBB6_364:                              ;   in Loop: Header=BB6_357 Depth=4
	s_or_b64 exec, exec, s[30:31]
.LBB6_365:                              ;   in Loop: Header=BB6_357 Depth=4
	s_or_b64 exec, exec, s[28:29]
	s_waitcnt vmcnt(3)
	v_cmp_ne_u16_sdwa vcc, v36, v34 src0_sel:BYTE_0 src1_sel:DWORD
	s_and_saveexec_b64 s[28:29], vcc
	s_cbranch_execz .LBB6_373
; %bb.366:                              ;   in Loop: Header=BB6_357 Depth=4
	v_cmp_ne_u16_sdwa vcc, sext(v36), s80 src0_sel:BYTE_0 src1_sel:DWORD
	v_bfrev_b32_e32 v4, 1
	s_and_saveexec_b64 s[30:31], vcc
	s_cbranch_execz .LBB6_372
; %bb.367:                              ;   in Loop: Header=BB6_357 Depth=4
	v_and_b32_e32 v4, 0x7c, v36
	v_and_b32_e32 v28, 3, v36
	v_cmp_ne_u32_e32 vcc, s81, v4
                                        ; implicit-def: $vgpr4
	s_and_saveexec_b64 s[34:35], vcc
	s_xor_b64 s[34:35], exec, s[34:35]
	s_cbranch_execz .LBB6_369
; %bb.368:                              ;   in Loop: Header=BB6_357 Depth=4
	v_ffbh_u32_e32 v29, v28
	v_min_u32_e32 v32, 32, v29
	v_subrev_u32_e32 v29, 29, v32
	v_lshlrev_b64 v[29:30], v29, v[36:37]
	v_bfe_u32 v4, v36, 2, 5
	v_and_b32_e32 v29, 3, v29
	v_cmp_eq_u32_e32 vcc, 0, v4
	v_sub_u32_e32 v30, 30, v32
	v_cndmask_b32_e32 v28, v28, v29, vcc
	v_lshlrev_b32_e32 v29, 24, v36
	v_cndmask_b32_e32 v4, v4, v30, vcc
	v_and_b32_e32 v29, 0x80000000, v29
	v_lshl_add_u32 v4, v4, 23, v29
	v_lshl_or_b32 v4, v28, 21, v4
	v_add_u32_e32 v4, 0x38000000, v4
                                        ; implicit-def: $vgpr28
.LBB6_369:                              ;   in Loop: Header=BB6_357 Depth=4
	s_andn2_saveexec_b64 s[34:35], s[34:35]
; %bb.370:                              ;   in Loop: Header=BB6_357 Depth=4
	v_mov_b32_e32 v4, -1
	v_cmp_gt_i16_sdwa vcc, sext(v36), v4 src0_sel:BYTE_0 src1_sel:DWORD
	v_mov_b32_e32 v4, 0xff800000
	v_mov_b32_e32 v29, 0x7f800000
	v_cndmask_b32_e32 v4, v4, v29, vcc
	v_cmp_eq_u32_e32 vcc, 0, v28
	v_mov_b32_e32 v28, 0x7f800001
	v_cndmask_b32_e32 v4, v28, v4, vcc
; %bb.371:                              ;   in Loop: Header=BB6_357 Depth=4
	s_or_b64 exec, exec, s[34:35]
.LBB6_372:                              ;   in Loop: Header=BB6_357 Depth=4
	s_or_b64 exec, exec, s[30:31]
.LBB6_373:                              ;   in Loop: Header=BB6_357 Depth=4
	s_or_b64 exec, exec, s[28:29]
	v_mul_f32_e32 v7, v7, v4
	v_and_b32_e32 v28, 0x7f800000, v7
	v_mov_b32_e32 v29, v34
	v_cmp_ne_u64_e32 vcc, s[76:77], v[28:29]
	v_and_b32_e32 v33, 0x7fffff, v7
                                        ; implicit-def: $vgpr58
	s_and_saveexec_b64 s[28:29], vcc
	s_xor_b64 s[30:31], exec, s[28:29]
	s_cbranch_execz .LBB6_387
; %bb.374:                              ;   in Loop: Header=BB6_357 Depth=4
	v_and_b32_e32 v28, 0x7fffffff, v7
	v_mov_b32_e32 v29, v34
	v_cmp_gt_u64_e32 vcc, s[78:79], v[28:29]
	v_and_b32_sdwa v4, v7, s44 dst_sel:DWORD dst_unused:UNUSED_PAD src0_sel:BYTE_3 src1_sel:DWORD
                                        ; implicit-def: $vgpr58
	s_and_saveexec_b64 s[28:29], vcc
	s_xor_b64 s[34:35], exec, s[28:29]
	s_cbranch_execz .LBB6_384
; %bb.375:                              ;   in Loop: Header=BB6_357 Depth=4
	v_mov_b32_e32 v58, 0
	v_cmp_ne_u32_e32 vcc, 0, v7
	s_and_saveexec_b64 s[36:37], vcc
	s_cbranch_execz .LBB6_383
; %bb.376:                              ;   in Loop: Header=BB6_357 Depth=4
	v_bfe_u32 v7, v7, 23, 8
	v_cmp_gt_u32_e64 s[28:29], s45, v7
	v_sub_u32_e32 v28, 0x71, v7
	v_cmp_eq_u32_e32 vcc, 0, v7
	v_cndmask_b32_e64 v28, 0, v28, s[28:29]
	v_mov_b32_e32 v30, 0x70
	v_cndmask_b32_e32 v32, v28, v30, vcc
	v_add_u32_e32 v30, 21, v32
	v_or_b32_e32 v29, 0x800000, v33
	v_lshlrev_b64 v[54:55], v30, -1
	v_cndmask_b32_e32 v28, v29, v33, vcc
	v_mov_b32_e32 v29, v34
	v_add_u32_e32 v30, 20, v32
	v_bfi_b32 v54, v54, 0, v28
	v_lshlrev_b64 v[40:41], v30, 1
	v_lshrrev_b64 v[28:29], v32, v[28:29]
	v_bfi_b32 v55, v55, 0, 0
	v_cmp_eq_u64_e64 s[28:29], v[54:55], v[40:41]
	v_mov_b32_e32 v30, v29
	v_mov_b32_e32 v29, v28
	s_and_saveexec_b64 s[38:39], s[28:29]
; %bb.377:                              ;   in Loop: Header=BB6_357 Depth=4
	v_bfe_u32 v29, v28, 21, 1
	v_add_co_u32_e64 v29, s[28:29], v28, v29
	v_add_co_u32_e64 v29, s[28:29], -1, v29
; %bb.378:                              ;   in Loop: Header=BB6_357 Depth=4
	s_or_b64 exec, exec, s[38:39]
	v_add_u32_e32 v7, 0xffffff81, v7
	v_mov_b32_e32 v30, 0xffffff82
	v_cndmask_b32_e32 v7, v7, v30, vcc
	v_lshrrev_b32_e32 v30, 23, v28
	v_add3_u32 v32, v32, v7, v30
	v_add_u32_e32 v30, 14, v32
	v_and_b32_e32 v7, 0x1fffff, v29
	v_add_u32_e32 v33, v7, v28
	v_cmp_ne_u32_e32 vcc, 0, v30
                                        ; implicit-def: $vgpr28_vgpr29
                                        ; implicit-def: $vgpr7
	s_and_saveexec_b64 s[28:29], vcc
	s_xor_b64 s[28:29], exec, s[28:29]
; %bb.379:                              ;   in Loop: Header=BB6_357 Depth=4
	v_cmp_lt_u64_e32 vcc, s[88:89], v[33:34]
	v_add_u32_e32 v7, 15, v32
	v_cndmask_b32_e64 v28, 0, 1, vcc
	v_cndmask_b32_e32 v7, v30, v7, vcc
	v_lshrrev_b64 v[28:29], v28, v[33:34]
; %bb.380:                              ;   in Loop: Header=BB6_357 Depth=4
	s_andn2_saveexec_b64 s[28:29], s[28:29]
; %bb.381:                              ;   in Loop: Header=BB6_357 Depth=4
	v_mov_b32_e32 v28, v33
	v_mov_b32_e32 v29, v34
	v_bfe_u32 v7, v33, 23, 1
; %bb.382:                              ;   in Loop: Header=BB6_357 Depth=4
	s_or_b64 exec, exec, s[28:29]
	v_lshrrev_b64 v[28:29], 21, v[28:29]
	v_cmp_gt_i32_e32 vcc, 32, v7
	v_cndmask_b32_e32 v29, 0, v29, vcc
	v_cndmask_b32_e32 v28, 3, v28, vcc
	v_cmp_eq_u32_e32 vcc, 0, v7
	v_min_i32_e32 v7, 31, v7
	v_cmp_eq_u64_e64 s[28:29], 0, v[28:29]
	v_lshlrev_b32_e32 v7, 2, v7
	v_and_b32_e32 v7, 0xfc, v7
	v_and_or_b32 v7, v28, 3, v7
	s_and_b64 s[28:29], vcc, s[28:29]
	v_cndmask_b32_e64 v7, v7, 0, s[28:29]
	v_or_b32_e32 v58, v7, v4
.LBB6_383:                              ;   in Loop: Header=BB6_357 Depth=4
	s_or_b64 exec, exec, s[36:37]
                                        ; implicit-def: $vgpr4
.LBB6_384:                              ;   in Loop: Header=BB6_357 Depth=4
	s_andn2_saveexec_b64 s[28:29], s[34:35]
; %bb.385:                              ;   in Loop: Header=BB6_357 Depth=4
	v_or_b32_e32 v58, 0x7b, v4
; %bb.386:                              ;   in Loop: Header=BB6_357 Depth=4
	s_or_b64 exec, exec, s[28:29]
                                        ; implicit-def: $vgpr7
.LBB6_387:                              ;   in Loop: Header=BB6_357 Depth=4
	s_andn2_saveexec_b64 s[28:29], s[30:31]
	s_cbranch_execz .LBB6_393
; %bb.388:                              ;   in Loop: Header=BB6_357 Depth=4
	v_cmp_ne_u64_e32 vcc, 0, v[33:34]
                                        ; implicit-def: $vgpr58
	s_and_saveexec_b64 s[30:31], vcc
	s_xor_b64 vcc, exec, s[30:31]
; %bb.389:                              ;   in Loop: Header=BB6_357 Depth=4
	v_or_b32_sdwa v58, v7, s83 dst_sel:DWORD dst_unused:UNUSED_PAD src0_sel:BYTE_3 src1_sel:DWORD
                                        ; implicit-def: $vgpr7
; %bb.390:                              ;   in Loop: Header=BB6_357 Depth=4
	s_andn2_saveexec_b64 s[30:31], vcc
; %bb.391:                              ;   in Loop: Header=BB6_357 Depth=4
	v_cmp_lt_i32_e32 vcc, -1, v7
	v_bfrev_b32_e32 v4, 0.5
	v_mov_b32_e32 v7, 0x7c
	v_cndmask_b32_e32 v58, v4, v7, vcc
; %bb.392:                              ;   in Loop: Header=BB6_357 Depth=4
	s_or_b64 exec, exec, s[30:31]
.LBB6_393:                              ;   in Loop: Header=BB6_357 Depth=4
	s_or_b64 exec, exec, s[28:29]
	v_lshrrev_b16_e32 v28, 8, v48
	v_cmp_ne_u16_e32 vcc, 0, v28
	v_mov_b32_e32 v4, 0
	v_mov_b32_e32 v7, 0
	s_and_saveexec_b64 s[28:29], vcc
	s_cbranch_execz .LBB6_401
; %bb.394:                              ;   in Loop: Header=BB6_357 Depth=4
	v_cmp_ne_u16_e32 vcc, s44, v28
	v_bfrev_b32_e32 v7, 1
	s_and_saveexec_b64 s[30:31], vcc
	s_cbranch_execz .LBB6_400
; %bb.395:                              ;   in Loop: Header=BB6_357 Depth=4
	v_and_b32_e32 v7, 0x7c, v28
	v_and_b32_e32 v30, 3, v28
	v_cmp_ne_u32_e32 vcc, s81, v7
                                        ; implicit-def: $vgpr7
	s_and_saveexec_b64 s[34:35], vcc
	s_xor_b64 s[34:35], exec, s[34:35]
	s_cbranch_execz .LBB6_397
; %bb.396:                              ;   in Loop: Header=BB6_357 Depth=4
	v_ffbh_u32_e32 v32, v30
	v_min_u32_e32 v32, 32, v32
	v_mov_b32_e32 v29, v34
	v_subrev_u32_e32 v33, 29, v32
	v_bfe_u32 v7, v28, 2, 5
	v_lshlrev_b64 v[28:29], v33, v[28:29]
	v_sub_u32_e32 v29, 30, v32
	v_cmp_eq_u32_e32 vcc, 0, v7
	v_cndmask_b32_e32 v7, v7, v29, vcc
	v_lshlrev_b32_e32 v29, 16, v48
	v_and_b32_e32 v28, 3, v28
	v_and_b32_e32 v29, 0x80000000, v29
	v_cndmask_b32_e32 v28, v30, v28, vcc
	v_lshl_add_u32 v7, v7, 23, v29
	v_lshl_or_b32 v7, v28, 21, v7
	v_add_u32_e32 v7, 0x38000000, v7
                                        ; implicit-def: $vgpr30
.LBB6_397:                              ;   in Loop: Header=BB6_357 Depth=4
	s_andn2_saveexec_b64 s[34:35], s[34:35]
; %bb.398:                              ;   in Loop: Header=BB6_357 Depth=4
	v_cmp_lt_i16_e32 vcc, -1, v48
	v_mov_b32_e32 v7, 0xff800000
	v_mov_b32_e32 v28, 0x7f800000
	v_cndmask_b32_e32 v7, v7, v28, vcc
	v_cmp_eq_u32_e32 vcc, 0, v30
	v_mov_b32_e32 v28, 0x7f800001
	v_cndmask_b32_e32 v7, v28, v7, vcc
; %bb.399:                              ;   in Loop: Header=BB6_357 Depth=4
	s_or_b64 exec, exec, s[34:35]
.LBB6_400:                              ;   in Loop: Header=BB6_357 Depth=4
	s_or_b64 exec, exec, s[30:31]
.LBB6_401:                              ;   in Loop: Header=BB6_357 Depth=4
	s_or_b64 exec, exec, s[28:29]
	v_lshrrev_b16_e32 v28, 8, v36
	v_cmp_ne_u16_e32 vcc, 0, v28
	s_and_saveexec_b64 s[28:29], vcc
	s_cbranch_execz .LBB6_409
; %bb.402:                              ;   in Loop: Header=BB6_357 Depth=4
	v_cmp_ne_u16_e32 vcc, s44, v28
	v_bfrev_b32_e32 v4, 1
	s_and_saveexec_b64 s[30:31], vcc
	s_cbranch_execz .LBB6_408
; %bb.403:                              ;   in Loop: Header=BB6_357 Depth=4
	v_and_b32_e32 v4, 0x7c, v28
	v_and_b32_e32 v30, 3, v28
	v_cmp_ne_u32_e32 vcc, s81, v4
                                        ; implicit-def: $vgpr4
	s_and_saveexec_b64 s[34:35], vcc
	s_xor_b64 s[34:35], exec, s[34:35]
	s_cbranch_execz .LBB6_405
; %bb.404:                              ;   in Loop: Header=BB6_357 Depth=4
	v_ffbh_u32_e32 v32, v30
	v_min_u32_e32 v32, 32, v32
	v_mov_b32_e32 v29, v34
	v_subrev_u32_e32 v33, 29, v32
	v_bfe_u32 v4, v28, 2, 5
	v_lshlrev_b64 v[28:29], v33, v[28:29]
	v_sub_u32_e32 v29, 30, v32
	v_cmp_eq_u32_e32 vcc, 0, v4
	v_cndmask_b32_e32 v4, v4, v29, vcc
	v_lshlrev_b32_e32 v29, 16, v36
	v_and_b32_e32 v28, 3, v28
	v_and_b32_e32 v29, 0x80000000, v29
	v_cndmask_b32_e32 v28, v30, v28, vcc
	v_lshl_add_u32 v4, v4, 23, v29
	v_lshl_or_b32 v4, v28, 21, v4
	v_add_u32_e32 v4, 0x38000000, v4
                                        ; implicit-def: $vgpr30
.LBB6_405:                              ;   in Loop: Header=BB6_357 Depth=4
	s_andn2_saveexec_b64 s[34:35], s[34:35]
; %bb.406:                              ;   in Loop: Header=BB6_357 Depth=4
	v_cmp_lt_i16_e32 vcc, -1, v36
	v_mov_b32_e32 v4, 0xff800000
	v_mov_b32_e32 v28, 0x7f800000
	v_cndmask_b32_e32 v4, v4, v28, vcc
	v_cmp_eq_u32_e32 vcc, 0, v30
	v_mov_b32_e32 v28, 0x7f800001
	v_cndmask_b32_e32 v4, v28, v4, vcc
; %bb.407:                              ;   in Loop: Header=BB6_357 Depth=4
	s_or_b64 exec, exec, s[34:35]
.LBB6_408:                              ;   in Loop: Header=BB6_357 Depth=4
	s_or_b64 exec, exec, s[30:31]
.LBB6_409:                              ;   in Loop: Header=BB6_357 Depth=4
	s_or_b64 exec, exec, s[28:29]
	v_mul_f32_e32 v7, v7, v4
	v_and_b32_e32 v28, 0x7f800000, v7
	v_mov_b32_e32 v29, v34
	v_cmp_ne_u64_e32 vcc, s[76:77], v[28:29]
	v_and_b32_e32 v33, 0x7fffff, v7
                                        ; implicit-def: $vgpr4
                                        ; kill: killed $vgpr4
	s_and_saveexec_b64 s[28:29], vcc
	s_xor_b64 s[30:31], exec, s[28:29]
	s_cbranch_execz .LBB6_423
; %bb.410:                              ;   in Loop: Header=BB6_357 Depth=4
	v_and_b32_e32 v28, 0x7fffffff, v7
	v_mov_b32_e32 v29, v34
	v_cmp_gt_u64_e32 vcc, s[78:79], v[28:29]
	v_and_b32_sdwa v4, v7, s44 dst_sel:DWORD dst_unused:UNUSED_PAD src0_sel:BYTE_3 src1_sel:DWORD
                                        ; implicit-def: $vgpr28
                                        ; kill: killed $vgpr28
	s_and_saveexec_b64 s[28:29], vcc
	s_xor_b64 s[34:35], exec, s[28:29]
	s_cbranch_execz .LBB6_420
; %bb.411:                              ;   in Loop: Header=BB6_357 Depth=4
	v_mov_b32_e32 v28, 0
	v_cmp_ne_u32_e32 vcc, 0, v7
	buffer_store_dword v28, off, s[0:3], s33 offset:92 ; 4-byte Folded Spill
	s_and_saveexec_b64 s[36:37], vcc
	s_cbranch_execz .LBB6_419
; %bb.412:                              ;   in Loop: Header=BB6_357 Depth=4
	v_bfe_u32 v7, v7, 23, 8
	v_cmp_gt_u32_e64 s[28:29], s45, v7
	v_sub_u32_e32 v28, 0x71, v7
	v_cmp_eq_u32_e32 vcc, 0, v7
	v_cndmask_b32_e64 v28, 0, v28, s[28:29]
	v_mov_b32_e32 v30, 0x70
	v_cndmask_b32_e32 v32, v28, v30, vcc
	v_add_u32_e32 v30, 21, v32
	v_or_b32_e32 v29, 0x800000, v33
	v_lshlrev_b64 v[54:55], v30, -1
	v_cndmask_b32_e32 v28, v29, v33, vcc
	v_mov_b32_e32 v29, v34
	v_add_u32_e32 v30, 20, v32
	v_bfi_b32 v54, v54, 0, v28
	v_lshlrev_b64 v[40:41], v30, 1
	v_lshrrev_b64 v[28:29], v32, v[28:29]
	v_bfi_b32 v55, v55, 0, 0
	v_cmp_eq_u64_e64 s[28:29], v[54:55], v[40:41]
	v_mov_b32_e32 v30, v29
	v_mov_b32_e32 v29, v28
	s_and_saveexec_b64 s[38:39], s[28:29]
; %bb.413:                              ;   in Loop: Header=BB6_357 Depth=4
	v_bfe_u32 v29, v28, 21, 1
	v_add_co_u32_e64 v29, s[28:29], v28, v29
	v_add_co_u32_e64 v29, s[28:29], -1, v29
; %bb.414:                              ;   in Loop: Header=BB6_357 Depth=4
	s_or_b64 exec, exec, s[38:39]
	v_add_u32_e32 v7, 0xffffff81, v7
	v_mov_b32_e32 v30, 0xffffff82
	v_cndmask_b32_e32 v7, v7, v30, vcc
	v_lshrrev_b32_e32 v30, 23, v28
	v_add3_u32 v32, v32, v7, v30
	v_add_u32_e32 v30, 14, v32
	v_and_b32_e32 v7, 0x1fffff, v29
	v_add_u32_e32 v33, v7, v28
	v_cmp_ne_u32_e32 vcc, 0, v30
                                        ; implicit-def: $vgpr28_vgpr29
                                        ; implicit-def: $vgpr7
	s_and_saveexec_b64 s[28:29], vcc
	s_xor_b64 s[28:29], exec, s[28:29]
; %bb.415:                              ;   in Loop: Header=BB6_357 Depth=4
	v_cmp_lt_u64_e32 vcc, s[88:89], v[33:34]
	v_add_u32_e32 v7, 15, v32
	v_cndmask_b32_e64 v28, 0, 1, vcc
	v_cndmask_b32_e32 v7, v30, v7, vcc
	v_lshrrev_b64 v[28:29], v28, v[33:34]
; %bb.416:                              ;   in Loop: Header=BB6_357 Depth=4
	s_andn2_saveexec_b64 s[28:29], s[28:29]
; %bb.417:                              ;   in Loop: Header=BB6_357 Depth=4
	v_mov_b32_e32 v28, v33
	v_mov_b32_e32 v29, v34
	v_bfe_u32 v7, v33, 23, 1
; %bb.418:                              ;   in Loop: Header=BB6_357 Depth=4
	s_or_b64 exec, exec, s[28:29]
	v_lshrrev_b64 v[28:29], 21, v[28:29]
	v_cmp_gt_i32_e32 vcc, 32, v7
	v_cndmask_b32_e32 v29, 0, v29, vcc
	v_cndmask_b32_e32 v28, 3, v28, vcc
	v_cmp_eq_u32_e32 vcc, 0, v7
	v_min_i32_e32 v7, 31, v7
	v_cmp_eq_u64_e64 s[28:29], 0, v[28:29]
	v_lshlrev_b32_e32 v7, 2, v7
	v_and_b32_e32 v7, 0xfc, v7
	v_and_or_b32 v7, v28, 3, v7
	s_and_b64 s[28:29], vcc, s[28:29]
	v_cndmask_b32_e64 v7, v7, 0, s[28:29]
	v_or_b32_e32 v4, v7, v4
	buffer_store_dword v4, off, s[0:3], s33 offset:92 ; 4-byte Folded Spill
.LBB6_419:                              ;   in Loop: Header=BB6_357 Depth=4
	s_or_b64 exec, exec, s[36:37]
                                        ; implicit-def: $vgpr4
.LBB6_420:                              ;   in Loop: Header=BB6_357 Depth=4
	s_andn2_saveexec_b64 s[28:29], s[34:35]
	s_cbranch_execz .LBB6_422
; %bb.421:                              ;   in Loop: Header=BB6_357 Depth=4
	v_or_b32_e32 v4, 0x7b, v4
	buffer_store_dword v4, off, s[0:3], s33 offset:92 ; 4-byte Folded Spill
.LBB6_422:                              ;   in Loop: Header=BB6_357 Depth=4
	s_or_b64 exec, exec, s[28:29]
                                        ; implicit-def: $vgpr7
.LBB6_423:                              ;   in Loop: Header=BB6_357 Depth=4
	s_andn2_saveexec_b64 s[28:29], s[30:31]
	s_cbranch_execz .LBB6_429
; %bb.424:                              ;   in Loop: Header=BB6_357 Depth=4
	v_cmp_ne_u64_e32 vcc, 0, v[33:34]
                                        ; implicit-def: $vgpr4
                                        ; kill: killed $vgpr4
	s_and_saveexec_b64 s[30:31], vcc
	s_xor_b64 vcc, exec, s[30:31]
	s_cbranch_execz .LBB6_426
; %bb.425:                              ;   in Loop: Header=BB6_357 Depth=4
	v_or_b32_sdwa v4, v7, s83 dst_sel:DWORD dst_unused:UNUSED_PAD src0_sel:BYTE_3 src1_sel:DWORD
	buffer_store_dword v4, off, s[0:3], s33 offset:92 ; 4-byte Folded Spill
                                        ; implicit-def: $vgpr7
.LBB6_426:                              ;   in Loop: Header=BB6_357 Depth=4
	s_andn2_saveexec_b64 s[30:31], vcc
	s_cbranch_execz .LBB6_428
; %bb.427:                              ;   in Loop: Header=BB6_357 Depth=4
	v_cmp_lt_i32_e32 vcc, -1, v7
	v_bfrev_b32_e32 v4, 0.5
	v_mov_b32_e32 v7, 0x7c
	v_cndmask_b32_e32 v4, v4, v7, vcc
	buffer_store_dword v4, off, s[0:3], s33 offset:92 ; 4-byte Folded Spill
.LBB6_428:                              ;   in Loop: Header=BB6_357 Depth=4
	s_or_b64 exec, exec, s[30:31]
.LBB6_429:                              ;   in Loop: Header=BB6_357 Depth=4
	s_or_b64 exec, exec, s[28:29]
	v_lshrrev_b32_e32 v7, 16, v48
	v_cmp_ne_u16_sdwa vcc, v7, v34 src0_sel:BYTE_0 src1_sel:DWORD
	v_mov_b32_e32 v4, 0
	v_mov_b32_e32 v28, 0
	s_and_saveexec_b64 s[28:29], vcc
	s_cbranch_execz .LBB6_437
; %bb.430:                              ;   in Loop: Header=BB6_357 Depth=4
	v_cmp_ne_u16_sdwa vcc, v7, s44 src0_sel:BYTE_0 src1_sel:DWORD
	v_bfrev_b32_e32 v28, 1
	s_and_saveexec_b64 s[30:31], vcc
	s_cbranch_execz .LBB6_436
; %bb.431:                              ;   in Loop: Header=BB6_357 Depth=4
	v_and_b32_e32 v28, 0x7c0000, v48
	v_bfe_u32 v29, v48, 16, 2
	v_cmp_ne_u32_e32 vcc, s9, v28
                                        ; implicit-def: $vgpr28
	s_and_saveexec_b64 s[34:35], vcc
	s_xor_b64 s[34:35], exec, s[34:35]
	s_cbranch_execz .LBB6_433
; %bb.432:                              ;   in Loop: Header=BB6_357 Depth=4
	v_ffbh_u32_e32 v30, v29
	v_min_u32_e32 v30, 32, v30
	v_subrev_u32_e32 v32, 29, v30
	s_waitcnt vmcnt(0)
	v_lshlrev_b64 v[32:33], v32, v[7:8]
	v_bfe_u32 v28, v48, 18, 5
	v_sub_u32_e32 v7, 30, v30
	v_and_b32_e32 v30, 3, v32
	v_cmp_eq_u32_e32 vcc, 0, v28
	v_cndmask_b32_e32 v7, v28, v7, vcc
	v_cndmask_b32_e32 v28, v29, v30, vcc
	v_lshlrev_b32_e32 v29, 8, v48
	v_and_b32_e32 v29, 0x80000000, v29
	v_lshl_add_u32 v7, v7, 23, v29
	v_lshl_or_b32 v7, v28, 21, v7
	v_add_u32_e32 v28, 0x38000000, v7
                                        ; implicit-def: $vgpr29
                                        ; implicit-def: $vgpr7
.LBB6_433:                              ;   in Loop: Header=BB6_357 Depth=4
	s_andn2_saveexec_b64 s[34:35], s[34:35]
; %bb.434:                              ;   in Loop: Header=BB6_357 Depth=4
	v_mov_b32_e32 v28, -1
	v_cmp_gt_i16_sdwa vcc, sext(v7), v28 src0_sel:BYTE_0 src1_sel:DWORD
	v_mov_b32_e32 v7, 0xff800000
	v_mov_b32_e32 v28, 0x7f800000
	v_cndmask_b32_e32 v7, v7, v28, vcc
	v_cmp_eq_u32_e32 vcc, 0, v29
	v_mov_b32_e32 v28, 0x7f800001
	v_cndmask_b32_e32 v28, v28, v7, vcc
; %bb.435:                              ;   in Loop: Header=BB6_357 Depth=4
	s_or_b64 exec, exec, s[34:35]
.LBB6_436:                              ;   in Loop: Header=BB6_357 Depth=4
	s_or_b64 exec, exec, s[30:31]
.LBB6_437:                              ;   in Loop: Header=BB6_357 Depth=4
	s_or_b64 exec, exec, s[28:29]
	v_lshrrev_b32_e32 v7, 16, v36
	v_cmp_ne_u16_sdwa vcc, v7, v34 src0_sel:BYTE_0 src1_sel:DWORD
	s_and_saveexec_b64 s[28:29], vcc
	s_cbranch_execz .LBB6_445
; %bb.438:                              ;   in Loop: Header=BB6_357 Depth=4
	v_cmp_ne_u16_sdwa vcc, v7, s44 src0_sel:BYTE_0 src1_sel:DWORD
	v_bfrev_b32_e32 v4, 1
	s_and_saveexec_b64 s[30:31], vcc
	s_cbranch_execz .LBB6_444
; %bb.439:                              ;   in Loop: Header=BB6_357 Depth=4
	v_and_b32_e32 v4, 0x7c0000, v36
	v_bfe_u32 v29, v36, 16, 2
	v_cmp_ne_u32_e32 vcc, s9, v4
                                        ; implicit-def: $vgpr4
	s_and_saveexec_b64 s[34:35], vcc
	s_xor_b64 s[34:35], exec, s[34:35]
	s_cbranch_execz .LBB6_441
; %bb.440:                              ;   in Loop: Header=BB6_357 Depth=4
	v_ffbh_u32_e32 v30, v29
	v_min_u32_e32 v30, 32, v30
	v_subrev_u32_e32 v32, 29, v30
	s_waitcnt vmcnt(0)
	v_lshlrev_b64 v[32:33], v32, v[7:8]
	v_bfe_u32 v4, v36, 18, 5
	v_sub_u32_e32 v7, 30, v30
	v_and_b32_e32 v30, 3, v32
	v_cmp_eq_u32_e32 vcc, 0, v4
	v_cndmask_b32_e32 v4, v4, v7, vcc
	v_cndmask_b32_e32 v7, v29, v30, vcc
	v_lshlrev_b32_e32 v29, 8, v36
	v_and_b32_e32 v29, 0x80000000, v29
	v_lshl_add_u32 v4, v4, 23, v29
	v_lshl_or_b32 v4, v7, 21, v4
	v_add_u32_e32 v4, 0x38000000, v4
                                        ; implicit-def: $vgpr29
                                        ; implicit-def: $vgpr7
.LBB6_441:                              ;   in Loop: Header=BB6_357 Depth=4
	s_andn2_saveexec_b64 s[34:35], s[34:35]
; %bb.442:                              ;   in Loop: Header=BB6_357 Depth=4
	v_mov_b32_e32 v4, -1
	v_cmp_gt_i16_sdwa vcc, sext(v7), v4 src0_sel:BYTE_0 src1_sel:DWORD
	v_mov_b32_e32 v4, 0xff800000
	v_mov_b32_e32 v7, 0x7f800000
	v_cndmask_b32_e32 v4, v4, v7, vcc
	v_cmp_eq_u32_e32 vcc, 0, v29
	v_mov_b32_e32 v7, 0x7f800001
	v_cndmask_b32_e32 v4, v7, v4, vcc
; %bb.443:                              ;   in Loop: Header=BB6_357 Depth=4
	s_or_b64 exec, exec, s[34:35]
.LBB6_444:                              ;   in Loop: Header=BB6_357 Depth=4
	s_or_b64 exec, exec, s[30:31]
.LBB6_445:                              ;   in Loop: Header=BB6_357 Depth=4
	s_or_b64 exec, exec, s[28:29]
	v_mul_f32_e32 v7, v28, v4
	v_and_b32_e32 v28, 0x7f800000, v7
	v_mov_b32_e32 v29, v34
	v_cmp_ne_u64_e32 vcc, s[76:77], v[28:29]
	v_and_b32_e32 v33, 0x7fffff, v7
                                        ; implicit-def: $vgpr4
                                        ; kill: killed $vgpr4
	s_and_saveexec_b64 s[28:29], vcc
	s_xor_b64 s[30:31], exec, s[28:29]
	s_cbranch_execz .LBB6_459
; %bb.446:                              ;   in Loop: Header=BB6_357 Depth=4
	v_and_b32_e32 v28, 0x7fffffff, v7
	v_mov_b32_e32 v29, v34
	v_cmp_gt_u64_e32 vcc, s[78:79], v[28:29]
	v_and_b32_sdwa v4, v7, s44 dst_sel:DWORD dst_unused:UNUSED_PAD src0_sel:BYTE_3 src1_sel:DWORD
                                        ; implicit-def: $vgpr28
                                        ; kill: killed $vgpr28
	s_and_saveexec_b64 s[28:29], vcc
	s_xor_b64 s[34:35], exec, s[28:29]
	s_cbranch_execz .LBB6_456
; %bb.447:                              ;   in Loop: Header=BB6_357 Depth=4
	v_mov_b32_e32 v28, 0
	v_cmp_ne_u32_e32 vcc, 0, v7
	buffer_store_dword v28, off, s[0:3], s33 offset:104 ; 4-byte Folded Spill
	s_and_saveexec_b64 s[36:37], vcc
	s_cbranch_execz .LBB6_455
; %bb.448:                              ;   in Loop: Header=BB6_357 Depth=4
	v_bfe_u32 v7, v7, 23, 8
	v_cmp_gt_u32_e64 s[28:29], s45, v7
	v_sub_u32_e32 v28, 0x71, v7
	v_cmp_eq_u32_e32 vcc, 0, v7
	v_cndmask_b32_e64 v28, 0, v28, s[28:29]
	v_mov_b32_e32 v30, 0x70
	v_cndmask_b32_e32 v32, v28, v30, vcc
	v_add_u32_e32 v30, 21, v32
	v_or_b32_e32 v29, 0x800000, v33
	v_lshlrev_b64 v[54:55], v30, -1
	v_cndmask_b32_e32 v28, v29, v33, vcc
	v_mov_b32_e32 v29, v34
	v_add_u32_e32 v30, 20, v32
	v_bfi_b32 v54, v54, 0, v28
	v_lshlrev_b64 v[40:41], v30, 1
	v_lshrrev_b64 v[28:29], v32, v[28:29]
	v_bfi_b32 v55, v55, 0, 0
	v_cmp_eq_u64_e64 s[28:29], v[54:55], v[40:41]
	v_mov_b32_e32 v30, v29
	v_mov_b32_e32 v29, v28
	s_and_saveexec_b64 s[38:39], s[28:29]
; %bb.449:                              ;   in Loop: Header=BB6_357 Depth=4
	v_bfe_u32 v29, v28, 21, 1
	v_add_co_u32_e64 v29, s[28:29], v28, v29
	v_add_co_u32_e64 v29, s[28:29], -1, v29
; %bb.450:                              ;   in Loop: Header=BB6_357 Depth=4
	s_or_b64 exec, exec, s[38:39]
	v_add_u32_e32 v7, 0xffffff81, v7
	v_mov_b32_e32 v30, 0xffffff82
	v_cndmask_b32_e32 v7, v7, v30, vcc
	v_lshrrev_b32_e32 v30, 23, v28
	v_add3_u32 v32, v32, v7, v30
	v_add_u32_e32 v30, 14, v32
	v_and_b32_e32 v7, 0x1fffff, v29
	v_add_u32_e32 v33, v7, v28
	v_cmp_ne_u32_e32 vcc, 0, v30
                                        ; implicit-def: $vgpr28_vgpr29
                                        ; implicit-def: $vgpr7
	s_and_saveexec_b64 s[28:29], vcc
	s_xor_b64 s[28:29], exec, s[28:29]
; %bb.451:                              ;   in Loop: Header=BB6_357 Depth=4
	v_cmp_lt_u64_e32 vcc, s[88:89], v[33:34]
	v_add_u32_e32 v7, 15, v32
	v_cndmask_b32_e64 v28, 0, 1, vcc
	v_cndmask_b32_e32 v7, v30, v7, vcc
	v_lshrrev_b64 v[28:29], v28, v[33:34]
; %bb.452:                              ;   in Loop: Header=BB6_357 Depth=4
	s_andn2_saveexec_b64 s[28:29], s[28:29]
; %bb.453:                              ;   in Loop: Header=BB6_357 Depth=4
	v_mov_b32_e32 v28, v33
	v_mov_b32_e32 v29, v34
	v_bfe_u32 v7, v33, 23, 1
; %bb.454:                              ;   in Loop: Header=BB6_357 Depth=4
	s_or_b64 exec, exec, s[28:29]
	v_lshrrev_b64 v[28:29], 21, v[28:29]
	v_cmp_gt_i32_e32 vcc, 32, v7
	v_cndmask_b32_e32 v29, 0, v29, vcc
	v_cndmask_b32_e32 v28, 3, v28, vcc
	v_cmp_eq_u32_e32 vcc, 0, v7
	v_min_i32_e32 v7, 31, v7
	v_cmp_eq_u64_e64 s[28:29], 0, v[28:29]
	v_lshlrev_b32_e32 v7, 2, v7
	v_and_b32_e32 v7, 0xfc, v7
	v_and_or_b32 v7, v28, 3, v7
	s_and_b64 s[28:29], vcc, s[28:29]
	v_cndmask_b32_e64 v7, v7, 0, s[28:29]
	v_or_b32_e32 v4, v7, v4
	buffer_store_dword v4, off, s[0:3], s33 offset:104 ; 4-byte Folded Spill
.LBB6_455:                              ;   in Loop: Header=BB6_357 Depth=4
	s_or_b64 exec, exec, s[36:37]
                                        ; implicit-def: $vgpr4
.LBB6_456:                              ;   in Loop: Header=BB6_357 Depth=4
	s_andn2_saveexec_b64 s[28:29], s[34:35]
	s_cbranch_execz .LBB6_458
; %bb.457:                              ;   in Loop: Header=BB6_357 Depth=4
	v_or_b32_e32 v4, 0x7b, v4
	buffer_store_dword v4, off, s[0:3], s33 offset:104 ; 4-byte Folded Spill
.LBB6_458:                              ;   in Loop: Header=BB6_357 Depth=4
	s_or_b64 exec, exec, s[28:29]
                                        ; implicit-def: $vgpr7
.LBB6_459:                              ;   in Loop: Header=BB6_357 Depth=4
	s_andn2_saveexec_b64 s[28:29], s[30:31]
	s_cbranch_execz .LBB6_465
; %bb.460:                              ;   in Loop: Header=BB6_357 Depth=4
	v_cmp_ne_u64_e32 vcc, 0, v[33:34]
                                        ; implicit-def: $vgpr4
                                        ; kill: killed $vgpr4
	s_and_saveexec_b64 s[30:31], vcc
	s_xor_b64 vcc, exec, s[30:31]
	s_cbranch_execz .LBB6_462
; %bb.461:                              ;   in Loop: Header=BB6_357 Depth=4
	v_or_b32_sdwa v4, v7, s83 dst_sel:DWORD dst_unused:UNUSED_PAD src0_sel:BYTE_3 src1_sel:DWORD
	buffer_store_dword v4, off, s[0:3], s33 offset:104 ; 4-byte Folded Spill
                                        ; implicit-def: $vgpr7
.LBB6_462:                              ;   in Loop: Header=BB6_357 Depth=4
	s_andn2_saveexec_b64 s[30:31], vcc
	s_cbranch_execz .LBB6_464
; %bb.463:                              ;   in Loop: Header=BB6_357 Depth=4
	v_cmp_lt_i32_e32 vcc, -1, v7
	v_bfrev_b32_e32 v4, 0.5
	v_mov_b32_e32 v7, 0x7c
	v_cndmask_b32_e32 v4, v4, v7, vcc
	buffer_store_dword v4, off, s[0:3], s33 offset:104 ; 4-byte Folded Spill
.LBB6_464:                              ;   in Loop: Header=BB6_357 Depth=4
	s_or_b64 exec, exec, s[30:31]
.LBB6_465:                              ;   in Loop: Header=BB6_357 Depth=4
	s_or_b64 exec, exec, s[28:29]
	v_cmp_lt_u32_e32 vcc, s57, v48
	v_mov_b32_e32 v4, 0
	v_mov_b32_e32 v28, 0
	s_and_saveexec_b64 s[28:29], vcc
	s_cbranch_execz .LBB6_473
; %bb.466:                              ;   in Loop: Header=BB6_357 Depth=4
	v_lshrrev_b32_e32 v7, 24, v48
	v_cmp_ne_u32_e32 vcc, s44, v7
	v_bfrev_b32_e32 v28, 1
	s_and_saveexec_b64 s[30:31], vcc
	s_cbranch_execz .LBB6_472
; %bb.467:                              ;   in Loop: Header=BB6_357 Depth=4
	v_and_b32_e32 v28, 0x7c000000, v48
	v_bfe_u32 v29, v48, 24, 2
	v_cmp_ne_u32_e32 vcc, s8, v28
                                        ; implicit-def: $vgpr28
	s_and_saveexec_b64 s[34:35], vcc
	s_xor_b64 s[34:35], exec, s[34:35]
	s_cbranch_execz .LBB6_469
; %bb.468:                              ;   in Loop: Header=BB6_357 Depth=4
	v_ffbh_u32_e32 v30, v29
	v_min_u32_e32 v30, 32, v30
	v_subrev_u32_e32 v32, 29, v30
	s_waitcnt vmcnt(0)
	v_lshlrev_b64 v[32:33], v32, v[7:8]
	v_bfe_u32 v28, v48, 26, 5
	v_sub_u32_e32 v7, 30, v30
	v_and_b32_e32 v30, 3, v32
	v_cmp_eq_u32_e32 vcc, 0, v28
	v_cndmask_b32_e32 v7, v28, v7, vcc
	v_cndmask_b32_e32 v28, v29, v30, vcc
	v_and_b32_e32 v29, 0x80000000, v48
	v_lshl_add_u32 v7, v7, 23, v29
	v_lshl_or_b32 v7, v28, 21, v7
	v_add_u32_e32 v28, 0x38000000, v7
                                        ; implicit-def: $vgpr29
.LBB6_469:                              ;   in Loop: Header=BB6_357 Depth=4
	s_andn2_saveexec_b64 s[34:35], s[34:35]
; %bb.470:                              ;   in Loop: Header=BB6_357 Depth=4
	v_cmp_lt_i32_e32 vcc, -1, v48
	v_mov_b32_e32 v7, 0xff800000
	v_mov_b32_e32 v28, 0x7f800000
	v_cndmask_b32_e32 v7, v7, v28, vcc
	v_cmp_eq_u32_e32 vcc, 0, v29
	v_mov_b32_e32 v28, 0x7f800001
	v_cndmask_b32_e32 v28, v28, v7, vcc
; %bb.471:                              ;   in Loop: Header=BB6_357 Depth=4
	s_or_b64 exec, exec, s[34:35]
.LBB6_472:                              ;   in Loop: Header=BB6_357 Depth=4
	s_or_b64 exec, exec, s[30:31]
.LBB6_473:                              ;   in Loop: Header=BB6_357 Depth=4
	s_or_b64 exec, exec, s[28:29]
	v_cmp_lt_u32_e32 vcc, s57, v36
	s_and_saveexec_b64 s[28:29], vcc
	s_cbranch_execz .LBB6_481
; %bb.474:                              ;   in Loop: Header=BB6_357 Depth=4
	v_lshrrev_b32_e32 v7, 24, v36
	v_cmp_ne_u32_e32 vcc, s44, v7
	v_bfrev_b32_e32 v4, 1
	s_and_saveexec_b64 s[30:31], vcc
	s_cbranch_execz .LBB6_480
; %bb.475:                              ;   in Loop: Header=BB6_357 Depth=4
	v_and_b32_e32 v4, 0x7c000000, v36
	v_bfe_u32 v29, v36, 24, 2
	v_cmp_ne_u32_e32 vcc, s8, v4
                                        ; implicit-def: $vgpr4
	s_and_saveexec_b64 s[34:35], vcc
	s_xor_b64 s[34:35], exec, s[34:35]
	s_cbranch_execz .LBB6_477
; %bb.476:                              ;   in Loop: Header=BB6_357 Depth=4
	v_ffbh_u32_e32 v30, v29
	v_min_u32_e32 v30, 32, v30
	v_subrev_u32_e32 v32, 29, v30
	s_waitcnt vmcnt(0)
	v_lshlrev_b64 v[32:33], v32, v[7:8]
	v_bfe_u32 v4, v36, 26, 5
	v_sub_u32_e32 v7, 30, v30
	v_and_b32_e32 v30, 3, v32
	v_cmp_eq_u32_e32 vcc, 0, v4
	v_cndmask_b32_e32 v4, v4, v7, vcc
	v_cndmask_b32_e32 v7, v29, v30, vcc
	v_and_b32_e32 v29, 0x80000000, v36
	v_lshl_add_u32 v4, v4, 23, v29
	v_lshl_or_b32 v4, v7, 21, v4
	v_add_u32_e32 v4, 0x38000000, v4
                                        ; implicit-def: $vgpr29
.LBB6_477:                              ;   in Loop: Header=BB6_357 Depth=4
	s_andn2_saveexec_b64 s[34:35], s[34:35]
; %bb.478:                              ;   in Loop: Header=BB6_357 Depth=4
	v_cmp_lt_i32_e32 vcc, -1, v36
	v_mov_b32_e32 v4, 0xff800000
	v_mov_b32_e32 v7, 0x7f800000
	v_cndmask_b32_e32 v4, v4, v7, vcc
	v_cmp_eq_u32_e32 vcc, 0, v29
	v_mov_b32_e32 v7, 0x7f800001
	v_cndmask_b32_e32 v4, v7, v4, vcc
; %bb.479:                              ;   in Loop: Header=BB6_357 Depth=4
	s_or_b64 exec, exec, s[34:35]
.LBB6_480:                              ;   in Loop: Header=BB6_357 Depth=4
	s_or_b64 exec, exec, s[30:31]
.LBB6_481:                              ;   in Loop: Header=BB6_357 Depth=4
	s_or_b64 exec, exec, s[28:29]
	v_mul_f32_e32 v7, v28, v4
	v_and_b32_e32 v28, 0x7f800000, v7
	v_mov_b32_e32 v29, v34
	v_cmp_ne_u64_e32 vcc, s[76:77], v[28:29]
	v_and_b32_e32 v33, 0x7fffff, v7
                                        ; implicit-def: $vgpr4
                                        ; kill: killed $vgpr4
	s_and_saveexec_b64 s[28:29], vcc
	s_xor_b64 s[30:31], exec, s[28:29]
	s_cbranch_execz .LBB6_495
; %bb.482:                              ;   in Loop: Header=BB6_357 Depth=4
	v_and_b32_e32 v28, 0x7fffffff, v7
	v_mov_b32_e32 v29, v34
	v_cmp_gt_u64_e32 vcc, s[78:79], v[28:29]
	v_and_b32_sdwa v4, v7, s44 dst_sel:DWORD dst_unused:UNUSED_PAD src0_sel:BYTE_3 src1_sel:DWORD
                                        ; implicit-def: $vgpr28
                                        ; kill: killed $vgpr28
	s_and_saveexec_b64 s[28:29], vcc
	s_xor_b64 s[34:35], exec, s[28:29]
	s_cbranch_execz .LBB6_492
; %bb.483:                              ;   in Loop: Header=BB6_357 Depth=4
	v_mov_b32_e32 v28, 0
	v_cmp_ne_u32_e32 vcc, 0, v7
	buffer_store_dword v28, off, s[0:3], s33 offset:112 ; 4-byte Folded Spill
	s_and_saveexec_b64 s[36:37], vcc
	s_cbranch_execz .LBB6_491
; %bb.484:                              ;   in Loop: Header=BB6_357 Depth=4
	v_bfe_u32 v7, v7, 23, 8
	v_cmp_gt_u32_e64 s[28:29], s45, v7
	v_sub_u32_e32 v28, 0x71, v7
	v_cmp_eq_u32_e32 vcc, 0, v7
	v_cndmask_b32_e64 v28, 0, v28, s[28:29]
	v_mov_b32_e32 v30, 0x70
	v_cndmask_b32_e32 v32, v28, v30, vcc
	v_add_u32_e32 v30, 21, v32
	v_or_b32_e32 v29, 0x800000, v33
	v_lshlrev_b64 v[54:55], v30, -1
	v_cndmask_b32_e32 v28, v29, v33, vcc
	v_mov_b32_e32 v29, v34
	v_add_u32_e32 v30, 20, v32
	v_bfi_b32 v54, v54, 0, v28
	v_lshlrev_b64 v[40:41], v30, 1
	v_lshrrev_b64 v[28:29], v32, v[28:29]
	v_bfi_b32 v55, v55, 0, 0
	v_cmp_eq_u64_e64 s[28:29], v[54:55], v[40:41]
	v_mov_b32_e32 v30, v29
	v_mov_b32_e32 v29, v28
	s_and_saveexec_b64 s[38:39], s[28:29]
; %bb.485:                              ;   in Loop: Header=BB6_357 Depth=4
	v_bfe_u32 v29, v28, 21, 1
	v_add_co_u32_e64 v29, s[28:29], v28, v29
	v_add_co_u32_e64 v29, s[28:29], -1, v29
; %bb.486:                              ;   in Loop: Header=BB6_357 Depth=4
	s_or_b64 exec, exec, s[38:39]
	v_add_u32_e32 v7, 0xffffff81, v7
	v_mov_b32_e32 v30, 0xffffff82
	v_cndmask_b32_e32 v7, v7, v30, vcc
	v_lshrrev_b32_e32 v30, 23, v28
	v_add3_u32 v32, v32, v7, v30
	v_add_u32_e32 v30, 14, v32
	v_and_b32_e32 v7, 0x1fffff, v29
	v_add_u32_e32 v33, v7, v28
	v_cmp_ne_u32_e32 vcc, 0, v30
                                        ; implicit-def: $vgpr28_vgpr29
                                        ; implicit-def: $vgpr7
	s_and_saveexec_b64 s[28:29], vcc
	s_xor_b64 s[28:29], exec, s[28:29]
; %bb.487:                              ;   in Loop: Header=BB6_357 Depth=4
	v_cmp_lt_u64_e32 vcc, s[88:89], v[33:34]
	v_add_u32_e32 v7, 15, v32
	v_cndmask_b32_e64 v28, 0, 1, vcc
	v_cndmask_b32_e32 v7, v30, v7, vcc
	v_lshrrev_b64 v[28:29], v28, v[33:34]
; %bb.488:                              ;   in Loop: Header=BB6_357 Depth=4
	s_andn2_saveexec_b64 s[28:29], s[28:29]
; %bb.489:                              ;   in Loop: Header=BB6_357 Depth=4
	v_mov_b32_e32 v28, v33
	v_mov_b32_e32 v29, v34
	v_bfe_u32 v7, v33, 23, 1
; %bb.490:                              ;   in Loop: Header=BB6_357 Depth=4
	s_or_b64 exec, exec, s[28:29]
	v_lshrrev_b64 v[28:29], 21, v[28:29]
	v_cmp_gt_i32_e32 vcc, 32, v7
	v_cndmask_b32_e32 v29, 0, v29, vcc
	v_cndmask_b32_e32 v28, 3, v28, vcc
	v_cmp_eq_u32_e32 vcc, 0, v7
	v_min_i32_e32 v7, 31, v7
	v_cmp_eq_u64_e64 s[28:29], 0, v[28:29]
	v_lshlrev_b32_e32 v7, 2, v7
	v_and_b32_e32 v7, 0xfc, v7
	v_and_or_b32 v7, v28, 3, v7
	s_and_b64 s[28:29], vcc, s[28:29]
	v_cndmask_b32_e64 v7, v7, 0, s[28:29]
	v_or_b32_e32 v4, v7, v4
	buffer_store_dword v4, off, s[0:3], s33 offset:112 ; 4-byte Folded Spill
.LBB6_491:                              ;   in Loop: Header=BB6_357 Depth=4
	s_or_b64 exec, exec, s[36:37]
                                        ; implicit-def: $vgpr4
.LBB6_492:                              ;   in Loop: Header=BB6_357 Depth=4
	s_andn2_saveexec_b64 s[28:29], s[34:35]
	s_cbranch_execz .LBB6_494
; %bb.493:                              ;   in Loop: Header=BB6_357 Depth=4
	v_or_b32_e32 v4, 0x7b, v4
	buffer_store_dword v4, off, s[0:3], s33 offset:112 ; 4-byte Folded Spill
.LBB6_494:                              ;   in Loop: Header=BB6_357 Depth=4
	s_or_b64 exec, exec, s[28:29]
                                        ; implicit-def: $vgpr7
.LBB6_495:                              ;   in Loop: Header=BB6_357 Depth=4
	s_andn2_saveexec_b64 s[28:29], s[30:31]
	s_cbranch_execz .LBB6_501
; %bb.496:                              ;   in Loop: Header=BB6_357 Depth=4
	v_cmp_ne_u64_e32 vcc, 0, v[33:34]
                                        ; implicit-def: $vgpr4
                                        ; kill: killed $vgpr4
	s_and_saveexec_b64 s[30:31], vcc
	s_xor_b64 vcc, exec, s[30:31]
	s_cbranch_execz .LBB6_498
; %bb.497:                              ;   in Loop: Header=BB6_357 Depth=4
	v_or_b32_sdwa v4, v7, s83 dst_sel:DWORD dst_unused:UNUSED_PAD src0_sel:BYTE_3 src1_sel:DWORD
	buffer_store_dword v4, off, s[0:3], s33 offset:112 ; 4-byte Folded Spill
                                        ; implicit-def: $vgpr7
.LBB6_498:                              ;   in Loop: Header=BB6_357 Depth=4
	s_andn2_saveexec_b64 s[30:31], vcc
	s_cbranch_execz .LBB6_500
; %bb.499:                              ;   in Loop: Header=BB6_357 Depth=4
	v_cmp_lt_i32_e32 vcc, -1, v7
	v_bfrev_b32_e32 v4, 0.5
	v_mov_b32_e32 v7, 0x7c
	v_cndmask_b32_e32 v4, v4, v7, vcc
	buffer_store_dword v4, off, s[0:3], s33 offset:112 ; 4-byte Folded Spill
.LBB6_500:                              ;   in Loop: Header=BB6_357 Depth=4
	s_or_b64 exec, exec, s[30:31]
.LBB6_501:                              ;   in Loop: Header=BB6_357 Depth=4
	s_or_b64 exec, exec, s[28:29]
	v_mov_b32_e32 v33, v49
	v_cmp_ne_u16_sdwa vcc, v49, v34 src0_sel:BYTE_0 src1_sel:DWORD
	v_mov_b32_e32 v7, 0
	v_mov_b32_e32 v4, 0
	s_and_saveexec_b64 s[28:29], vcc
	s_cbranch_execz .LBB6_509
; %bb.502:                              ;   in Loop: Header=BB6_357 Depth=4
	v_cmp_ne_u16_sdwa vcc, v49, s44 src0_sel:BYTE_0 src1_sel:DWORD
	v_bfrev_b32_e32 v4, 1
	s_and_saveexec_b64 s[30:31], vcc
	s_cbranch_execz .LBB6_508
; %bb.503:                              ;   in Loop: Header=BB6_357 Depth=4
	v_and_b32_e32 v4, 0x7c, v49
	v_and_b32_e32 v28, 3, v49
	v_cmp_ne_u32_e32 vcc, s81, v4
                                        ; implicit-def: $vgpr4
	s_and_saveexec_b64 s[34:35], vcc
	s_xor_b64 s[34:35], exec, s[34:35]
	s_cbranch_execz .LBB6_505
; %bb.504:                              ;   in Loop: Header=BB6_357 Depth=4
	v_ffbh_u32_e32 v29, v28
	v_min_u32_e32 v32, 32, v29
	v_subrev_u32_e32 v29, 29, v32
	v_lshlrev_b64 v[29:30], v29, v[33:34]
	v_bfe_u32 v4, v49, 2, 5
	v_and_b32_e32 v29, 3, v29
	v_cmp_eq_u32_e32 vcc, 0, v4
	v_sub_u32_e32 v30, 30, v32
	v_cndmask_b32_e32 v28, v28, v29, vcc
	v_lshlrev_b32_e32 v29, 24, v49
	v_cndmask_b32_e32 v4, v4, v30, vcc
	v_and_b32_e32 v29, 0x80000000, v29
	v_lshl_add_u32 v4, v4, 23, v29
	v_lshl_or_b32 v4, v28, 21, v4
	v_add_u32_e32 v4, 0x38000000, v4
                                        ; implicit-def: $vgpr28
.LBB6_505:                              ;   in Loop: Header=BB6_357 Depth=4
	s_andn2_saveexec_b64 s[34:35], s[34:35]
; %bb.506:                              ;   in Loop: Header=BB6_357 Depth=4
	v_mov_b32_e32 v4, -1
	v_cmp_gt_i16_sdwa vcc, sext(v49), v4 src0_sel:BYTE_0 src1_sel:DWORD
	v_mov_b32_e32 v4, 0xff800000
	v_mov_b32_e32 v29, 0x7f800000
	v_cndmask_b32_e32 v4, v4, v29, vcc
	v_cmp_eq_u32_e32 vcc, 0, v28
	v_mov_b32_e32 v28, 0x7f800001
	v_cndmask_b32_e32 v4, v28, v4, vcc
; %bb.507:                              ;   in Loop: Header=BB6_357 Depth=4
	s_or_b64 exec, exec, s[34:35]
.LBB6_508:                              ;   in Loop: Header=BB6_357 Depth=4
	s_or_b64 exec, exec, s[30:31]
.LBB6_509:                              ;   in Loop: Header=BB6_357 Depth=4
	s_or_b64 exec, exec, s[28:29]
	v_cmp_ne_u16_sdwa vcc, v37, v34 src0_sel:BYTE_0 src1_sel:DWORD
	s_and_saveexec_b64 s[28:29], vcc
	s_cbranch_execz .LBB6_517
; %bb.510:                              ;   in Loop: Header=BB6_357 Depth=4
	v_cmp_ne_u16_sdwa vcc, v37, s44 src0_sel:BYTE_0 src1_sel:DWORD
	v_bfrev_b32_e32 v7, 1
	s_and_saveexec_b64 s[30:31], vcc
	s_cbranch_execz .LBB6_516
; %bb.511:                              ;   in Loop: Header=BB6_357 Depth=4
	v_and_b32_e32 v7, 0x7c, v37
	v_and_b32_e32 v28, 3, v37
	v_cmp_ne_u32_e32 vcc, s81, v7
                                        ; implicit-def: $vgpr7
	s_and_saveexec_b64 s[34:35], vcc
	s_xor_b64 s[34:35], exec, s[34:35]
	s_cbranch_execz .LBB6_513
; %bb.512:                              ;   in Loop: Header=BB6_357 Depth=4
	v_ffbh_u32_e32 v32, v28
	v_min_u32_e32 v32, 32, v32
	v_mov_b32_e32 v29, v37
	v_mov_b32_e32 v30, v34
	v_subrev_u32_e32 v35, 29, v32
	v_lshlrev_b64 v[29:30], v35, v[29:30]
	v_bfe_u32 v7, v37, 2, 5
	v_and_b32_e32 v29, 3, v29
	v_cmp_eq_u32_e32 vcc, 0, v7
	v_sub_u32_e32 v30, 30, v32
	v_cndmask_b32_e32 v28, v28, v29, vcc
	v_lshlrev_b32_e32 v29, 24, v37
	v_cndmask_b32_e32 v7, v7, v30, vcc
	v_and_b32_e32 v29, 0x80000000, v29
	v_lshl_add_u32 v7, v7, 23, v29
	v_lshl_or_b32 v7, v28, 21, v7
	v_add_u32_e32 v7, 0x38000000, v7
                                        ; implicit-def: $vgpr28
.LBB6_513:                              ;   in Loop: Header=BB6_357 Depth=4
	s_andn2_saveexec_b64 s[34:35], s[34:35]
; %bb.514:                              ;   in Loop: Header=BB6_357 Depth=4
	v_mov_b32_e32 v7, -1
	v_cmp_gt_i16_sdwa vcc, sext(v37), v7 src0_sel:BYTE_0 src1_sel:DWORD
	v_mov_b32_e32 v7, 0xff800000
	v_mov_b32_e32 v29, 0x7f800000
	v_cndmask_b32_e32 v7, v7, v29, vcc
	v_cmp_eq_u32_e32 vcc, 0, v28
	v_mov_b32_e32 v28, 0x7f800001
	v_cndmask_b32_e32 v7, v28, v7, vcc
; %bb.515:                              ;   in Loop: Header=BB6_357 Depth=4
	s_or_b64 exec, exec, s[34:35]
.LBB6_516:                              ;   in Loop: Header=BB6_357 Depth=4
	s_or_b64 exec, exec, s[30:31]
.LBB6_517:                              ;   in Loop: Header=BB6_357 Depth=4
	s_or_b64 exec, exec, s[28:29]
	v_mul_f32_e32 v7, v4, v7
	v_and_b32_e32 v29, 0x7f800000, v7
	v_mov_b32_e32 v30, v34
	v_cmp_ne_u64_e32 vcc, s[76:77], v[29:30]
	v_and_b32_e32 v28, 0x7fffff, v7
	v_mov_b32_e32 v29, v34
                                        ; implicit-def: $vgpr4
                                        ; kill: killed $vgpr4
	s_and_saveexec_b64 s[28:29], vcc
	s_xor_b64 s[30:31], exec, s[28:29]
	s_cbranch_execz .LBB6_531
; %bb.518:                              ;   in Loop: Header=BB6_357 Depth=4
	v_and_b32_e32 v54, 0x7fffffff, v7
	v_mov_b32_e32 v55, v34
	v_cmp_gt_u64_e32 vcc, s[78:79], v[54:55]
	v_and_b32_sdwa v4, v7, s44 dst_sel:DWORD dst_unused:UNUSED_PAD src0_sel:BYTE_3 src1_sel:DWORD
                                        ; implicit-def: $vgpr30
                                        ; kill: killed $vgpr30
	s_and_saveexec_b64 s[28:29], vcc
	s_xor_b64 s[34:35], exec, s[28:29]
	s_cbranch_execz .LBB6_528
; %bb.519:                              ;   in Loop: Header=BB6_357 Depth=4
	v_mov_b32_e32 v30, 0
	v_cmp_ne_u32_e32 vcc, 0, v7
	buffer_store_dword v30, off, s[0:3], s33 offset:120 ; 4-byte Folded Spill
	s_and_saveexec_b64 s[36:37], vcc
	s_cbranch_execz .LBB6_527
; %bb.520:                              ;   in Loop: Header=BB6_357 Depth=4
	v_bfe_u32 v7, v7, 23, 8
	v_cmp_gt_u32_e64 s[28:29], s45, v7
	v_sub_u32_e32 v30, 0x71, v7
	v_cmp_eq_u32_e32 vcc, 0, v7
	v_cndmask_b32_e64 v30, 0, v30, s[28:29]
	v_mov_b32_e32 v32, 0x70
	v_cndmask_b32_e32 v32, v30, v32, vcc
	v_add_u32_e32 v30, 21, v32
	v_or_b32_e32 v35, 0x800000, v28
	v_lshlrev_b64 v[54:55], v30, -1
	v_cndmask_b32_e32 v28, v35, v28, vcc
	v_add_u32_e32 v30, 20, v32
	v_bfi_b32 v54, v54, 0, v28
	v_lshlrev_b64 v[40:41], v30, 1
	v_lshrrev_b64 v[28:29], v32, v[28:29]
	v_bfi_b32 v55, v55, 0, 0
	v_cmp_eq_u64_e64 s[28:29], v[54:55], v[40:41]
	v_mov_b32_e32 v30, v29
	v_mov_b32_e32 v29, v28
	s_and_saveexec_b64 s[38:39], s[28:29]
; %bb.521:                              ;   in Loop: Header=BB6_357 Depth=4
	v_bfe_u32 v29, v28, 21, 1
	v_add_co_u32_e64 v29, s[28:29], v28, v29
	v_add_co_u32_e64 v29, s[28:29], -1, v29
; %bb.522:                              ;   in Loop: Header=BB6_357 Depth=4
	s_or_b64 exec, exec, s[38:39]
	v_add_u32_e32 v7, 0xffffff81, v7
	v_mov_b32_e32 v30, 0xffffff82
	v_cndmask_b32_e32 v7, v7, v30, vcc
	v_lshrrev_b32_e32 v30, 23, v28
	v_add3_u32 v32, v32, v7, v30
	v_add_u32_e32 v30, 14, v32
	v_and_b32_e32 v7, 0x1fffff, v29
	v_add_u32_e32 v28, v7, v28
	v_mov_b32_e32 v29, v34
	v_cmp_ne_u32_e32 vcc, 0, v30
                                        ; implicit-def: $vgpr7
	s_and_saveexec_b64 s[28:29], vcc
	s_xor_b64 s[28:29], exec, s[28:29]
; %bb.523:                              ;   in Loop: Header=BB6_357 Depth=4
	v_cmp_lt_u64_e32 vcc, s[88:89], v[28:29]
	v_add_u32_e32 v7, 15, v32
	v_cndmask_b32_e32 v7, v30, v7, vcc
	v_cndmask_b32_e64 v30, 0, 1, vcc
	v_lshrrev_b64 v[28:29], v30, v[28:29]
; %bb.524:                              ;   in Loop: Header=BB6_357 Depth=4
	s_andn2_saveexec_b64 s[28:29], s[28:29]
; %bb.525:                              ;   in Loop: Header=BB6_357 Depth=4
	v_bfe_u32 v7, v28, 23, 1
; %bb.526:                              ;   in Loop: Header=BB6_357 Depth=4
	s_or_b64 exec, exec, s[28:29]
	v_lshrrev_b64 v[28:29], 21, v[28:29]
	v_cmp_gt_i32_e32 vcc, 32, v7
	v_cndmask_b32_e32 v29, 0, v29, vcc
	v_cndmask_b32_e32 v28, 3, v28, vcc
	v_cmp_eq_u32_e32 vcc, 0, v7
	v_min_i32_e32 v7, 31, v7
	v_cmp_eq_u64_e64 s[28:29], 0, v[28:29]
	v_lshlrev_b32_e32 v7, 2, v7
	v_and_b32_e32 v7, 0xfc, v7
	v_and_or_b32 v7, v28, 3, v7
	s_and_b64 s[28:29], vcc, s[28:29]
	v_cndmask_b32_e64 v7, v7, 0, s[28:29]
	v_or_b32_e32 v4, v7, v4
	buffer_store_dword v4, off, s[0:3], s33 offset:120 ; 4-byte Folded Spill
.LBB6_527:                              ;   in Loop: Header=BB6_357 Depth=4
	s_or_b64 exec, exec, s[36:37]
                                        ; implicit-def: $vgpr4
.LBB6_528:                              ;   in Loop: Header=BB6_357 Depth=4
	s_andn2_saveexec_b64 s[28:29], s[34:35]
	s_cbranch_execz .LBB6_530
; %bb.529:                              ;   in Loop: Header=BB6_357 Depth=4
	v_or_b32_e32 v4, 0x7b, v4
	buffer_store_dword v4, off, s[0:3], s33 offset:120 ; 4-byte Folded Spill
.LBB6_530:                              ;   in Loop: Header=BB6_357 Depth=4
	s_or_b64 exec, exec, s[28:29]
                                        ; implicit-def: $vgpr7
                                        ; implicit-def: $vgpr28_vgpr29
.LBB6_531:                              ;   in Loop: Header=BB6_357 Depth=4
	s_andn2_saveexec_b64 s[28:29], s[30:31]
	s_cbranch_execz .LBB6_537
; %bb.532:                              ;   in Loop: Header=BB6_357 Depth=4
	v_cmp_ne_u64_e32 vcc, 0, v[28:29]
                                        ; implicit-def: $vgpr4
                                        ; kill: killed $vgpr4
	s_and_saveexec_b64 s[30:31], vcc
	s_xor_b64 vcc, exec, s[30:31]
	s_cbranch_execz .LBB6_534
; %bb.533:                              ;   in Loop: Header=BB6_357 Depth=4
	v_or_b32_sdwa v4, v7, s83 dst_sel:DWORD dst_unused:UNUSED_PAD src0_sel:BYTE_3 src1_sel:DWORD
	buffer_store_dword v4, off, s[0:3], s33 offset:120 ; 4-byte Folded Spill
                                        ; implicit-def: $vgpr7
.LBB6_534:                              ;   in Loop: Header=BB6_357 Depth=4
	s_andn2_saveexec_b64 s[30:31], vcc
	s_cbranch_execz .LBB6_536
; %bb.535:                              ;   in Loop: Header=BB6_357 Depth=4
	v_cmp_lt_i32_e32 vcc, -1, v7
	v_bfrev_b32_e32 v4, 0.5
	v_mov_b32_e32 v7, 0x7c
	v_cndmask_b32_e32 v4, v4, v7, vcc
	buffer_store_dword v4, off, s[0:3], s33 offset:120 ; 4-byte Folded Spill
.LBB6_536:                              ;   in Loop: Header=BB6_357 Depth=4
	s_or_b64 exec, exec, s[30:31]
.LBB6_537:                              ;   in Loop: Header=BB6_357 Depth=4
	s_or_b64 exec, exec, s[28:29]
	v_lshrrev_b16_e32 v28, 8, v33
	v_cmp_ne_u16_e32 vcc, 0, v28
	v_mov_b32_e32 v4, 0
	v_mov_b32_e32 v7, 0
	s_and_saveexec_b64 s[28:29], vcc
	s_cbranch_execz .LBB6_545
; %bb.538:                              ;   in Loop: Header=BB6_357 Depth=4
	v_cmp_ne_u16_e32 vcc, s44, v28
	v_bfrev_b32_e32 v7, 1
	s_and_saveexec_b64 s[30:31], vcc
	s_cbranch_execz .LBB6_544
; %bb.539:                              ;   in Loop: Header=BB6_357 Depth=4
	v_and_b32_e32 v7, 0x7c, v28
	v_and_b32_e32 v30, 3, v28
	v_cmp_ne_u32_e32 vcc, s81, v7
                                        ; implicit-def: $vgpr7
	s_and_saveexec_b64 s[34:35], vcc
	s_xor_b64 s[34:35], exec, s[34:35]
	s_cbranch_execz .LBB6_541
; %bb.540:                              ;   in Loop: Header=BB6_357 Depth=4
	v_ffbh_u32_e32 v32, v30
	v_min_u32_e32 v32, 32, v32
	v_mov_b32_e32 v29, v34
	v_subrev_u32_e32 v35, 29, v32
	v_bfe_u32 v7, v28, 2, 5
	v_lshlrev_b64 v[28:29], v35, v[28:29]
	v_sub_u32_e32 v29, 30, v32
	v_cmp_eq_u32_e32 vcc, 0, v7
	v_cndmask_b32_e32 v7, v7, v29, vcc
	v_lshlrev_b32_e32 v29, 16, v33
	v_and_b32_e32 v28, 3, v28
	v_and_b32_e32 v29, 0x80000000, v29
	v_cndmask_b32_e32 v28, v30, v28, vcc
	v_lshl_add_u32 v7, v7, 23, v29
	v_lshl_or_b32 v7, v28, 21, v7
	v_add_u32_e32 v7, 0x38000000, v7
                                        ; implicit-def: $vgpr30
.LBB6_541:                              ;   in Loop: Header=BB6_357 Depth=4
	s_andn2_saveexec_b64 s[34:35], s[34:35]
; %bb.542:                              ;   in Loop: Header=BB6_357 Depth=4
	v_cmp_lt_i16_e32 vcc, -1, v33
	v_mov_b32_e32 v7, 0xff800000
	v_mov_b32_e32 v28, 0x7f800000
	v_cndmask_b32_e32 v7, v7, v28, vcc
	v_cmp_eq_u32_e32 vcc, 0, v30
	v_mov_b32_e32 v28, 0x7f800001
	v_cndmask_b32_e32 v7, v28, v7, vcc
; %bb.543:                              ;   in Loop: Header=BB6_357 Depth=4
	s_or_b64 exec, exec, s[34:35]
.LBB6_544:                              ;   in Loop: Header=BB6_357 Depth=4
	s_or_b64 exec, exec, s[30:31]
.LBB6_545:                              ;   in Loop: Header=BB6_357 Depth=4
	s_or_b64 exec, exec, s[28:29]
	v_lshrrev_b16_e32 v28, 8, v37
	v_cmp_ne_u16_e32 vcc, 0, v28
	s_and_saveexec_b64 s[28:29], vcc
	s_cbranch_execz .LBB6_553
; %bb.546:                              ;   in Loop: Header=BB6_357 Depth=4
	v_cmp_ne_u16_e32 vcc, s44, v28
	v_bfrev_b32_e32 v4, 1
	s_and_saveexec_b64 s[30:31], vcc
	s_cbranch_execz .LBB6_552
; %bb.547:                              ;   in Loop: Header=BB6_357 Depth=4
	v_and_b32_e32 v4, 0x7c, v28
	v_and_b32_e32 v30, 3, v28
	v_cmp_ne_u32_e32 vcc, s81, v4
                                        ; implicit-def: $vgpr4
	s_and_saveexec_b64 s[34:35], vcc
	s_xor_b64 s[34:35], exec, s[34:35]
	s_cbranch_execz .LBB6_549
; %bb.548:                              ;   in Loop: Header=BB6_357 Depth=4
	v_ffbh_u32_e32 v32, v30
	v_min_u32_e32 v32, 32, v32
	v_mov_b32_e32 v29, v34
	v_subrev_u32_e32 v33, 29, v32
	v_bfe_u32 v4, v28, 2, 5
	v_lshlrev_b64 v[28:29], v33, v[28:29]
	v_sub_u32_e32 v29, 30, v32
	v_cmp_eq_u32_e32 vcc, 0, v4
	v_cndmask_b32_e32 v4, v4, v29, vcc
	v_lshlrev_b32_e32 v29, 16, v37
	v_and_b32_e32 v28, 3, v28
	v_and_b32_e32 v29, 0x80000000, v29
	v_cndmask_b32_e32 v28, v30, v28, vcc
	v_lshl_add_u32 v4, v4, 23, v29
	v_lshl_or_b32 v4, v28, 21, v4
	v_add_u32_e32 v4, 0x38000000, v4
                                        ; implicit-def: $vgpr30
.LBB6_549:                              ;   in Loop: Header=BB6_357 Depth=4
	s_andn2_saveexec_b64 s[34:35], s[34:35]
; %bb.550:                              ;   in Loop: Header=BB6_357 Depth=4
	v_cmp_lt_i16_e32 vcc, -1, v37
	v_mov_b32_e32 v4, 0xff800000
	v_mov_b32_e32 v28, 0x7f800000
	v_cndmask_b32_e32 v4, v4, v28, vcc
	v_cmp_eq_u32_e32 vcc, 0, v30
	v_mov_b32_e32 v28, 0x7f800001
	v_cndmask_b32_e32 v4, v28, v4, vcc
; %bb.551:                              ;   in Loop: Header=BB6_357 Depth=4
	s_or_b64 exec, exec, s[34:35]
.LBB6_552:                              ;   in Loop: Header=BB6_357 Depth=4
	s_or_b64 exec, exec, s[30:31]
.LBB6_553:                              ;   in Loop: Header=BB6_357 Depth=4
	s_or_b64 exec, exec, s[28:29]
	v_mul_f32_e32 v7, v7, v4
	v_and_b32_e32 v28, 0x7f800000, v7
	v_mov_b32_e32 v29, v34
	v_cmp_ne_u64_e32 vcc, s[76:77], v[28:29]
	v_and_b32_e32 v33, 0x7fffff, v7
                                        ; implicit-def: $vgpr4
                                        ; kill: killed $vgpr4
	s_and_saveexec_b64 s[28:29], vcc
	s_xor_b64 s[30:31], exec, s[28:29]
	s_cbranch_execz .LBB6_567
; %bb.554:                              ;   in Loop: Header=BB6_357 Depth=4
	v_and_b32_e32 v28, 0x7fffffff, v7
	v_mov_b32_e32 v29, v34
	v_cmp_gt_u64_e32 vcc, s[78:79], v[28:29]
	v_and_b32_sdwa v4, v7, s44 dst_sel:DWORD dst_unused:UNUSED_PAD src0_sel:BYTE_3 src1_sel:DWORD
                                        ; implicit-def: $vgpr28
                                        ; kill: killed $vgpr28
	s_and_saveexec_b64 s[28:29], vcc
	s_xor_b64 s[34:35], exec, s[28:29]
	s_cbranch_execz .LBB6_564
; %bb.555:                              ;   in Loop: Header=BB6_357 Depth=4
	v_mov_b32_e32 v28, 0
	v_cmp_ne_u32_e32 vcc, 0, v7
	buffer_store_dword v28, off, s[0:3], s33 offset:128 ; 4-byte Folded Spill
	s_and_saveexec_b64 s[36:37], vcc
	s_cbranch_execz .LBB6_563
; %bb.556:                              ;   in Loop: Header=BB6_357 Depth=4
	v_bfe_u32 v7, v7, 23, 8
	v_cmp_gt_u32_e64 s[28:29], s45, v7
	v_sub_u32_e32 v28, 0x71, v7
	v_cmp_eq_u32_e32 vcc, 0, v7
	v_cndmask_b32_e64 v28, 0, v28, s[28:29]
	v_mov_b32_e32 v30, 0x70
	v_cndmask_b32_e32 v32, v28, v30, vcc
	v_add_u32_e32 v30, 21, v32
	v_or_b32_e32 v29, 0x800000, v33
	v_lshlrev_b64 v[54:55], v30, -1
	v_cndmask_b32_e32 v28, v29, v33, vcc
	v_mov_b32_e32 v29, v34
	v_add_u32_e32 v30, 20, v32
	v_bfi_b32 v54, v54, 0, v28
	v_lshlrev_b64 v[40:41], v30, 1
	v_lshrrev_b64 v[28:29], v32, v[28:29]
	v_bfi_b32 v55, v55, 0, 0
	v_cmp_eq_u64_e64 s[28:29], v[54:55], v[40:41]
	v_mov_b32_e32 v30, v29
	v_mov_b32_e32 v29, v28
	s_and_saveexec_b64 s[38:39], s[28:29]
; %bb.557:                              ;   in Loop: Header=BB6_357 Depth=4
	v_bfe_u32 v29, v28, 21, 1
	v_add_co_u32_e64 v29, s[28:29], v28, v29
	v_add_co_u32_e64 v29, s[28:29], -1, v29
; %bb.558:                              ;   in Loop: Header=BB6_357 Depth=4
	s_or_b64 exec, exec, s[38:39]
	v_add_u32_e32 v7, 0xffffff81, v7
	v_mov_b32_e32 v30, 0xffffff82
	v_cndmask_b32_e32 v7, v7, v30, vcc
	v_lshrrev_b32_e32 v30, 23, v28
	v_add3_u32 v32, v32, v7, v30
	v_add_u32_e32 v30, 14, v32
	v_and_b32_e32 v7, 0x1fffff, v29
	v_add_u32_e32 v33, v7, v28
	v_cmp_ne_u32_e32 vcc, 0, v30
                                        ; implicit-def: $vgpr28_vgpr29
                                        ; implicit-def: $vgpr7
	s_and_saveexec_b64 s[28:29], vcc
	s_xor_b64 s[28:29], exec, s[28:29]
; %bb.559:                              ;   in Loop: Header=BB6_357 Depth=4
	v_cmp_lt_u64_e32 vcc, s[88:89], v[33:34]
	v_add_u32_e32 v7, 15, v32
	v_cndmask_b32_e64 v28, 0, 1, vcc
	v_cndmask_b32_e32 v7, v30, v7, vcc
	v_lshrrev_b64 v[28:29], v28, v[33:34]
; %bb.560:                              ;   in Loop: Header=BB6_357 Depth=4
	s_andn2_saveexec_b64 s[28:29], s[28:29]
; %bb.561:                              ;   in Loop: Header=BB6_357 Depth=4
	v_mov_b32_e32 v28, v33
	v_mov_b32_e32 v29, v34
	v_bfe_u32 v7, v33, 23, 1
; %bb.562:                              ;   in Loop: Header=BB6_357 Depth=4
	s_or_b64 exec, exec, s[28:29]
	v_lshrrev_b64 v[28:29], 21, v[28:29]
	v_cmp_gt_i32_e32 vcc, 32, v7
	v_cndmask_b32_e32 v29, 0, v29, vcc
	v_cndmask_b32_e32 v28, 3, v28, vcc
	v_cmp_eq_u32_e32 vcc, 0, v7
	v_min_i32_e32 v7, 31, v7
	v_cmp_eq_u64_e64 s[28:29], 0, v[28:29]
	v_lshlrev_b32_e32 v7, 2, v7
	v_and_b32_e32 v7, 0xfc, v7
	v_and_or_b32 v7, v28, 3, v7
	s_and_b64 s[28:29], vcc, s[28:29]
	v_cndmask_b32_e64 v7, v7, 0, s[28:29]
	v_or_b32_e32 v4, v7, v4
	buffer_store_dword v4, off, s[0:3], s33 offset:128 ; 4-byte Folded Spill
.LBB6_563:                              ;   in Loop: Header=BB6_357 Depth=4
	s_or_b64 exec, exec, s[36:37]
                                        ; implicit-def: $vgpr4
.LBB6_564:                              ;   in Loop: Header=BB6_357 Depth=4
	s_andn2_saveexec_b64 s[28:29], s[34:35]
	s_cbranch_execz .LBB6_566
; %bb.565:                              ;   in Loop: Header=BB6_357 Depth=4
	v_or_b32_e32 v4, 0x7b, v4
	buffer_store_dword v4, off, s[0:3], s33 offset:128 ; 4-byte Folded Spill
.LBB6_566:                              ;   in Loop: Header=BB6_357 Depth=4
	s_or_b64 exec, exec, s[28:29]
                                        ; implicit-def: $vgpr7
.LBB6_567:                              ;   in Loop: Header=BB6_357 Depth=4
	s_andn2_saveexec_b64 s[28:29], s[30:31]
	s_cbranch_execz .LBB6_573
; %bb.568:                              ;   in Loop: Header=BB6_357 Depth=4
	v_cmp_ne_u64_e32 vcc, 0, v[33:34]
                                        ; implicit-def: $vgpr4
                                        ; kill: killed $vgpr4
	s_and_saveexec_b64 s[30:31], vcc
	s_xor_b64 vcc, exec, s[30:31]
	s_cbranch_execz .LBB6_570
; %bb.569:                              ;   in Loop: Header=BB6_357 Depth=4
	v_or_b32_sdwa v4, v7, s83 dst_sel:DWORD dst_unused:UNUSED_PAD src0_sel:BYTE_3 src1_sel:DWORD
	buffer_store_dword v4, off, s[0:3], s33 offset:128 ; 4-byte Folded Spill
                                        ; implicit-def: $vgpr7
.LBB6_570:                              ;   in Loop: Header=BB6_357 Depth=4
	s_andn2_saveexec_b64 s[30:31], vcc
	s_cbranch_execz .LBB6_572
; %bb.571:                              ;   in Loop: Header=BB6_357 Depth=4
	v_cmp_lt_i32_e32 vcc, -1, v7
	v_bfrev_b32_e32 v4, 0.5
	v_mov_b32_e32 v7, 0x7c
	v_cndmask_b32_e32 v4, v4, v7, vcc
	buffer_store_dword v4, off, s[0:3], s33 offset:128 ; 4-byte Folded Spill
.LBB6_572:                              ;   in Loop: Header=BB6_357 Depth=4
	s_or_b64 exec, exec, s[30:31]
.LBB6_573:                              ;   in Loop: Header=BB6_357 Depth=4
	s_or_b64 exec, exec, s[28:29]
	v_lshrrev_b32_e32 v7, 16, v49
	v_cmp_ne_u16_sdwa vcc, v7, v34 src0_sel:BYTE_0 src1_sel:DWORD
	v_mov_b32_e32 v4, 0
	v_mov_b32_e32 v28, 0
	s_and_saveexec_b64 s[28:29], vcc
	s_cbranch_execz .LBB6_581
; %bb.574:                              ;   in Loop: Header=BB6_357 Depth=4
	v_cmp_ne_u16_sdwa vcc, v7, s44 src0_sel:BYTE_0 src1_sel:DWORD
	v_bfrev_b32_e32 v28, 1
	s_and_saveexec_b64 s[30:31], vcc
	s_cbranch_execz .LBB6_580
; %bb.575:                              ;   in Loop: Header=BB6_357 Depth=4
	v_and_b32_e32 v28, 0x7c0000, v49
	v_bfe_u32 v29, v49, 16, 2
	v_cmp_ne_u32_e32 vcc, s9, v28
                                        ; implicit-def: $vgpr28
	s_and_saveexec_b64 s[34:35], vcc
	s_xor_b64 s[34:35], exec, s[34:35]
	s_cbranch_execz .LBB6_577
; %bb.576:                              ;   in Loop: Header=BB6_357 Depth=4
	v_ffbh_u32_e32 v30, v29
	v_min_u32_e32 v30, 32, v30
	v_subrev_u32_e32 v32, 29, v30
	s_waitcnt vmcnt(0)
	v_lshlrev_b64 v[32:33], v32, v[7:8]
	v_bfe_u32 v28, v49, 18, 5
	v_sub_u32_e32 v7, 30, v30
	v_and_b32_e32 v30, 3, v32
	v_cmp_eq_u32_e32 vcc, 0, v28
	v_cndmask_b32_e32 v7, v28, v7, vcc
	v_cndmask_b32_e32 v28, v29, v30, vcc
	v_lshlrev_b32_e32 v29, 8, v49
	v_and_b32_e32 v29, 0x80000000, v29
	v_lshl_add_u32 v7, v7, 23, v29
	v_lshl_or_b32 v7, v28, 21, v7
	v_add_u32_e32 v28, 0x38000000, v7
                                        ; implicit-def: $vgpr29
                                        ; implicit-def: $vgpr7
.LBB6_577:                              ;   in Loop: Header=BB6_357 Depth=4
	s_andn2_saveexec_b64 s[34:35], s[34:35]
; %bb.578:                              ;   in Loop: Header=BB6_357 Depth=4
	v_mov_b32_e32 v28, -1
	v_cmp_gt_i16_sdwa vcc, sext(v7), v28 src0_sel:BYTE_0 src1_sel:DWORD
	v_mov_b32_e32 v7, 0xff800000
	v_mov_b32_e32 v28, 0x7f800000
	v_cndmask_b32_e32 v7, v7, v28, vcc
	v_cmp_eq_u32_e32 vcc, 0, v29
	v_mov_b32_e32 v28, 0x7f800001
	v_cndmask_b32_e32 v28, v28, v7, vcc
; %bb.579:                              ;   in Loop: Header=BB6_357 Depth=4
	s_or_b64 exec, exec, s[34:35]
.LBB6_580:                              ;   in Loop: Header=BB6_357 Depth=4
	s_or_b64 exec, exec, s[30:31]
.LBB6_581:                              ;   in Loop: Header=BB6_357 Depth=4
	s_or_b64 exec, exec, s[28:29]
	v_lshrrev_b32_e32 v7, 16, v37
	v_cmp_ne_u16_sdwa vcc, v7, v34 src0_sel:BYTE_0 src1_sel:DWORD
	s_and_saveexec_b64 s[28:29], vcc
	s_cbranch_execz .LBB6_589
; %bb.582:                              ;   in Loop: Header=BB6_357 Depth=4
	v_cmp_ne_u16_sdwa vcc, v7, s44 src0_sel:BYTE_0 src1_sel:DWORD
	v_bfrev_b32_e32 v4, 1
	s_and_saveexec_b64 s[30:31], vcc
	s_cbranch_execz .LBB6_588
; %bb.583:                              ;   in Loop: Header=BB6_357 Depth=4
	v_and_b32_e32 v4, 0x7c0000, v37
	v_bfe_u32 v29, v37, 16, 2
	v_cmp_ne_u32_e32 vcc, s9, v4
                                        ; implicit-def: $vgpr4
	s_and_saveexec_b64 s[34:35], vcc
	s_xor_b64 s[34:35], exec, s[34:35]
	s_cbranch_execz .LBB6_585
; %bb.584:                              ;   in Loop: Header=BB6_357 Depth=4
	v_ffbh_u32_e32 v30, v29
	v_min_u32_e32 v30, 32, v30
	v_subrev_u32_e32 v32, 29, v30
	s_waitcnt vmcnt(0)
	v_lshlrev_b64 v[32:33], v32, v[7:8]
	v_bfe_u32 v4, v37, 18, 5
	v_sub_u32_e32 v7, 30, v30
	v_and_b32_e32 v30, 3, v32
	v_cmp_eq_u32_e32 vcc, 0, v4
	v_cndmask_b32_e32 v4, v4, v7, vcc
	v_cndmask_b32_e32 v7, v29, v30, vcc
	v_lshlrev_b32_e32 v29, 8, v37
	v_and_b32_e32 v29, 0x80000000, v29
	v_lshl_add_u32 v4, v4, 23, v29
	v_lshl_or_b32 v4, v7, 21, v4
	v_add_u32_e32 v4, 0x38000000, v4
                                        ; implicit-def: $vgpr29
                                        ; implicit-def: $vgpr7
.LBB6_585:                              ;   in Loop: Header=BB6_357 Depth=4
	s_andn2_saveexec_b64 s[34:35], s[34:35]
; %bb.586:                              ;   in Loop: Header=BB6_357 Depth=4
	v_mov_b32_e32 v4, -1
	v_cmp_gt_i16_sdwa vcc, sext(v7), v4 src0_sel:BYTE_0 src1_sel:DWORD
	v_mov_b32_e32 v4, 0xff800000
	v_mov_b32_e32 v7, 0x7f800000
	v_cndmask_b32_e32 v4, v4, v7, vcc
	v_cmp_eq_u32_e32 vcc, 0, v29
	v_mov_b32_e32 v7, 0x7f800001
	v_cndmask_b32_e32 v4, v7, v4, vcc
; %bb.587:                              ;   in Loop: Header=BB6_357 Depth=4
	s_or_b64 exec, exec, s[34:35]
.LBB6_588:                              ;   in Loop: Header=BB6_357 Depth=4
	s_or_b64 exec, exec, s[30:31]
.LBB6_589:                              ;   in Loop: Header=BB6_357 Depth=4
	s_or_b64 exec, exec, s[28:29]
	v_mul_f32_e32 v7, v28, v4
	v_and_b32_e32 v28, 0x7f800000, v7
	v_mov_b32_e32 v29, v34
	v_cmp_ne_u64_e32 vcc, s[76:77], v[28:29]
	v_and_b32_e32 v33, 0x7fffff, v7
                                        ; implicit-def: $vgpr4
                                        ; kill: killed $vgpr4
	s_and_saveexec_b64 s[28:29], vcc
	s_xor_b64 s[30:31], exec, s[28:29]
	s_cbranch_execz .LBB6_603
; %bb.590:                              ;   in Loop: Header=BB6_357 Depth=4
	v_and_b32_e32 v28, 0x7fffffff, v7
	v_mov_b32_e32 v29, v34
	v_cmp_gt_u64_e32 vcc, s[78:79], v[28:29]
	v_and_b32_sdwa v4, v7, s44 dst_sel:DWORD dst_unused:UNUSED_PAD src0_sel:BYTE_3 src1_sel:DWORD
                                        ; implicit-def: $vgpr28
                                        ; kill: killed $vgpr28
	s_and_saveexec_b64 s[28:29], vcc
	s_xor_b64 s[34:35], exec, s[28:29]
	s_cbranch_execz .LBB6_600
; %bb.591:                              ;   in Loop: Header=BB6_357 Depth=4
	v_mov_b32_e32 v28, 0
	v_cmp_ne_u32_e32 vcc, 0, v7
	buffer_store_dword v28, off, s[0:3], s33 offset:136 ; 4-byte Folded Spill
	s_and_saveexec_b64 s[36:37], vcc
	s_cbranch_execz .LBB6_599
; %bb.592:                              ;   in Loop: Header=BB6_357 Depth=4
	v_bfe_u32 v7, v7, 23, 8
	v_cmp_gt_u32_e64 s[28:29], s45, v7
	v_sub_u32_e32 v28, 0x71, v7
	v_cmp_eq_u32_e32 vcc, 0, v7
	v_cndmask_b32_e64 v28, 0, v28, s[28:29]
	v_mov_b32_e32 v30, 0x70
	v_cndmask_b32_e32 v32, v28, v30, vcc
	v_add_u32_e32 v30, 21, v32
	v_or_b32_e32 v29, 0x800000, v33
	v_lshlrev_b64 v[54:55], v30, -1
	v_cndmask_b32_e32 v28, v29, v33, vcc
	v_mov_b32_e32 v29, v34
	v_add_u32_e32 v30, 20, v32
	v_bfi_b32 v54, v54, 0, v28
	v_lshlrev_b64 v[40:41], v30, 1
	v_lshrrev_b64 v[28:29], v32, v[28:29]
	v_bfi_b32 v55, v55, 0, 0
	v_cmp_eq_u64_e64 s[28:29], v[54:55], v[40:41]
	v_mov_b32_e32 v30, v29
	v_mov_b32_e32 v29, v28
	s_and_saveexec_b64 s[38:39], s[28:29]
; %bb.593:                              ;   in Loop: Header=BB6_357 Depth=4
	v_bfe_u32 v29, v28, 21, 1
	v_add_co_u32_e64 v29, s[28:29], v28, v29
	v_add_co_u32_e64 v29, s[28:29], -1, v29
; %bb.594:                              ;   in Loop: Header=BB6_357 Depth=4
	s_or_b64 exec, exec, s[38:39]
	v_add_u32_e32 v7, 0xffffff81, v7
	v_mov_b32_e32 v30, 0xffffff82
	v_cndmask_b32_e32 v7, v7, v30, vcc
	v_lshrrev_b32_e32 v30, 23, v28
	v_add3_u32 v32, v32, v7, v30
	v_add_u32_e32 v30, 14, v32
	v_and_b32_e32 v7, 0x1fffff, v29
	v_add_u32_e32 v33, v7, v28
	v_cmp_ne_u32_e32 vcc, 0, v30
                                        ; implicit-def: $vgpr28_vgpr29
                                        ; implicit-def: $vgpr7
	s_and_saveexec_b64 s[28:29], vcc
	s_xor_b64 s[28:29], exec, s[28:29]
; %bb.595:                              ;   in Loop: Header=BB6_357 Depth=4
	v_cmp_lt_u64_e32 vcc, s[88:89], v[33:34]
	v_add_u32_e32 v7, 15, v32
	v_cndmask_b32_e64 v28, 0, 1, vcc
	v_cndmask_b32_e32 v7, v30, v7, vcc
	v_lshrrev_b64 v[28:29], v28, v[33:34]
; %bb.596:                              ;   in Loop: Header=BB6_357 Depth=4
	s_andn2_saveexec_b64 s[28:29], s[28:29]
; %bb.597:                              ;   in Loop: Header=BB6_357 Depth=4
	v_mov_b32_e32 v28, v33
	v_mov_b32_e32 v29, v34
	v_bfe_u32 v7, v33, 23, 1
; %bb.598:                              ;   in Loop: Header=BB6_357 Depth=4
	s_or_b64 exec, exec, s[28:29]
	v_lshrrev_b64 v[28:29], 21, v[28:29]
	v_cmp_gt_i32_e32 vcc, 32, v7
	v_cndmask_b32_e32 v29, 0, v29, vcc
	v_cndmask_b32_e32 v28, 3, v28, vcc
	v_cmp_eq_u32_e32 vcc, 0, v7
	v_min_i32_e32 v7, 31, v7
	v_cmp_eq_u64_e64 s[28:29], 0, v[28:29]
	v_lshlrev_b32_e32 v7, 2, v7
	v_and_b32_e32 v7, 0xfc, v7
	v_and_or_b32 v7, v28, 3, v7
	s_and_b64 s[28:29], vcc, s[28:29]
	v_cndmask_b32_e64 v7, v7, 0, s[28:29]
	v_or_b32_e32 v4, v7, v4
	buffer_store_dword v4, off, s[0:3], s33 offset:136 ; 4-byte Folded Spill
.LBB6_599:                              ;   in Loop: Header=BB6_357 Depth=4
	s_or_b64 exec, exec, s[36:37]
                                        ; implicit-def: $vgpr4
.LBB6_600:                              ;   in Loop: Header=BB6_357 Depth=4
	s_andn2_saveexec_b64 s[28:29], s[34:35]
	s_cbranch_execz .LBB6_602
; %bb.601:                              ;   in Loop: Header=BB6_357 Depth=4
	v_or_b32_e32 v4, 0x7b, v4
	buffer_store_dword v4, off, s[0:3], s33 offset:136 ; 4-byte Folded Spill
.LBB6_602:                              ;   in Loop: Header=BB6_357 Depth=4
	s_or_b64 exec, exec, s[28:29]
                                        ; implicit-def: $vgpr7
.LBB6_603:                              ;   in Loop: Header=BB6_357 Depth=4
	s_andn2_saveexec_b64 s[28:29], s[30:31]
	s_cbranch_execz .LBB6_609
; %bb.604:                              ;   in Loop: Header=BB6_357 Depth=4
	v_cmp_ne_u64_e32 vcc, 0, v[33:34]
                                        ; implicit-def: $vgpr4
                                        ; kill: killed $vgpr4
	s_and_saveexec_b64 s[30:31], vcc
	s_xor_b64 vcc, exec, s[30:31]
	s_cbranch_execz .LBB6_606
; %bb.605:                              ;   in Loop: Header=BB6_357 Depth=4
	v_or_b32_sdwa v4, v7, s83 dst_sel:DWORD dst_unused:UNUSED_PAD src0_sel:BYTE_3 src1_sel:DWORD
	buffer_store_dword v4, off, s[0:3], s33 offset:136 ; 4-byte Folded Spill
                                        ; implicit-def: $vgpr7
.LBB6_606:                              ;   in Loop: Header=BB6_357 Depth=4
	s_andn2_saveexec_b64 s[30:31], vcc
	s_cbranch_execz .LBB6_608
; %bb.607:                              ;   in Loop: Header=BB6_357 Depth=4
	v_cmp_lt_i32_e32 vcc, -1, v7
	v_bfrev_b32_e32 v4, 0.5
	v_mov_b32_e32 v7, 0x7c
	v_cndmask_b32_e32 v4, v4, v7, vcc
	buffer_store_dword v4, off, s[0:3], s33 offset:136 ; 4-byte Folded Spill
.LBB6_608:                              ;   in Loop: Header=BB6_357 Depth=4
	s_or_b64 exec, exec, s[30:31]
.LBB6_609:                              ;   in Loop: Header=BB6_357 Depth=4
	s_or_b64 exec, exec, s[28:29]
	v_cmp_lt_u64_e32 vcc, s[56:57], v[48:49]
	v_mov_b32_e32 v4, 0
	v_mov_b32_e32 v28, 0
	s_and_saveexec_b64 s[28:29], vcc
	s_cbranch_execz .LBB6_617
; %bb.610:                              ;   in Loop: Header=BB6_357 Depth=4
	v_lshrrev_b32_e32 v7, 24, v49
	v_cmp_ne_u32_e32 vcc, s44, v7
	v_bfrev_b32_e32 v28, 1
	s_and_saveexec_b64 s[30:31], vcc
	s_cbranch_execz .LBB6_616
; %bb.611:                              ;   in Loop: Header=BB6_357 Depth=4
	v_and_b32_e32 v28, 0x7c000000, v49
	v_bfe_u32 v29, v49, 24, 2
	v_cmp_ne_u32_e32 vcc, s8, v28
                                        ; implicit-def: $vgpr28
	s_and_saveexec_b64 s[34:35], vcc
	s_xor_b64 s[34:35], exec, s[34:35]
	s_cbranch_execz .LBB6_613
; %bb.612:                              ;   in Loop: Header=BB6_357 Depth=4
	v_ffbh_u32_e32 v30, v29
	v_min_u32_e32 v30, 32, v30
	v_subrev_u32_e32 v32, 29, v30
	s_waitcnt vmcnt(0)
	v_lshlrev_b64 v[32:33], v32, v[7:8]
	v_bfe_u32 v28, v49, 26, 5
	v_sub_u32_e32 v7, 30, v30
	v_and_b32_e32 v30, 3, v32
	v_cmp_eq_u32_e32 vcc, 0, v28
	v_cndmask_b32_e32 v7, v28, v7, vcc
	v_cndmask_b32_e32 v28, v29, v30, vcc
	v_and_b32_e32 v29, 0x80000000, v49
	v_lshl_add_u32 v7, v7, 23, v29
	v_lshl_or_b32 v7, v28, 21, v7
	v_add_u32_e32 v28, 0x38000000, v7
                                        ; implicit-def: $vgpr29
.LBB6_613:                              ;   in Loop: Header=BB6_357 Depth=4
	s_andn2_saveexec_b64 s[34:35], s[34:35]
; %bb.614:                              ;   in Loop: Header=BB6_357 Depth=4
	v_cmp_lt_i64_e32 vcc, -1, v[48:49]
	v_mov_b32_e32 v7, 0xff800000
	v_mov_b32_e32 v28, 0x7f800000
	v_cndmask_b32_e32 v7, v7, v28, vcc
	v_cmp_eq_u32_e32 vcc, 0, v29
	v_mov_b32_e32 v28, 0x7f800001
	v_cndmask_b32_e32 v28, v28, v7, vcc
; %bb.615:                              ;   in Loop: Header=BB6_357 Depth=4
	s_or_b64 exec, exec, s[34:35]
.LBB6_616:                              ;   in Loop: Header=BB6_357 Depth=4
	s_or_b64 exec, exec, s[30:31]
.LBB6_617:                              ;   in Loop: Header=BB6_357 Depth=4
	s_or_b64 exec, exec, s[28:29]
	v_cmp_lt_u64_e32 vcc, s[56:57], v[36:37]
	s_and_saveexec_b64 s[28:29], vcc
	s_cbranch_execz .LBB6_625
; %bb.618:                              ;   in Loop: Header=BB6_357 Depth=4
	v_lshrrev_b32_e32 v7, 24, v37
	v_cmp_ne_u32_e32 vcc, s44, v7
	v_bfrev_b32_e32 v4, 1
	s_and_saveexec_b64 s[30:31], vcc
	s_cbranch_execz .LBB6_624
; %bb.619:                              ;   in Loop: Header=BB6_357 Depth=4
	v_and_b32_e32 v4, 0x7c000000, v37
	v_bfe_u32 v29, v37, 24, 2
	v_cmp_ne_u32_e32 vcc, s8, v4
                                        ; implicit-def: $vgpr4
	s_and_saveexec_b64 s[34:35], vcc
	s_xor_b64 s[34:35], exec, s[34:35]
	s_cbranch_execz .LBB6_621
; %bb.620:                              ;   in Loop: Header=BB6_357 Depth=4
	v_ffbh_u32_e32 v30, v29
	v_min_u32_e32 v30, 32, v30
	v_subrev_u32_e32 v32, 29, v30
	s_waitcnt vmcnt(0)
	v_lshlrev_b64 v[32:33], v32, v[7:8]
	v_bfe_u32 v4, v37, 26, 5
	v_sub_u32_e32 v7, 30, v30
	v_and_b32_e32 v30, 3, v32
	v_cmp_eq_u32_e32 vcc, 0, v4
	v_cndmask_b32_e32 v4, v4, v7, vcc
	v_cndmask_b32_e32 v7, v29, v30, vcc
	v_and_b32_e32 v29, 0x80000000, v37
	v_lshl_add_u32 v4, v4, 23, v29
	v_lshl_or_b32 v4, v7, 21, v4
	v_add_u32_e32 v4, 0x38000000, v4
                                        ; implicit-def: $vgpr29
.LBB6_621:                              ;   in Loop: Header=BB6_357 Depth=4
	s_andn2_saveexec_b64 s[34:35], s[34:35]
; %bb.622:                              ;   in Loop: Header=BB6_357 Depth=4
	v_cmp_lt_i64_e32 vcc, -1, v[36:37]
	v_mov_b32_e32 v4, 0xff800000
	v_mov_b32_e32 v7, 0x7f800000
	v_cndmask_b32_e32 v4, v4, v7, vcc
	v_cmp_eq_u32_e32 vcc, 0, v29
	v_mov_b32_e32 v7, 0x7f800001
	v_cndmask_b32_e32 v4, v7, v4, vcc
; %bb.623:                              ;   in Loop: Header=BB6_357 Depth=4
	s_or_b64 exec, exec, s[34:35]
.LBB6_624:                              ;   in Loop: Header=BB6_357 Depth=4
	s_or_b64 exec, exec, s[30:31]
.LBB6_625:                              ;   in Loop: Header=BB6_357 Depth=4
	s_or_b64 exec, exec, s[28:29]
	v_mul_f32_e32 v7, v28, v4
	v_and_b32_e32 v28, 0x7f800000, v7
	v_mov_b32_e32 v29, v34
	v_cmp_ne_u64_e32 vcc, s[76:77], v[28:29]
	v_and_b32_e32 v33, 0x7fffff, v7
                                        ; implicit-def: $vgpr4
                                        ; kill: killed $vgpr4
	s_and_saveexec_b64 s[28:29], vcc
	s_xor_b64 s[30:31], exec, s[28:29]
	s_cbranch_execz .LBB6_639
; %bb.626:                              ;   in Loop: Header=BB6_357 Depth=4
	v_and_b32_e32 v28, 0x7fffffff, v7
	v_mov_b32_e32 v29, v34
	v_cmp_gt_u64_e32 vcc, s[78:79], v[28:29]
	v_and_b32_sdwa v4, v7, s44 dst_sel:DWORD dst_unused:UNUSED_PAD src0_sel:BYTE_3 src1_sel:DWORD
                                        ; implicit-def: $vgpr28
                                        ; kill: killed $vgpr28
	s_and_saveexec_b64 s[28:29], vcc
	s_xor_b64 s[34:35], exec, s[28:29]
	s_cbranch_execz .LBB6_636
; %bb.627:                              ;   in Loop: Header=BB6_357 Depth=4
	v_mov_b32_e32 v28, 0
	v_cmp_ne_u32_e32 vcc, 0, v7
	buffer_store_dword v28, off, s[0:3], s33 offset:144 ; 4-byte Folded Spill
	s_and_saveexec_b64 s[36:37], vcc
	s_cbranch_execz .LBB6_635
; %bb.628:                              ;   in Loop: Header=BB6_357 Depth=4
	v_bfe_u32 v7, v7, 23, 8
	v_cmp_gt_u32_e64 s[28:29], s45, v7
	v_sub_u32_e32 v28, 0x71, v7
	v_cmp_eq_u32_e32 vcc, 0, v7
	v_cndmask_b32_e64 v28, 0, v28, s[28:29]
	v_mov_b32_e32 v30, 0x70
	v_cndmask_b32_e32 v32, v28, v30, vcc
	v_add_u32_e32 v30, 21, v32
	v_or_b32_e32 v29, 0x800000, v33
	v_lshlrev_b64 v[35:36], v30, -1
	v_cndmask_b32_e32 v28, v29, v33, vcc
	v_mov_b32_e32 v29, v34
	v_add_u32_e32 v30, 20, v32
	v_bfi_b32 v35, v35, 0, v28
	v_lshlrev_b64 v[48:49], v30, 1
	v_lshrrev_b64 v[28:29], v32, v[28:29]
	v_bfi_b32 v36, v36, 0, 0
	v_cmp_eq_u64_e64 s[28:29], v[35:36], v[48:49]
	v_mov_b32_e32 v30, v29
	v_mov_b32_e32 v29, v28
	s_and_saveexec_b64 s[38:39], s[28:29]
; %bb.629:                              ;   in Loop: Header=BB6_357 Depth=4
	v_bfe_u32 v29, v28, 21, 1
	v_add_co_u32_e64 v29, s[28:29], v28, v29
	v_add_co_u32_e64 v29, s[28:29], -1, v29
; %bb.630:                              ;   in Loop: Header=BB6_357 Depth=4
	s_or_b64 exec, exec, s[38:39]
	v_add_u32_e32 v7, 0xffffff81, v7
	v_mov_b32_e32 v30, 0xffffff82
	v_cndmask_b32_e32 v7, v7, v30, vcc
	v_lshrrev_b32_e32 v30, 23, v28
	v_add3_u32 v32, v32, v7, v30
	v_add_u32_e32 v30, 14, v32
	v_and_b32_e32 v7, 0x1fffff, v29
	v_add_u32_e32 v33, v7, v28
	v_cmp_ne_u32_e32 vcc, 0, v30
                                        ; implicit-def: $vgpr28_vgpr29
                                        ; implicit-def: $vgpr7
	s_and_saveexec_b64 s[28:29], vcc
	s_xor_b64 s[28:29], exec, s[28:29]
; %bb.631:                              ;   in Loop: Header=BB6_357 Depth=4
	v_cmp_lt_u64_e32 vcc, s[88:89], v[33:34]
	v_add_u32_e32 v7, 15, v32
	v_cndmask_b32_e64 v28, 0, 1, vcc
	v_cndmask_b32_e32 v7, v30, v7, vcc
	v_lshrrev_b64 v[28:29], v28, v[33:34]
; %bb.632:                              ;   in Loop: Header=BB6_357 Depth=4
	s_andn2_saveexec_b64 s[28:29], s[28:29]
; %bb.633:                              ;   in Loop: Header=BB6_357 Depth=4
	v_mov_b32_e32 v28, v33
	v_mov_b32_e32 v29, v34
	v_bfe_u32 v7, v33, 23, 1
; %bb.634:                              ;   in Loop: Header=BB6_357 Depth=4
	s_or_b64 exec, exec, s[28:29]
	v_lshrrev_b64 v[28:29], 21, v[28:29]
	v_cmp_gt_i32_e32 vcc, 32, v7
	v_cndmask_b32_e32 v29, 0, v29, vcc
	v_cndmask_b32_e32 v28, 3, v28, vcc
	v_cmp_eq_u32_e32 vcc, 0, v7
	v_min_i32_e32 v7, 31, v7
	v_cmp_eq_u64_e64 s[28:29], 0, v[28:29]
	v_lshlrev_b32_e32 v7, 2, v7
	v_and_b32_e32 v7, 0xfc, v7
	v_and_or_b32 v7, v28, 3, v7
	s_and_b64 s[28:29], vcc, s[28:29]
	v_cndmask_b32_e64 v7, v7, 0, s[28:29]
	v_or_b32_e32 v4, v7, v4
	buffer_store_dword v4, off, s[0:3], s33 offset:144 ; 4-byte Folded Spill
.LBB6_635:                              ;   in Loop: Header=BB6_357 Depth=4
	s_or_b64 exec, exec, s[36:37]
                                        ; implicit-def: $vgpr4
.LBB6_636:                              ;   in Loop: Header=BB6_357 Depth=4
	s_andn2_saveexec_b64 s[28:29], s[34:35]
	s_cbranch_execz .LBB6_638
; %bb.637:                              ;   in Loop: Header=BB6_357 Depth=4
	v_or_b32_e32 v4, 0x7b, v4
	buffer_store_dword v4, off, s[0:3], s33 offset:144 ; 4-byte Folded Spill
.LBB6_638:                              ;   in Loop: Header=BB6_357 Depth=4
	s_or_b64 exec, exec, s[28:29]
                                        ; implicit-def: $vgpr7
.LBB6_639:                              ;   in Loop: Header=BB6_357 Depth=4
	s_andn2_saveexec_b64 s[28:29], s[30:31]
	s_cbranch_execz .LBB6_645
; %bb.640:                              ;   in Loop: Header=BB6_357 Depth=4
	v_cmp_ne_u64_e32 vcc, 0, v[33:34]
                                        ; implicit-def: $vgpr4
                                        ; kill: killed $vgpr4
	s_and_saveexec_b64 s[30:31], vcc
	s_xor_b64 vcc, exec, s[30:31]
	s_cbranch_execz .LBB6_642
; %bb.641:                              ;   in Loop: Header=BB6_357 Depth=4
	v_or_b32_sdwa v4, v7, s83 dst_sel:DWORD dst_unused:UNUSED_PAD src0_sel:BYTE_3 src1_sel:DWORD
	buffer_store_dword v4, off, s[0:3], s33 offset:144 ; 4-byte Folded Spill
                                        ; implicit-def: $vgpr7
.LBB6_642:                              ;   in Loop: Header=BB6_357 Depth=4
	s_andn2_saveexec_b64 s[30:31], vcc
	s_cbranch_execz .LBB6_644
; %bb.643:                              ;   in Loop: Header=BB6_357 Depth=4
	v_cmp_lt_i32_e32 vcc, -1, v7
	v_bfrev_b32_e32 v4, 0.5
	v_mov_b32_e32 v7, 0x7c
	v_cndmask_b32_e32 v4, v4, v7, vcc
	buffer_store_dword v4, off, s[0:3], s33 offset:144 ; 4-byte Folded Spill
.LBB6_644:                              ;   in Loop: Header=BB6_357 Depth=4
	s_or_b64 exec, exec, s[30:31]
.LBB6_645:                              ;   in Loop: Header=BB6_357 Depth=4
	s_or_b64 exec, exec, s[28:29]
	v_cmp_ne_u16_sdwa vcc, v50, v34 src0_sel:BYTE_0 src1_sel:DWORD
	v_mov_b32_e32 v4, 0
	v_mov_b32_e32 v7, 0
	s_and_saveexec_b64 s[28:29], vcc
	s_cbranch_execz .LBB6_653
; %bb.646:                              ;   in Loop: Header=BB6_357 Depth=4
	v_cmp_ne_u16_sdwa vcc, sext(v50), s80 src0_sel:BYTE_0 src1_sel:DWORD
	v_bfrev_b32_e32 v7, 1
	s_and_saveexec_b64 s[30:31], vcc
	s_cbranch_execz .LBB6_652
; %bb.647:                              ;   in Loop: Header=BB6_357 Depth=4
	v_and_b32_e32 v7, 0x7c, v50
	v_and_b32_e32 v28, 3, v50
	v_cmp_ne_u32_e32 vcc, s81, v7
                                        ; implicit-def: $vgpr7
	s_and_saveexec_b64 s[34:35], vcc
	s_xor_b64 s[34:35], exec, s[34:35]
	s_cbranch_execz .LBB6_649
; %bb.648:                              ;   in Loop: Header=BB6_357 Depth=4
	v_ffbh_u32_e32 v29, v28
	v_min_u32_e32 v32, 32, v29
	v_subrev_u32_e32 v29, 29, v32
	v_lshlrev_b64 v[29:30], v29, v[50:51]
	v_bfe_u32 v7, v50, 2, 5
	v_and_b32_e32 v29, 3, v29
	v_cmp_eq_u32_e32 vcc, 0, v7
	v_sub_u32_e32 v30, 30, v32
	v_cndmask_b32_e32 v28, v28, v29, vcc
	v_lshlrev_b32_e32 v29, 24, v50
	v_cndmask_b32_e32 v7, v7, v30, vcc
	v_and_b32_e32 v29, 0x80000000, v29
	v_lshl_add_u32 v7, v7, 23, v29
	v_lshl_or_b32 v7, v28, 21, v7
	v_add_u32_e32 v7, 0x38000000, v7
                                        ; implicit-def: $vgpr28
.LBB6_649:                              ;   in Loop: Header=BB6_357 Depth=4
	s_andn2_saveexec_b64 s[34:35], s[34:35]
; %bb.650:                              ;   in Loop: Header=BB6_357 Depth=4
	v_mov_b32_e32 v7, -1
	v_cmp_gt_i16_sdwa vcc, sext(v50), v7 src0_sel:BYTE_0 src1_sel:DWORD
	v_mov_b32_e32 v7, 0xff800000
	v_mov_b32_e32 v29, 0x7f800000
	v_cndmask_b32_e32 v7, v7, v29, vcc
	v_cmp_eq_u32_e32 vcc, 0, v28
	v_mov_b32_e32 v28, 0x7f800001
	v_cndmask_b32_e32 v7, v28, v7, vcc
; %bb.651:                              ;   in Loop: Header=BB6_357 Depth=4
	s_or_b64 exec, exec, s[34:35]
.LBB6_652:                              ;   in Loop: Header=BB6_357 Depth=4
	s_or_b64 exec, exec, s[30:31]
.LBB6_653:                              ;   in Loop: Header=BB6_357 Depth=4
	s_or_b64 exec, exec, s[28:29]
	v_cmp_ne_u16_sdwa vcc, v38, v34 src0_sel:BYTE_0 src1_sel:DWORD
	s_and_saveexec_b64 s[28:29], vcc
	s_cbranch_execz .LBB6_661
; %bb.654:                              ;   in Loop: Header=BB6_357 Depth=4
	v_cmp_ne_u16_sdwa vcc, sext(v38), s80 src0_sel:BYTE_0 src1_sel:DWORD
	v_bfrev_b32_e32 v4, 1
	s_and_saveexec_b64 s[30:31], vcc
	s_cbranch_execz .LBB6_660
; %bb.655:                              ;   in Loop: Header=BB6_357 Depth=4
	v_and_b32_e32 v4, 0x7c, v38
	v_and_b32_e32 v28, 3, v38
	v_cmp_ne_u32_e32 vcc, s81, v4
                                        ; implicit-def: $vgpr4
	s_and_saveexec_b64 s[34:35], vcc
	s_xor_b64 s[34:35], exec, s[34:35]
	s_cbranch_execz .LBB6_657
; %bb.656:                              ;   in Loop: Header=BB6_357 Depth=4
	v_ffbh_u32_e32 v29, v28
	v_min_u32_e32 v32, 32, v29
	v_subrev_u32_e32 v29, 29, v32
	v_lshlrev_b64 v[29:30], v29, v[38:39]
	v_bfe_u32 v4, v38, 2, 5
	v_and_b32_e32 v29, 3, v29
	v_cmp_eq_u32_e32 vcc, 0, v4
	v_sub_u32_e32 v30, 30, v32
	v_cndmask_b32_e32 v28, v28, v29, vcc
	v_lshlrev_b32_e32 v29, 24, v38
	v_cndmask_b32_e32 v4, v4, v30, vcc
	v_and_b32_e32 v29, 0x80000000, v29
	v_lshl_add_u32 v4, v4, 23, v29
	v_lshl_or_b32 v4, v28, 21, v4
	v_add_u32_e32 v4, 0x38000000, v4
                                        ; implicit-def: $vgpr28
.LBB6_657:                              ;   in Loop: Header=BB6_357 Depth=4
	s_andn2_saveexec_b64 s[34:35], s[34:35]
; %bb.658:                              ;   in Loop: Header=BB6_357 Depth=4
	v_mov_b32_e32 v4, -1
	v_cmp_gt_i16_sdwa vcc, sext(v38), v4 src0_sel:BYTE_0 src1_sel:DWORD
	v_mov_b32_e32 v4, 0xff800000
	v_mov_b32_e32 v29, 0x7f800000
	v_cndmask_b32_e32 v4, v4, v29, vcc
	v_cmp_eq_u32_e32 vcc, 0, v28
	v_mov_b32_e32 v28, 0x7f800001
	v_cndmask_b32_e32 v4, v28, v4, vcc
; %bb.659:                              ;   in Loop: Header=BB6_357 Depth=4
	s_or_b64 exec, exec, s[34:35]
.LBB6_660:                              ;   in Loop: Header=BB6_357 Depth=4
	s_or_b64 exec, exec, s[30:31]
.LBB6_661:                              ;   in Loop: Header=BB6_357 Depth=4
	s_or_b64 exec, exec, s[28:29]
	v_mul_f32_e32 v7, v7, v4
	v_and_b32_e32 v28, 0x7f800000, v7
	v_mov_b32_e32 v29, v34
	v_cmp_ne_u64_e32 vcc, s[76:77], v[28:29]
	v_and_b32_e32 v33, 0x7fffff, v7
                                        ; implicit-def: $vgpr4
                                        ; kill: killed $vgpr4
	s_and_saveexec_b64 s[28:29], vcc
	s_xor_b64 s[30:31], exec, s[28:29]
	s_cbranch_execz .LBB6_675
; %bb.662:                              ;   in Loop: Header=BB6_357 Depth=4
	v_and_b32_e32 v28, 0x7fffffff, v7
	v_mov_b32_e32 v29, v34
	v_cmp_gt_u64_e32 vcc, s[78:79], v[28:29]
	v_and_b32_sdwa v4, v7, s44 dst_sel:DWORD dst_unused:UNUSED_PAD src0_sel:BYTE_3 src1_sel:DWORD
                                        ; implicit-def: $vgpr28
                                        ; kill: killed $vgpr28
	s_and_saveexec_b64 s[28:29], vcc
	s_xor_b64 s[34:35], exec, s[28:29]
	s_cbranch_execz .LBB6_672
; %bb.663:                              ;   in Loop: Header=BB6_357 Depth=4
	v_mov_b32_e32 v28, 0
	v_cmp_ne_u32_e32 vcc, 0, v7
	buffer_store_dword v28, off, s[0:3], s33 offset:152 ; 4-byte Folded Spill
	s_and_saveexec_b64 s[36:37], vcc
	s_cbranch_execz .LBB6_671
; %bb.664:                              ;   in Loop: Header=BB6_357 Depth=4
	v_bfe_u32 v7, v7, 23, 8
	v_cmp_gt_u32_e64 s[28:29], s45, v7
	v_sub_u32_e32 v28, 0x71, v7
	v_cmp_eq_u32_e32 vcc, 0, v7
	v_cndmask_b32_e64 v28, 0, v28, s[28:29]
	v_mov_b32_e32 v30, 0x70
	v_cndmask_b32_e32 v32, v28, v30, vcc
	v_add_u32_e32 v30, 21, v32
	v_or_b32_e32 v29, 0x800000, v33
	v_lshlrev_b64 v[35:36], v30, -1
	v_cndmask_b32_e32 v28, v29, v33, vcc
	v_mov_b32_e32 v29, v34
	v_add_u32_e32 v30, 20, v32
	v_bfi_b32 v35, v35, 0, v28
	v_lshlrev_b64 v[48:49], v30, 1
	v_lshrrev_b64 v[28:29], v32, v[28:29]
	v_bfi_b32 v36, v36, 0, 0
	v_cmp_eq_u64_e64 s[28:29], v[35:36], v[48:49]
	v_mov_b32_e32 v30, v29
	v_mov_b32_e32 v29, v28
	s_and_saveexec_b64 s[38:39], s[28:29]
; %bb.665:                              ;   in Loop: Header=BB6_357 Depth=4
	v_bfe_u32 v29, v28, 21, 1
	v_add_co_u32_e64 v29, s[28:29], v28, v29
	v_add_co_u32_e64 v29, s[28:29], -1, v29
; %bb.666:                              ;   in Loop: Header=BB6_357 Depth=4
	s_or_b64 exec, exec, s[38:39]
	v_add_u32_e32 v7, 0xffffff81, v7
	v_mov_b32_e32 v30, 0xffffff82
	v_cndmask_b32_e32 v7, v7, v30, vcc
	v_lshrrev_b32_e32 v30, 23, v28
	v_add3_u32 v32, v32, v7, v30
	v_add_u32_e32 v30, 14, v32
	v_and_b32_e32 v7, 0x1fffff, v29
	v_add_u32_e32 v33, v7, v28
	v_cmp_ne_u32_e32 vcc, 0, v30
                                        ; implicit-def: $vgpr28_vgpr29
                                        ; implicit-def: $vgpr7
	s_and_saveexec_b64 s[28:29], vcc
	s_xor_b64 s[28:29], exec, s[28:29]
; %bb.667:                              ;   in Loop: Header=BB6_357 Depth=4
	v_cmp_lt_u64_e32 vcc, s[88:89], v[33:34]
	v_add_u32_e32 v7, 15, v32
	v_cndmask_b32_e64 v28, 0, 1, vcc
	v_cndmask_b32_e32 v7, v30, v7, vcc
	v_lshrrev_b64 v[28:29], v28, v[33:34]
; %bb.668:                              ;   in Loop: Header=BB6_357 Depth=4
	s_andn2_saveexec_b64 s[28:29], s[28:29]
; %bb.669:                              ;   in Loop: Header=BB6_357 Depth=4
	v_mov_b32_e32 v28, v33
	v_mov_b32_e32 v29, v34
	v_bfe_u32 v7, v33, 23, 1
; %bb.670:                              ;   in Loop: Header=BB6_357 Depth=4
	s_or_b64 exec, exec, s[28:29]
	v_lshrrev_b64 v[28:29], 21, v[28:29]
	v_cmp_gt_i32_e32 vcc, 32, v7
	v_cndmask_b32_e32 v29, 0, v29, vcc
	v_cndmask_b32_e32 v28, 3, v28, vcc
	v_cmp_eq_u32_e32 vcc, 0, v7
	v_min_i32_e32 v7, 31, v7
	v_cmp_eq_u64_e64 s[28:29], 0, v[28:29]
	v_lshlrev_b32_e32 v7, 2, v7
	v_and_b32_e32 v7, 0xfc, v7
	v_and_or_b32 v7, v28, 3, v7
	s_and_b64 s[28:29], vcc, s[28:29]
	v_cndmask_b32_e64 v7, v7, 0, s[28:29]
	v_or_b32_e32 v4, v7, v4
	buffer_store_dword v4, off, s[0:3], s33 offset:152 ; 4-byte Folded Spill
.LBB6_671:                              ;   in Loop: Header=BB6_357 Depth=4
	s_or_b64 exec, exec, s[36:37]
                                        ; implicit-def: $vgpr4
.LBB6_672:                              ;   in Loop: Header=BB6_357 Depth=4
	s_andn2_saveexec_b64 s[28:29], s[34:35]
	s_cbranch_execz .LBB6_674
; %bb.673:                              ;   in Loop: Header=BB6_357 Depth=4
	v_or_b32_e32 v4, 0x7b, v4
	buffer_store_dword v4, off, s[0:3], s33 offset:152 ; 4-byte Folded Spill
.LBB6_674:                              ;   in Loop: Header=BB6_357 Depth=4
	s_or_b64 exec, exec, s[28:29]
                                        ; implicit-def: $vgpr7
.LBB6_675:                              ;   in Loop: Header=BB6_357 Depth=4
	s_andn2_saveexec_b64 s[28:29], s[30:31]
	s_cbranch_execz .LBB6_681
; %bb.676:                              ;   in Loop: Header=BB6_357 Depth=4
	v_cmp_ne_u64_e32 vcc, 0, v[33:34]
                                        ; implicit-def: $vgpr4
                                        ; kill: killed $vgpr4
	s_and_saveexec_b64 s[30:31], vcc
	s_xor_b64 vcc, exec, s[30:31]
	s_cbranch_execz .LBB6_678
; %bb.677:                              ;   in Loop: Header=BB6_357 Depth=4
	v_or_b32_sdwa v4, v7, s83 dst_sel:DWORD dst_unused:UNUSED_PAD src0_sel:BYTE_3 src1_sel:DWORD
	buffer_store_dword v4, off, s[0:3], s33 offset:152 ; 4-byte Folded Spill
                                        ; implicit-def: $vgpr7
.LBB6_678:                              ;   in Loop: Header=BB6_357 Depth=4
	s_andn2_saveexec_b64 s[30:31], vcc
	s_cbranch_execz .LBB6_680
; %bb.679:                              ;   in Loop: Header=BB6_357 Depth=4
	v_cmp_lt_i32_e32 vcc, -1, v7
	v_bfrev_b32_e32 v4, 0.5
	v_mov_b32_e32 v7, 0x7c
	v_cndmask_b32_e32 v4, v4, v7, vcc
	buffer_store_dword v4, off, s[0:3], s33 offset:152 ; 4-byte Folded Spill
.LBB6_680:                              ;   in Loop: Header=BB6_357 Depth=4
	s_or_b64 exec, exec, s[30:31]
.LBB6_681:                              ;   in Loop: Header=BB6_357 Depth=4
	s_or_b64 exec, exec, s[28:29]
	v_lshrrev_b16_e32 v28, 8, v50
	v_cmp_ne_u16_e32 vcc, 0, v28
	v_mov_b32_e32 v4, 0
	v_mov_b32_e32 v7, 0
	s_and_saveexec_b64 s[28:29], vcc
	s_cbranch_execz .LBB6_689
; %bb.682:                              ;   in Loop: Header=BB6_357 Depth=4
	v_cmp_ne_u16_e32 vcc, s44, v28
	v_bfrev_b32_e32 v7, 1
	s_and_saveexec_b64 s[30:31], vcc
	s_cbranch_execz .LBB6_688
; %bb.683:                              ;   in Loop: Header=BB6_357 Depth=4
	v_and_b32_e32 v7, 0x7c, v28
	v_and_b32_e32 v30, 3, v28
	v_cmp_ne_u32_e32 vcc, s81, v7
                                        ; implicit-def: $vgpr7
	s_and_saveexec_b64 s[34:35], vcc
	s_xor_b64 s[34:35], exec, s[34:35]
	s_cbranch_execz .LBB6_685
; %bb.684:                              ;   in Loop: Header=BB6_357 Depth=4
	v_ffbh_u32_e32 v32, v30
	v_min_u32_e32 v32, 32, v32
	v_mov_b32_e32 v29, v34
	v_subrev_u32_e32 v33, 29, v32
	v_bfe_u32 v7, v28, 2, 5
	v_lshlrev_b64 v[28:29], v33, v[28:29]
	v_sub_u32_e32 v29, 30, v32
	v_cmp_eq_u32_e32 vcc, 0, v7
	v_cndmask_b32_e32 v7, v7, v29, vcc
	v_lshlrev_b32_e32 v29, 16, v50
	v_and_b32_e32 v28, 3, v28
	v_and_b32_e32 v29, 0x80000000, v29
	v_cndmask_b32_e32 v28, v30, v28, vcc
	v_lshl_add_u32 v7, v7, 23, v29
	v_lshl_or_b32 v7, v28, 21, v7
	v_add_u32_e32 v7, 0x38000000, v7
                                        ; implicit-def: $vgpr30
.LBB6_685:                              ;   in Loop: Header=BB6_357 Depth=4
	s_andn2_saveexec_b64 s[34:35], s[34:35]
; %bb.686:                              ;   in Loop: Header=BB6_357 Depth=4
	v_cmp_lt_i16_e32 vcc, -1, v50
	v_mov_b32_e32 v7, 0xff800000
	v_mov_b32_e32 v28, 0x7f800000
	v_cndmask_b32_e32 v7, v7, v28, vcc
	v_cmp_eq_u32_e32 vcc, 0, v30
	v_mov_b32_e32 v28, 0x7f800001
	v_cndmask_b32_e32 v7, v28, v7, vcc
; %bb.687:                              ;   in Loop: Header=BB6_357 Depth=4
	s_or_b64 exec, exec, s[34:35]
.LBB6_688:                              ;   in Loop: Header=BB6_357 Depth=4
	s_or_b64 exec, exec, s[30:31]
.LBB6_689:                              ;   in Loop: Header=BB6_357 Depth=4
	s_or_b64 exec, exec, s[28:29]
	v_lshrrev_b16_e32 v28, 8, v38
	v_cmp_ne_u16_e32 vcc, 0, v28
	s_and_saveexec_b64 s[28:29], vcc
	s_cbranch_execz .LBB6_697
; %bb.690:                              ;   in Loop: Header=BB6_357 Depth=4
	v_cmp_ne_u16_e32 vcc, s44, v28
	v_bfrev_b32_e32 v4, 1
	s_and_saveexec_b64 s[30:31], vcc
	s_cbranch_execz .LBB6_696
; %bb.691:                              ;   in Loop: Header=BB6_357 Depth=4
	v_and_b32_e32 v4, 0x7c, v28
	v_and_b32_e32 v30, 3, v28
	v_cmp_ne_u32_e32 vcc, s81, v4
                                        ; implicit-def: $vgpr4
	s_and_saveexec_b64 s[34:35], vcc
	s_xor_b64 s[34:35], exec, s[34:35]
	s_cbranch_execz .LBB6_693
; %bb.692:                              ;   in Loop: Header=BB6_357 Depth=4
	v_ffbh_u32_e32 v32, v30
	v_min_u32_e32 v32, 32, v32
	v_mov_b32_e32 v29, v34
	v_subrev_u32_e32 v33, 29, v32
	v_bfe_u32 v4, v28, 2, 5
	v_lshlrev_b64 v[28:29], v33, v[28:29]
	v_sub_u32_e32 v29, 30, v32
	v_cmp_eq_u32_e32 vcc, 0, v4
	v_cndmask_b32_e32 v4, v4, v29, vcc
	v_lshlrev_b32_e32 v29, 16, v38
	v_and_b32_e32 v28, 3, v28
	v_and_b32_e32 v29, 0x80000000, v29
	v_cndmask_b32_e32 v28, v30, v28, vcc
	v_lshl_add_u32 v4, v4, 23, v29
	v_lshl_or_b32 v4, v28, 21, v4
	v_add_u32_e32 v4, 0x38000000, v4
                                        ; implicit-def: $vgpr30
.LBB6_693:                              ;   in Loop: Header=BB6_357 Depth=4
	s_andn2_saveexec_b64 s[34:35], s[34:35]
; %bb.694:                              ;   in Loop: Header=BB6_357 Depth=4
	v_cmp_lt_i16_e32 vcc, -1, v38
	v_mov_b32_e32 v4, 0xff800000
	v_mov_b32_e32 v28, 0x7f800000
	v_cndmask_b32_e32 v4, v4, v28, vcc
	v_cmp_eq_u32_e32 vcc, 0, v30
	v_mov_b32_e32 v28, 0x7f800001
	v_cndmask_b32_e32 v4, v28, v4, vcc
; %bb.695:                              ;   in Loop: Header=BB6_357 Depth=4
	s_or_b64 exec, exec, s[34:35]
.LBB6_696:                              ;   in Loop: Header=BB6_357 Depth=4
	s_or_b64 exec, exec, s[30:31]
.LBB6_697:                              ;   in Loop: Header=BB6_357 Depth=4
	s_or_b64 exec, exec, s[28:29]
	v_mul_f32_e32 v7, v7, v4
	v_and_b32_e32 v28, 0x7f800000, v7
	v_mov_b32_e32 v29, v34
	v_cmp_ne_u64_e32 vcc, s[76:77], v[28:29]
	v_and_b32_e32 v33, 0x7fffff, v7
                                        ; implicit-def: $vgpr4
                                        ; kill: killed $vgpr4
	s_and_saveexec_b64 s[28:29], vcc
	s_xor_b64 s[30:31], exec, s[28:29]
	s_cbranch_execz .LBB6_711
; %bb.698:                              ;   in Loop: Header=BB6_357 Depth=4
	v_and_b32_e32 v28, 0x7fffffff, v7
	v_mov_b32_e32 v29, v34
	v_cmp_gt_u64_e32 vcc, s[78:79], v[28:29]
	v_and_b32_sdwa v4, v7, s44 dst_sel:DWORD dst_unused:UNUSED_PAD src0_sel:BYTE_3 src1_sel:DWORD
                                        ; implicit-def: $vgpr28
                                        ; kill: killed $vgpr28
	s_and_saveexec_b64 s[28:29], vcc
	s_xor_b64 s[34:35], exec, s[28:29]
	s_cbranch_execz .LBB6_708
; %bb.699:                              ;   in Loop: Header=BB6_357 Depth=4
	v_mov_b32_e32 v28, 0
	v_cmp_ne_u32_e32 vcc, 0, v7
	buffer_store_dword v28, off, s[0:3], s33 offset:160 ; 4-byte Folded Spill
	s_and_saveexec_b64 s[36:37], vcc
	s_cbranch_execz .LBB6_707
; %bb.700:                              ;   in Loop: Header=BB6_357 Depth=4
	v_bfe_u32 v7, v7, 23, 8
	v_cmp_gt_u32_e64 s[28:29], s45, v7
	v_sub_u32_e32 v28, 0x71, v7
	v_cmp_eq_u32_e32 vcc, 0, v7
	v_cndmask_b32_e64 v28, 0, v28, s[28:29]
	v_mov_b32_e32 v30, 0x70
	v_cndmask_b32_e32 v32, v28, v30, vcc
	v_add_u32_e32 v30, 21, v32
	v_or_b32_e32 v29, 0x800000, v33
	v_lshlrev_b64 v[35:36], v30, -1
	v_cndmask_b32_e32 v28, v29, v33, vcc
	v_mov_b32_e32 v29, v34
	v_add_u32_e32 v30, 20, v32
	v_bfi_b32 v35, v35, 0, v28
	v_lshlrev_b64 v[48:49], v30, 1
	v_lshrrev_b64 v[28:29], v32, v[28:29]
	v_bfi_b32 v36, v36, 0, 0
	v_cmp_eq_u64_e64 s[28:29], v[35:36], v[48:49]
	v_mov_b32_e32 v30, v29
	v_mov_b32_e32 v29, v28
	s_and_saveexec_b64 s[38:39], s[28:29]
; %bb.701:                              ;   in Loop: Header=BB6_357 Depth=4
	v_bfe_u32 v29, v28, 21, 1
	v_add_co_u32_e64 v29, s[28:29], v28, v29
	v_add_co_u32_e64 v29, s[28:29], -1, v29
; %bb.702:                              ;   in Loop: Header=BB6_357 Depth=4
	s_or_b64 exec, exec, s[38:39]
	v_add_u32_e32 v7, 0xffffff81, v7
	v_mov_b32_e32 v30, 0xffffff82
	v_cndmask_b32_e32 v7, v7, v30, vcc
	v_lshrrev_b32_e32 v30, 23, v28
	v_add3_u32 v32, v32, v7, v30
	v_add_u32_e32 v30, 14, v32
	v_and_b32_e32 v7, 0x1fffff, v29
	v_add_u32_e32 v33, v7, v28
	v_cmp_ne_u32_e32 vcc, 0, v30
                                        ; implicit-def: $vgpr28_vgpr29
                                        ; implicit-def: $vgpr7
	s_and_saveexec_b64 s[28:29], vcc
	s_xor_b64 s[28:29], exec, s[28:29]
; %bb.703:                              ;   in Loop: Header=BB6_357 Depth=4
	v_cmp_lt_u64_e32 vcc, s[88:89], v[33:34]
	v_add_u32_e32 v7, 15, v32
	v_cndmask_b32_e64 v28, 0, 1, vcc
	v_cndmask_b32_e32 v7, v30, v7, vcc
	v_lshrrev_b64 v[28:29], v28, v[33:34]
; %bb.704:                              ;   in Loop: Header=BB6_357 Depth=4
	s_andn2_saveexec_b64 s[28:29], s[28:29]
; %bb.705:                              ;   in Loop: Header=BB6_357 Depth=4
	v_mov_b32_e32 v28, v33
	v_mov_b32_e32 v29, v34
	v_bfe_u32 v7, v33, 23, 1
; %bb.706:                              ;   in Loop: Header=BB6_357 Depth=4
	s_or_b64 exec, exec, s[28:29]
	v_lshrrev_b64 v[28:29], 21, v[28:29]
	v_cmp_gt_i32_e32 vcc, 32, v7
	v_cndmask_b32_e32 v29, 0, v29, vcc
	v_cndmask_b32_e32 v28, 3, v28, vcc
	v_cmp_eq_u32_e32 vcc, 0, v7
	v_min_i32_e32 v7, 31, v7
	v_cmp_eq_u64_e64 s[28:29], 0, v[28:29]
	v_lshlrev_b32_e32 v7, 2, v7
	v_and_b32_e32 v7, 0xfc, v7
	v_and_or_b32 v7, v28, 3, v7
	s_and_b64 s[28:29], vcc, s[28:29]
	v_cndmask_b32_e64 v7, v7, 0, s[28:29]
	v_or_b32_e32 v4, v7, v4
	buffer_store_dword v4, off, s[0:3], s33 offset:160 ; 4-byte Folded Spill
.LBB6_707:                              ;   in Loop: Header=BB6_357 Depth=4
	s_or_b64 exec, exec, s[36:37]
                                        ; implicit-def: $vgpr4
.LBB6_708:                              ;   in Loop: Header=BB6_357 Depth=4
	s_andn2_saveexec_b64 s[28:29], s[34:35]
	s_cbranch_execz .LBB6_710
; %bb.709:                              ;   in Loop: Header=BB6_357 Depth=4
	v_or_b32_e32 v4, 0x7b, v4
	buffer_store_dword v4, off, s[0:3], s33 offset:160 ; 4-byte Folded Spill
.LBB6_710:                              ;   in Loop: Header=BB6_357 Depth=4
	s_or_b64 exec, exec, s[28:29]
                                        ; implicit-def: $vgpr7
.LBB6_711:                              ;   in Loop: Header=BB6_357 Depth=4
	s_andn2_saveexec_b64 s[28:29], s[30:31]
	s_cbranch_execz .LBB6_717
; %bb.712:                              ;   in Loop: Header=BB6_357 Depth=4
	v_cmp_ne_u64_e32 vcc, 0, v[33:34]
                                        ; implicit-def: $vgpr4
                                        ; kill: killed $vgpr4
	s_and_saveexec_b64 s[30:31], vcc
	s_xor_b64 vcc, exec, s[30:31]
	s_cbranch_execz .LBB6_714
; %bb.713:                              ;   in Loop: Header=BB6_357 Depth=4
	v_or_b32_sdwa v4, v7, s83 dst_sel:DWORD dst_unused:UNUSED_PAD src0_sel:BYTE_3 src1_sel:DWORD
	buffer_store_dword v4, off, s[0:3], s33 offset:160 ; 4-byte Folded Spill
                                        ; implicit-def: $vgpr7
.LBB6_714:                              ;   in Loop: Header=BB6_357 Depth=4
	s_andn2_saveexec_b64 s[30:31], vcc
	s_cbranch_execz .LBB6_716
; %bb.715:                              ;   in Loop: Header=BB6_357 Depth=4
	v_cmp_lt_i32_e32 vcc, -1, v7
	v_bfrev_b32_e32 v4, 0.5
	v_mov_b32_e32 v7, 0x7c
	v_cndmask_b32_e32 v4, v4, v7, vcc
	buffer_store_dword v4, off, s[0:3], s33 offset:160 ; 4-byte Folded Spill
.LBB6_716:                              ;   in Loop: Header=BB6_357 Depth=4
	s_or_b64 exec, exec, s[30:31]
.LBB6_717:                              ;   in Loop: Header=BB6_357 Depth=4
	s_or_b64 exec, exec, s[28:29]
	v_lshrrev_b32_e32 v7, 16, v50
	v_cmp_ne_u16_sdwa vcc, v7, v34 src0_sel:BYTE_0 src1_sel:DWORD
	v_mov_b32_e32 v4, 0
	v_mov_b32_e32 v28, 0
	s_and_saveexec_b64 s[28:29], vcc
	s_cbranch_execz .LBB6_725
; %bb.718:                              ;   in Loop: Header=BB6_357 Depth=4
	v_cmp_ne_u16_sdwa vcc, v7, s44 src0_sel:BYTE_0 src1_sel:DWORD
	v_bfrev_b32_e32 v28, 1
	s_and_saveexec_b64 s[30:31], vcc
	s_cbranch_execz .LBB6_724
; %bb.719:                              ;   in Loop: Header=BB6_357 Depth=4
	v_and_b32_e32 v28, 0x7c0000, v50
	v_bfe_u32 v29, v50, 16, 2
	v_cmp_ne_u32_e32 vcc, s9, v28
                                        ; implicit-def: $vgpr28
	s_and_saveexec_b64 s[34:35], vcc
	s_xor_b64 s[34:35], exec, s[34:35]
	s_cbranch_execz .LBB6_721
; %bb.720:                              ;   in Loop: Header=BB6_357 Depth=4
	v_ffbh_u32_e32 v30, v29
	v_min_u32_e32 v30, 32, v30
	v_subrev_u32_e32 v32, 29, v30
	s_waitcnt vmcnt(0)
	v_lshlrev_b64 v[32:33], v32, v[7:8]
	v_bfe_u32 v28, v50, 18, 5
	v_sub_u32_e32 v7, 30, v30
	v_and_b32_e32 v30, 3, v32
	v_cmp_eq_u32_e32 vcc, 0, v28
	v_cndmask_b32_e32 v7, v28, v7, vcc
	v_cndmask_b32_e32 v28, v29, v30, vcc
	v_lshlrev_b32_e32 v29, 8, v50
	v_and_b32_e32 v29, 0x80000000, v29
	v_lshl_add_u32 v7, v7, 23, v29
	v_lshl_or_b32 v7, v28, 21, v7
	v_add_u32_e32 v28, 0x38000000, v7
                                        ; implicit-def: $vgpr29
                                        ; implicit-def: $vgpr7
.LBB6_721:                              ;   in Loop: Header=BB6_357 Depth=4
	s_andn2_saveexec_b64 s[34:35], s[34:35]
; %bb.722:                              ;   in Loop: Header=BB6_357 Depth=4
	v_mov_b32_e32 v28, -1
	v_cmp_gt_i16_sdwa vcc, sext(v7), v28 src0_sel:BYTE_0 src1_sel:DWORD
	v_mov_b32_e32 v7, 0xff800000
	v_mov_b32_e32 v28, 0x7f800000
	v_cndmask_b32_e32 v7, v7, v28, vcc
	v_cmp_eq_u32_e32 vcc, 0, v29
	v_mov_b32_e32 v28, 0x7f800001
	v_cndmask_b32_e32 v28, v28, v7, vcc
; %bb.723:                              ;   in Loop: Header=BB6_357 Depth=4
	s_or_b64 exec, exec, s[34:35]
.LBB6_724:                              ;   in Loop: Header=BB6_357 Depth=4
	s_or_b64 exec, exec, s[30:31]
.LBB6_725:                              ;   in Loop: Header=BB6_357 Depth=4
	s_or_b64 exec, exec, s[28:29]
	v_lshrrev_b32_e32 v7, 16, v38
	v_cmp_ne_u16_sdwa vcc, v7, v34 src0_sel:BYTE_0 src1_sel:DWORD
	s_and_saveexec_b64 s[28:29], vcc
	s_cbranch_execz .LBB6_733
; %bb.726:                              ;   in Loop: Header=BB6_357 Depth=4
	v_cmp_ne_u16_sdwa vcc, v7, s44 src0_sel:BYTE_0 src1_sel:DWORD
	v_bfrev_b32_e32 v4, 1
	s_and_saveexec_b64 s[30:31], vcc
	s_cbranch_execz .LBB6_732
; %bb.727:                              ;   in Loop: Header=BB6_357 Depth=4
	v_and_b32_e32 v4, 0x7c0000, v38
	v_bfe_u32 v29, v38, 16, 2
	v_cmp_ne_u32_e32 vcc, s9, v4
                                        ; implicit-def: $vgpr4
	s_and_saveexec_b64 s[34:35], vcc
	s_xor_b64 s[34:35], exec, s[34:35]
	s_cbranch_execz .LBB6_729
; %bb.728:                              ;   in Loop: Header=BB6_357 Depth=4
	v_ffbh_u32_e32 v30, v29
	v_min_u32_e32 v30, 32, v30
	v_subrev_u32_e32 v32, 29, v30
	s_waitcnt vmcnt(0)
	v_lshlrev_b64 v[32:33], v32, v[7:8]
	v_bfe_u32 v4, v38, 18, 5
	v_sub_u32_e32 v7, 30, v30
	v_and_b32_e32 v30, 3, v32
	v_cmp_eq_u32_e32 vcc, 0, v4
	v_cndmask_b32_e32 v4, v4, v7, vcc
	v_cndmask_b32_e32 v7, v29, v30, vcc
	v_lshlrev_b32_e32 v29, 8, v38
	v_and_b32_e32 v29, 0x80000000, v29
	v_lshl_add_u32 v4, v4, 23, v29
	v_lshl_or_b32 v4, v7, 21, v4
	v_add_u32_e32 v4, 0x38000000, v4
                                        ; implicit-def: $vgpr29
                                        ; implicit-def: $vgpr7
.LBB6_729:                              ;   in Loop: Header=BB6_357 Depth=4
	s_andn2_saveexec_b64 s[34:35], s[34:35]
; %bb.730:                              ;   in Loop: Header=BB6_357 Depth=4
	v_mov_b32_e32 v4, -1
	v_cmp_gt_i16_sdwa vcc, sext(v7), v4 src0_sel:BYTE_0 src1_sel:DWORD
	v_mov_b32_e32 v4, 0xff800000
	v_mov_b32_e32 v7, 0x7f800000
	v_cndmask_b32_e32 v4, v4, v7, vcc
	v_cmp_eq_u32_e32 vcc, 0, v29
	v_mov_b32_e32 v7, 0x7f800001
	v_cndmask_b32_e32 v4, v7, v4, vcc
; %bb.731:                              ;   in Loop: Header=BB6_357 Depth=4
	s_or_b64 exec, exec, s[34:35]
.LBB6_732:                              ;   in Loop: Header=BB6_357 Depth=4
	s_or_b64 exec, exec, s[30:31]
.LBB6_733:                              ;   in Loop: Header=BB6_357 Depth=4
	s_or_b64 exec, exec, s[28:29]
	v_mul_f32_e32 v7, v28, v4
	v_and_b32_e32 v28, 0x7f800000, v7
	v_mov_b32_e32 v29, v34
	v_cmp_ne_u64_e32 vcc, s[76:77], v[28:29]
	v_and_b32_e32 v33, 0x7fffff, v7
                                        ; implicit-def: $vgpr4
                                        ; kill: killed $vgpr4
	s_and_saveexec_b64 s[28:29], vcc
	s_xor_b64 s[30:31], exec, s[28:29]
	s_cbranch_execz .LBB6_747
; %bb.734:                              ;   in Loop: Header=BB6_357 Depth=4
	v_and_b32_e32 v28, 0x7fffffff, v7
	v_mov_b32_e32 v29, v34
	v_cmp_gt_u64_e32 vcc, s[78:79], v[28:29]
	v_and_b32_sdwa v4, v7, s44 dst_sel:DWORD dst_unused:UNUSED_PAD src0_sel:BYTE_3 src1_sel:DWORD
                                        ; implicit-def: $vgpr28
                                        ; kill: killed $vgpr28
	s_and_saveexec_b64 s[28:29], vcc
	s_xor_b64 s[34:35], exec, s[28:29]
	s_cbranch_execz .LBB6_744
; %bb.735:                              ;   in Loop: Header=BB6_357 Depth=4
	v_mov_b32_e32 v28, 0
	v_cmp_ne_u32_e32 vcc, 0, v7
	buffer_store_dword v28, off, s[0:3], s33 offset:168 ; 4-byte Folded Spill
	s_and_saveexec_b64 s[36:37], vcc
	s_cbranch_execz .LBB6_743
; %bb.736:                              ;   in Loop: Header=BB6_357 Depth=4
	v_bfe_u32 v7, v7, 23, 8
	v_cmp_gt_u32_e64 s[28:29], s45, v7
	v_sub_u32_e32 v28, 0x71, v7
	v_cmp_eq_u32_e32 vcc, 0, v7
	v_cndmask_b32_e64 v28, 0, v28, s[28:29]
	v_mov_b32_e32 v30, 0x70
	v_cndmask_b32_e32 v32, v28, v30, vcc
	v_add_u32_e32 v30, 21, v32
	v_or_b32_e32 v29, 0x800000, v33
	v_lshlrev_b64 v[35:36], v30, -1
	v_cndmask_b32_e32 v28, v29, v33, vcc
	v_mov_b32_e32 v29, v34
	v_add_u32_e32 v30, 20, v32
	v_bfi_b32 v35, v35, 0, v28
	v_lshlrev_b64 v[48:49], v30, 1
	v_lshrrev_b64 v[28:29], v32, v[28:29]
	v_bfi_b32 v36, v36, 0, 0
	v_cmp_eq_u64_e64 s[28:29], v[35:36], v[48:49]
	v_mov_b32_e32 v30, v29
	v_mov_b32_e32 v29, v28
	s_and_saveexec_b64 s[38:39], s[28:29]
; %bb.737:                              ;   in Loop: Header=BB6_357 Depth=4
	v_bfe_u32 v29, v28, 21, 1
	v_add_co_u32_e64 v29, s[28:29], v28, v29
	v_add_co_u32_e64 v29, s[28:29], -1, v29
; %bb.738:                              ;   in Loop: Header=BB6_357 Depth=4
	s_or_b64 exec, exec, s[38:39]
	v_add_u32_e32 v7, 0xffffff81, v7
	v_mov_b32_e32 v30, 0xffffff82
	v_cndmask_b32_e32 v7, v7, v30, vcc
	v_lshrrev_b32_e32 v30, 23, v28
	v_add3_u32 v32, v32, v7, v30
	v_add_u32_e32 v30, 14, v32
	v_and_b32_e32 v7, 0x1fffff, v29
	v_add_u32_e32 v33, v7, v28
	v_cmp_ne_u32_e32 vcc, 0, v30
                                        ; implicit-def: $vgpr28_vgpr29
                                        ; implicit-def: $vgpr7
	s_and_saveexec_b64 s[28:29], vcc
	s_xor_b64 s[28:29], exec, s[28:29]
; %bb.739:                              ;   in Loop: Header=BB6_357 Depth=4
	v_cmp_lt_u64_e32 vcc, s[88:89], v[33:34]
	v_add_u32_e32 v7, 15, v32
	v_cndmask_b32_e64 v28, 0, 1, vcc
	v_cndmask_b32_e32 v7, v30, v7, vcc
	v_lshrrev_b64 v[28:29], v28, v[33:34]
; %bb.740:                              ;   in Loop: Header=BB6_357 Depth=4
	s_andn2_saveexec_b64 s[28:29], s[28:29]
; %bb.741:                              ;   in Loop: Header=BB6_357 Depth=4
	v_mov_b32_e32 v28, v33
	v_mov_b32_e32 v29, v34
	v_bfe_u32 v7, v33, 23, 1
; %bb.742:                              ;   in Loop: Header=BB6_357 Depth=4
	s_or_b64 exec, exec, s[28:29]
	v_lshrrev_b64 v[28:29], 21, v[28:29]
	v_cmp_gt_i32_e32 vcc, 32, v7
	v_cndmask_b32_e32 v29, 0, v29, vcc
	v_cndmask_b32_e32 v28, 3, v28, vcc
	v_cmp_eq_u32_e32 vcc, 0, v7
	v_min_i32_e32 v7, 31, v7
	v_cmp_eq_u64_e64 s[28:29], 0, v[28:29]
	v_lshlrev_b32_e32 v7, 2, v7
	v_and_b32_e32 v7, 0xfc, v7
	v_and_or_b32 v7, v28, 3, v7
	s_and_b64 s[28:29], vcc, s[28:29]
	v_cndmask_b32_e64 v7, v7, 0, s[28:29]
	v_or_b32_e32 v4, v7, v4
	buffer_store_dword v4, off, s[0:3], s33 offset:168 ; 4-byte Folded Spill
.LBB6_743:                              ;   in Loop: Header=BB6_357 Depth=4
	s_or_b64 exec, exec, s[36:37]
                                        ; implicit-def: $vgpr4
.LBB6_744:                              ;   in Loop: Header=BB6_357 Depth=4
	s_andn2_saveexec_b64 s[28:29], s[34:35]
	s_cbranch_execz .LBB6_746
; %bb.745:                              ;   in Loop: Header=BB6_357 Depth=4
	v_or_b32_e32 v4, 0x7b, v4
	buffer_store_dword v4, off, s[0:3], s33 offset:168 ; 4-byte Folded Spill
.LBB6_746:                              ;   in Loop: Header=BB6_357 Depth=4
	s_or_b64 exec, exec, s[28:29]
                                        ; implicit-def: $vgpr7
.LBB6_747:                              ;   in Loop: Header=BB6_357 Depth=4
	s_andn2_saveexec_b64 s[28:29], s[30:31]
	s_cbranch_execz .LBB6_753
; %bb.748:                              ;   in Loop: Header=BB6_357 Depth=4
	v_cmp_ne_u64_e32 vcc, 0, v[33:34]
                                        ; implicit-def: $vgpr4
                                        ; kill: killed $vgpr4
	s_and_saveexec_b64 s[30:31], vcc
	s_xor_b64 vcc, exec, s[30:31]
	s_cbranch_execz .LBB6_750
; %bb.749:                              ;   in Loop: Header=BB6_357 Depth=4
	v_or_b32_sdwa v4, v7, s83 dst_sel:DWORD dst_unused:UNUSED_PAD src0_sel:BYTE_3 src1_sel:DWORD
	buffer_store_dword v4, off, s[0:3], s33 offset:168 ; 4-byte Folded Spill
                                        ; implicit-def: $vgpr7
.LBB6_750:                              ;   in Loop: Header=BB6_357 Depth=4
	s_andn2_saveexec_b64 s[30:31], vcc
	s_cbranch_execz .LBB6_752
; %bb.751:                              ;   in Loop: Header=BB6_357 Depth=4
	v_cmp_lt_i32_e32 vcc, -1, v7
	v_bfrev_b32_e32 v4, 0.5
	v_mov_b32_e32 v7, 0x7c
	v_cndmask_b32_e32 v4, v4, v7, vcc
	buffer_store_dword v4, off, s[0:3], s33 offset:168 ; 4-byte Folded Spill
.LBB6_752:                              ;   in Loop: Header=BB6_357 Depth=4
	s_or_b64 exec, exec, s[30:31]
.LBB6_753:                              ;   in Loop: Header=BB6_357 Depth=4
	s_or_b64 exec, exec, s[28:29]
	v_cmp_lt_u32_e32 vcc, s57, v50
	v_mov_b32_e32 v4, 0
	v_mov_b32_e32 v28, 0
	s_and_saveexec_b64 s[28:29], vcc
	s_cbranch_execz .LBB6_761
; %bb.754:                              ;   in Loop: Header=BB6_357 Depth=4
	v_lshrrev_b32_e32 v7, 24, v50
	v_cmp_ne_u32_e32 vcc, s44, v7
	v_bfrev_b32_e32 v28, 1
	s_and_saveexec_b64 s[30:31], vcc
	s_cbranch_execz .LBB6_760
; %bb.755:                              ;   in Loop: Header=BB6_357 Depth=4
	v_and_b32_e32 v28, 0x7c000000, v50
	v_bfe_u32 v29, v50, 24, 2
	v_cmp_ne_u32_e32 vcc, s8, v28
                                        ; implicit-def: $vgpr28
	s_and_saveexec_b64 s[34:35], vcc
	s_xor_b64 s[34:35], exec, s[34:35]
	s_cbranch_execz .LBB6_757
; %bb.756:                              ;   in Loop: Header=BB6_357 Depth=4
	v_ffbh_u32_e32 v30, v29
	v_min_u32_e32 v30, 32, v30
	v_subrev_u32_e32 v32, 29, v30
	s_waitcnt vmcnt(0)
	v_lshlrev_b64 v[32:33], v32, v[7:8]
	v_bfe_u32 v28, v50, 26, 5
	v_sub_u32_e32 v7, 30, v30
	v_and_b32_e32 v30, 3, v32
	v_cmp_eq_u32_e32 vcc, 0, v28
	v_cndmask_b32_e32 v7, v28, v7, vcc
	v_cndmask_b32_e32 v28, v29, v30, vcc
	v_and_b32_e32 v29, 0x80000000, v50
	v_lshl_add_u32 v7, v7, 23, v29
	v_lshl_or_b32 v7, v28, 21, v7
	v_add_u32_e32 v28, 0x38000000, v7
                                        ; implicit-def: $vgpr29
.LBB6_757:                              ;   in Loop: Header=BB6_357 Depth=4
	s_andn2_saveexec_b64 s[34:35], s[34:35]
; %bb.758:                              ;   in Loop: Header=BB6_357 Depth=4
	v_cmp_lt_i32_e32 vcc, -1, v50
	v_mov_b32_e32 v7, 0xff800000
	v_mov_b32_e32 v28, 0x7f800000
	v_cndmask_b32_e32 v7, v7, v28, vcc
	v_cmp_eq_u32_e32 vcc, 0, v29
	v_mov_b32_e32 v28, 0x7f800001
	v_cndmask_b32_e32 v28, v28, v7, vcc
; %bb.759:                              ;   in Loop: Header=BB6_357 Depth=4
	s_or_b64 exec, exec, s[34:35]
.LBB6_760:                              ;   in Loop: Header=BB6_357 Depth=4
	s_or_b64 exec, exec, s[30:31]
.LBB6_761:                              ;   in Loop: Header=BB6_357 Depth=4
	s_or_b64 exec, exec, s[28:29]
	v_cmp_lt_u32_e32 vcc, s57, v38
	s_and_saveexec_b64 s[28:29], vcc
	s_cbranch_execz .LBB6_769
; %bb.762:                              ;   in Loop: Header=BB6_357 Depth=4
	v_lshrrev_b32_e32 v7, 24, v38
	v_cmp_ne_u32_e32 vcc, s44, v7
	v_bfrev_b32_e32 v4, 1
	s_and_saveexec_b64 s[30:31], vcc
	s_cbranch_execz .LBB6_768
; %bb.763:                              ;   in Loop: Header=BB6_357 Depth=4
	v_and_b32_e32 v4, 0x7c000000, v38
	v_bfe_u32 v29, v38, 24, 2
	v_cmp_ne_u32_e32 vcc, s8, v4
                                        ; implicit-def: $vgpr4
	s_and_saveexec_b64 s[34:35], vcc
	s_xor_b64 s[34:35], exec, s[34:35]
	s_cbranch_execz .LBB6_765
; %bb.764:                              ;   in Loop: Header=BB6_357 Depth=4
	v_ffbh_u32_e32 v30, v29
	v_min_u32_e32 v30, 32, v30
	v_subrev_u32_e32 v32, 29, v30
	s_waitcnt vmcnt(0)
	v_lshlrev_b64 v[32:33], v32, v[7:8]
	v_bfe_u32 v4, v38, 26, 5
	v_sub_u32_e32 v7, 30, v30
	v_and_b32_e32 v30, 3, v32
	v_cmp_eq_u32_e32 vcc, 0, v4
	v_cndmask_b32_e32 v4, v4, v7, vcc
	v_cndmask_b32_e32 v7, v29, v30, vcc
	v_and_b32_e32 v29, 0x80000000, v38
	v_lshl_add_u32 v4, v4, 23, v29
	v_lshl_or_b32 v4, v7, 21, v4
	v_add_u32_e32 v4, 0x38000000, v4
                                        ; implicit-def: $vgpr29
.LBB6_765:                              ;   in Loop: Header=BB6_357 Depth=4
	s_andn2_saveexec_b64 s[34:35], s[34:35]
; %bb.766:                              ;   in Loop: Header=BB6_357 Depth=4
	v_cmp_lt_i32_e32 vcc, -1, v38
	v_mov_b32_e32 v4, 0xff800000
	v_mov_b32_e32 v7, 0x7f800000
	v_cndmask_b32_e32 v4, v4, v7, vcc
	v_cmp_eq_u32_e32 vcc, 0, v29
	v_mov_b32_e32 v7, 0x7f800001
	v_cndmask_b32_e32 v4, v7, v4, vcc
; %bb.767:                              ;   in Loop: Header=BB6_357 Depth=4
	s_or_b64 exec, exec, s[34:35]
.LBB6_768:                              ;   in Loop: Header=BB6_357 Depth=4
	s_or_b64 exec, exec, s[30:31]
.LBB6_769:                              ;   in Loop: Header=BB6_357 Depth=4
	s_or_b64 exec, exec, s[28:29]
	v_mul_f32_e32 v7, v28, v4
	v_and_b32_e32 v28, 0x7f800000, v7
	v_mov_b32_e32 v29, v34
	v_cmp_ne_u64_e32 vcc, s[76:77], v[28:29]
	v_and_b32_e32 v33, 0x7fffff, v7
                                        ; implicit-def: $vgpr4
                                        ; kill: killed $vgpr4
	s_and_saveexec_b64 s[28:29], vcc
	s_xor_b64 s[30:31], exec, s[28:29]
	s_cbranch_execz .LBB6_783
; %bb.770:                              ;   in Loop: Header=BB6_357 Depth=4
	v_and_b32_e32 v28, 0x7fffffff, v7
	v_mov_b32_e32 v29, v34
	v_cmp_gt_u64_e32 vcc, s[78:79], v[28:29]
	v_and_b32_sdwa v4, v7, s44 dst_sel:DWORD dst_unused:UNUSED_PAD src0_sel:BYTE_3 src1_sel:DWORD
                                        ; implicit-def: $vgpr28
                                        ; kill: killed $vgpr28
	s_and_saveexec_b64 s[28:29], vcc
	s_xor_b64 s[34:35], exec, s[28:29]
	s_cbranch_execz .LBB6_780
; %bb.771:                              ;   in Loop: Header=BB6_357 Depth=4
	v_mov_b32_e32 v28, 0
	v_cmp_ne_u32_e32 vcc, 0, v7
	buffer_store_dword v28, off, s[0:3], s33 offset:176 ; 4-byte Folded Spill
	s_and_saveexec_b64 s[36:37], vcc
	s_cbranch_execz .LBB6_779
; %bb.772:                              ;   in Loop: Header=BB6_357 Depth=4
	v_bfe_u32 v7, v7, 23, 8
	v_cmp_gt_u32_e64 s[28:29], s45, v7
	v_sub_u32_e32 v28, 0x71, v7
	v_cmp_eq_u32_e32 vcc, 0, v7
	v_cndmask_b32_e64 v28, 0, v28, s[28:29]
	v_mov_b32_e32 v30, 0x70
	v_cndmask_b32_e32 v32, v28, v30, vcc
	v_add_u32_e32 v30, 21, v32
	v_or_b32_e32 v29, 0x800000, v33
	v_lshlrev_b64 v[35:36], v30, -1
	v_cndmask_b32_e32 v28, v29, v33, vcc
	v_mov_b32_e32 v29, v34
	v_add_u32_e32 v30, 20, v32
	v_bfi_b32 v35, v35, 0, v28
	v_lshlrev_b64 v[48:49], v30, 1
	v_lshrrev_b64 v[28:29], v32, v[28:29]
	v_bfi_b32 v36, v36, 0, 0
	v_cmp_eq_u64_e64 s[28:29], v[35:36], v[48:49]
	v_mov_b32_e32 v30, v29
	v_mov_b32_e32 v29, v28
	s_and_saveexec_b64 s[38:39], s[28:29]
; %bb.773:                              ;   in Loop: Header=BB6_357 Depth=4
	v_bfe_u32 v29, v28, 21, 1
	v_add_co_u32_e64 v29, s[28:29], v28, v29
	v_add_co_u32_e64 v29, s[28:29], -1, v29
; %bb.774:                              ;   in Loop: Header=BB6_357 Depth=4
	s_or_b64 exec, exec, s[38:39]
	v_add_u32_e32 v7, 0xffffff81, v7
	v_mov_b32_e32 v30, 0xffffff82
	v_cndmask_b32_e32 v7, v7, v30, vcc
	v_lshrrev_b32_e32 v30, 23, v28
	v_add3_u32 v32, v32, v7, v30
	v_add_u32_e32 v30, 14, v32
	v_and_b32_e32 v7, 0x1fffff, v29
	v_add_u32_e32 v33, v7, v28
	v_cmp_ne_u32_e32 vcc, 0, v30
                                        ; implicit-def: $vgpr28_vgpr29
                                        ; implicit-def: $vgpr7
	s_and_saveexec_b64 s[28:29], vcc
	s_xor_b64 s[28:29], exec, s[28:29]
; %bb.775:                              ;   in Loop: Header=BB6_357 Depth=4
	v_cmp_lt_u64_e32 vcc, s[88:89], v[33:34]
	v_add_u32_e32 v7, 15, v32
	v_cndmask_b32_e64 v28, 0, 1, vcc
	v_cndmask_b32_e32 v7, v30, v7, vcc
	v_lshrrev_b64 v[28:29], v28, v[33:34]
; %bb.776:                              ;   in Loop: Header=BB6_357 Depth=4
	s_andn2_saveexec_b64 s[28:29], s[28:29]
; %bb.777:                              ;   in Loop: Header=BB6_357 Depth=4
	v_mov_b32_e32 v28, v33
	v_mov_b32_e32 v29, v34
	v_bfe_u32 v7, v33, 23, 1
; %bb.778:                              ;   in Loop: Header=BB6_357 Depth=4
	s_or_b64 exec, exec, s[28:29]
	v_lshrrev_b64 v[28:29], 21, v[28:29]
	v_cmp_gt_i32_e32 vcc, 32, v7
	v_cndmask_b32_e32 v29, 0, v29, vcc
	v_cndmask_b32_e32 v28, 3, v28, vcc
	v_cmp_eq_u32_e32 vcc, 0, v7
	v_min_i32_e32 v7, 31, v7
	v_cmp_eq_u64_e64 s[28:29], 0, v[28:29]
	v_lshlrev_b32_e32 v7, 2, v7
	v_and_b32_e32 v7, 0xfc, v7
	v_and_or_b32 v7, v28, 3, v7
	s_and_b64 s[28:29], vcc, s[28:29]
	v_cndmask_b32_e64 v7, v7, 0, s[28:29]
	v_or_b32_e32 v4, v7, v4
	buffer_store_dword v4, off, s[0:3], s33 offset:176 ; 4-byte Folded Spill
.LBB6_779:                              ;   in Loop: Header=BB6_357 Depth=4
	s_or_b64 exec, exec, s[36:37]
                                        ; implicit-def: $vgpr4
.LBB6_780:                              ;   in Loop: Header=BB6_357 Depth=4
	s_andn2_saveexec_b64 s[28:29], s[34:35]
	s_cbranch_execz .LBB6_782
; %bb.781:                              ;   in Loop: Header=BB6_357 Depth=4
	v_or_b32_e32 v4, 0x7b, v4
	buffer_store_dword v4, off, s[0:3], s33 offset:176 ; 4-byte Folded Spill
.LBB6_782:                              ;   in Loop: Header=BB6_357 Depth=4
	s_or_b64 exec, exec, s[28:29]
                                        ; implicit-def: $vgpr7
.LBB6_783:                              ;   in Loop: Header=BB6_357 Depth=4
	s_andn2_saveexec_b64 s[28:29], s[30:31]
	s_cbranch_execz .LBB6_789
; %bb.784:                              ;   in Loop: Header=BB6_357 Depth=4
	v_cmp_ne_u64_e32 vcc, 0, v[33:34]
                                        ; implicit-def: $vgpr4
                                        ; kill: killed $vgpr4
	s_and_saveexec_b64 s[30:31], vcc
	s_xor_b64 vcc, exec, s[30:31]
	s_cbranch_execz .LBB6_786
; %bb.785:                              ;   in Loop: Header=BB6_357 Depth=4
	v_or_b32_sdwa v4, v7, s83 dst_sel:DWORD dst_unused:UNUSED_PAD src0_sel:BYTE_3 src1_sel:DWORD
	buffer_store_dword v4, off, s[0:3], s33 offset:176 ; 4-byte Folded Spill
                                        ; implicit-def: $vgpr7
.LBB6_786:                              ;   in Loop: Header=BB6_357 Depth=4
	s_andn2_saveexec_b64 s[30:31], vcc
	s_cbranch_execz .LBB6_788
; %bb.787:                              ;   in Loop: Header=BB6_357 Depth=4
	v_cmp_lt_i32_e32 vcc, -1, v7
	v_bfrev_b32_e32 v4, 0.5
	v_mov_b32_e32 v7, 0x7c
	v_cndmask_b32_e32 v4, v4, v7, vcc
	buffer_store_dword v4, off, s[0:3], s33 offset:176 ; 4-byte Folded Spill
.LBB6_788:                              ;   in Loop: Header=BB6_357 Depth=4
	s_or_b64 exec, exec, s[30:31]
.LBB6_789:                              ;   in Loop: Header=BB6_357 Depth=4
	s_or_b64 exec, exec, s[28:29]
	v_mov_b32_e32 v33, v51
	v_cmp_ne_u16_sdwa vcc, v51, v34 src0_sel:BYTE_0 src1_sel:DWORD
	v_mov_b32_e32 v7, 0
	v_mov_b32_e32 v4, 0
	s_and_saveexec_b64 s[28:29], vcc
	s_cbranch_execz .LBB6_797
; %bb.790:                              ;   in Loop: Header=BB6_357 Depth=4
	v_cmp_ne_u16_sdwa vcc, v51, s44 src0_sel:BYTE_0 src1_sel:DWORD
	v_bfrev_b32_e32 v4, 1
	s_and_saveexec_b64 s[30:31], vcc
	s_cbranch_execz .LBB6_796
; %bb.791:                              ;   in Loop: Header=BB6_357 Depth=4
	v_and_b32_e32 v4, 0x7c, v51
	v_and_b32_e32 v28, 3, v51
	v_cmp_ne_u32_e32 vcc, s81, v4
                                        ; implicit-def: $vgpr4
	s_and_saveexec_b64 s[34:35], vcc
	s_xor_b64 s[34:35], exec, s[34:35]
	s_cbranch_execz .LBB6_793
; %bb.792:                              ;   in Loop: Header=BB6_357 Depth=4
	v_ffbh_u32_e32 v29, v28
	v_min_u32_e32 v32, 32, v29
	v_subrev_u32_e32 v29, 29, v32
	v_lshlrev_b64 v[29:30], v29, v[33:34]
	v_bfe_u32 v4, v51, 2, 5
	v_and_b32_e32 v29, 3, v29
	v_cmp_eq_u32_e32 vcc, 0, v4
	v_sub_u32_e32 v30, 30, v32
	v_cndmask_b32_e32 v28, v28, v29, vcc
	v_lshlrev_b32_e32 v29, 24, v51
	v_cndmask_b32_e32 v4, v4, v30, vcc
	v_and_b32_e32 v29, 0x80000000, v29
	v_lshl_add_u32 v4, v4, 23, v29
	v_lshl_or_b32 v4, v28, 21, v4
	v_add_u32_e32 v4, 0x38000000, v4
                                        ; implicit-def: $vgpr28
.LBB6_793:                              ;   in Loop: Header=BB6_357 Depth=4
	s_andn2_saveexec_b64 s[34:35], s[34:35]
; %bb.794:                              ;   in Loop: Header=BB6_357 Depth=4
	v_mov_b32_e32 v4, -1
	v_cmp_gt_i16_sdwa vcc, sext(v51), v4 src0_sel:BYTE_0 src1_sel:DWORD
	v_mov_b32_e32 v4, 0xff800000
	v_mov_b32_e32 v29, 0x7f800000
	v_cndmask_b32_e32 v4, v4, v29, vcc
	v_cmp_eq_u32_e32 vcc, 0, v28
	v_mov_b32_e32 v28, 0x7f800001
	v_cndmask_b32_e32 v4, v28, v4, vcc
; %bb.795:                              ;   in Loop: Header=BB6_357 Depth=4
	s_or_b64 exec, exec, s[34:35]
.LBB6_796:                              ;   in Loop: Header=BB6_357 Depth=4
	s_or_b64 exec, exec, s[30:31]
.LBB6_797:                              ;   in Loop: Header=BB6_357 Depth=4
	s_or_b64 exec, exec, s[28:29]
	v_cmp_ne_u16_sdwa vcc, v39, v34 src0_sel:BYTE_0 src1_sel:DWORD
	s_and_saveexec_b64 s[28:29], vcc
	s_cbranch_execz .LBB6_805
; %bb.798:                              ;   in Loop: Header=BB6_357 Depth=4
	v_cmp_ne_u16_sdwa vcc, v39, s44 src0_sel:BYTE_0 src1_sel:DWORD
	v_bfrev_b32_e32 v7, 1
	s_and_saveexec_b64 s[30:31], vcc
	s_cbranch_execz .LBB6_804
; %bb.799:                              ;   in Loop: Header=BB6_357 Depth=4
	v_and_b32_e32 v7, 0x7c, v39
	v_and_b32_e32 v28, 3, v39
	v_cmp_ne_u32_e32 vcc, s81, v7
                                        ; implicit-def: $vgpr7
	s_and_saveexec_b64 s[34:35], vcc
	s_xor_b64 s[34:35], exec, s[34:35]
	s_cbranch_execz .LBB6_801
; %bb.800:                              ;   in Loop: Header=BB6_357 Depth=4
	v_ffbh_u32_e32 v32, v28
	v_min_u32_e32 v32, 32, v32
	v_mov_b32_e32 v29, v39
	v_mov_b32_e32 v30, v34
	v_subrev_u32_e32 v35, 29, v32
	v_lshlrev_b64 v[29:30], v35, v[29:30]
	v_bfe_u32 v7, v39, 2, 5
	v_and_b32_e32 v29, 3, v29
	v_cmp_eq_u32_e32 vcc, 0, v7
	v_sub_u32_e32 v30, 30, v32
	v_cndmask_b32_e32 v28, v28, v29, vcc
	v_lshlrev_b32_e32 v29, 24, v39
	v_cndmask_b32_e32 v7, v7, v30, vcc
	v_and_b32_e32 v29, 0x80000000, v29
	v_lshl_add_u32 v7, v7, 23, v29
	v_lshl_or_b32 v7, v28, 21, v7
	v_add_u32_e32 v7, 0x38000000, v7
                                        ; implicit-def: $vgpr28
.LBB6_801:                              ;   in Loop: Header=BB6_357 Depth=4
	s_andn2_saveexec_b64 s[34:35], s[34:35]
; %bb.802:                              ;   in Loop: Header=BB6_357 Depth=4
	v_mov_b32_e32 v7, -1
	v_cmp_gt_i16_sdwa vcc, sext(v39), v7 src0_sel:BYTE_0 src1_sel:DWORD
	v_mov_b32_e32 v7, 0xff800000
	v_mov_b32_e32 v29, 0x7f800000
	v_cndmask_b32_e32 v7, v7, v29, vcc
	v_cmp_eq_u32_e32 vcc, 0, v28
	v_mov_b32_e32 v28, 0x7f800001
	v_cndmask_b32_e32 v7, v28, v7, vcc
; %bb.803:                              ;   in Loop: Header=BB6_357 Depth=4
	s_or_b64 exec, exec, s[34:35]
.LBB6_804:                              ;   in Loop: Header=BB6_357 Depth=4
	s_or_b64 exec, exec, s[30:31]
.LBB6_805:                              ;   in Loop: Header=BB6_357 Depth=4
	s_or_b64 exec, exec, s[28:29]
	v_mul_f32_e32 v7, v4, v7
	v_and_b32_e32 v29, 0x7f800000, v7
	v_mov_b32_e32 v30, v34
	v_cmp_ne_u64_e32 vcc, s[76:77], v[29:30]
	v_and_b32_e32 v28, 0x7fffff, v7
	v_mov_b32_e32 v29, v34
                                        ; implicit-def: $vgpr4
                                        ; kill: killed $vgpr4
	s_and_saveexec_b64 s[28:29], vcc
	s_xor_b64 s[30:31], exec, s[28:29]
	s_cbranch_execz .LBB6_819
; %bb.806:                              ;   in Loop: Header=BB6_357 Depth=4
	v_and_b32_e32 v35, 0x7fffffff, v7
	v_mov_b32_e32 v36, v34
	v_cmp_gt_u64_e32 vcc, s[78:79], v[35:36]
	v_and_b32_sdwa v4, v7, s44 dst_sel:DWORD dst_unused:UNUSED_PAD src0_sel:BYTE_3 src1_sel:DWORD
                                        ; implicit-def: $vgpr30
                                        ; kill: killed $vgpr30
	s_and_saveexec_b64 s[28:29], vcc
	s_xor_b64 s[34:35], exec, s[28:29]
	s_cbranch_execz .LBB6_816
; %bb.807:                              ;   in Loop: Header=BB6_357 Depth=4
	v_mov_b32_e32 v30, 0
	v_cmp_ne_u32_e32 vcc, 0, v7
	buffer_store_dword v30, off, s[0:3], s33 offset:184 ; 4-byte Folded Spill
	s_and_saveexec_b64 s[36:37], vcc
	s_cbranch_execz .LBB6_815
; %bb.808:                              ;   in Loop: Header=BB6_357 Depth=4
	v_bfe_u32 v7, v7, 23, 8
	v_cmp_gt_u32_e64 s[28:29], s45, v7
	v_sub_u32_e32 v30, 0x71, v7
	v_cmp_eq_u32_e32 vcc, 0, v7
	v_cndmask_b32_e64 v30, 0, v30, s[28:29]
	v_mov_b32_e32 v32, 0x70
	v_cndmask_b32_e32 v32, v30, v32, vcc
	v_or_b32_e32 v35, 0x800000, v28
	v_add_u32_e32 v30, 21, v32
	v_cndmask_b32_e32 v28, v35, v28, vcc
	v_lshlrev_b64 v[35:36], v30, -1
	v_add_u32_e32 v30, 20, v32
	v_bfi_b32 v35, v35, 0, v28
	v_lshlrev_b64 v[48:49], v30, 1
	v_lshrrev_b64 v[28:29], v32, v[28:29]
	v_bfi_b32 v36, v36, 0, 0
	v_cmp_eq_u64_e64 s[28:29], v[35:36], v[48:49]
	v_mov_b32_e32 v30, v29
	v_mov_b32_e32 v29, v28
	s_and_saveexec_b64 s[38:39], s[28:29]
; %bb.809:                              ;   in Loop: Header=BB6_357 Depth=4
	v_bfe_u32 v29, v28, 21, 1
	v_add_co_u32_e64 v29, s[28:29], v28, v29
	v_add_co_u32_e64 v29, s[28:29], -1, v29
; %bb.810:                              ;   in Loop: Header=BB6_357 Depth=4
	s_or_b64 exec, exec, s[38:39]
	v_add_u32_e32 v7, 0xffffff81, v7
	v_mov_b32_e32 v30, 0xffffff82
	v_cndmask_b32_e32 v7, v7, v30, vcc
	v_lshrrev_b32_e32 v30, 23, v28
	v_add3_u32 v32, v32, v7, v30
	v_add_u32_e32 v30, 14, v32
	v_and_b32_e32 v7, 0x1fffff, v29
	v_add_u32_e32 v28, v7, v28
	v_mov_b32_e32 v29, v34
	v_cmp_ne_u32_e32 vcc, 0, v30
                                        ; implicit-def: $vgpr7
	s_and_saveexec_b64 s[28:29], vcc
	s_xor_b64 s[28:29], exec, s[28:29]
; %bb.811:                              ;   in Loop: Header=BB6_357 Depth=4
	v_cmp_lt_u64_e32 vcc, s[88:89], v[28:29]
	v_add_u32_e32 v7, 15, v32
	v_cndmask_b32_e32 v7, v30, v7, vcc
	v_cndmask_b32_e64 v30, 0, 1, vcc
	v_lshrrev_b64 v[28:29], v30, v[28:29]
; %bb.812:                              ;   in Loop: Header=BB6_357 Depth=4
	s_andn2_saveexec_b64 s[28:29], s[28:29]
; %bb.813:                              ;   in Loop: Header=BB6_357 Depth=4
	v_bfe_u32 v7, v28, 23, 1
; %bb.814:                              ;   in Loop: Header=BB6_357 Depth=4
	s_or_b64 exec, exec, s[28:29]
	v_lshrrev_b64 v[28:29], 21, v[28:29]
	v_cmp_gt_i32_e32 vcc, 32, v7
	v_cndmask_b32_e32 v29, 0, v29, vcc
	v_cndmask_b32_e32 v28, 3, v28, vcc
	v_cmp_eq_u32_e32 vcc, 0, v7
	v_min_i32_e32 v7, 31, v7
	v_cmp_eq_u64_e64 s[28:29], 0, v[28:29]
	v_lshlrev_b32_e32 v7, 2, v7
	v_and_b32_e32 v7, 0xfc, v7
	v_and_or_b32 v7, v28, 3, v7
	s_and_b64 s[28:29], vcc, s[28:29]
	v_cndmask_b32_e64 v7, v7, 0, s[28:29]
	v_or_b32_e32 v4, v7, v4
	buffer_store_dword v4, off, s[0:3], s33 offset:184 ; 4-byte Folded Spill
.LBB6_815:                              ;   in Loop: Header=BB6_357 Depth=4
	s_or_b64 exec, exec, s[36:37]
                                        ; implicit-def: $vgpr4
.LBB6_816:                              ;   in Loop: Header=BB6_357 Depth=4
	s_andn2_saveexec_b64 s[28:29], s[34:35]
	s_cbranch_execz .LBB6_818
; %bb.817:                              ;   in Loop: Header=BB6_357 Depth=4
	v_or_b32_e32 v4, 0x7b, v4
	buffer_store_dword v4, off, s[0:3], s33 offset:184 ; 4-byte Folded Spill
.LBB6_818:                              ;   in Loop: Header=BB6_357 Depth=4
	s_or_b64 exec, exec, s[28:29]
                                        ; implicit-def: $vgpr7
                                        ; implicit-def: $vgpr28_vgpr29
.LBB6_819:                              ;   in Loop: Header=BB6_357 Depth=4
	s_andn2_saveexec_b64 s[28:29], s[30:31]
	s_cbranch_execz .LBB6_825
; %bb.820:                              ;   in Loop: Header=BB6_357 Depth=4
	v_cmp_ne_u64_e32 vcc, 0, v[28:29]
                                        ; implicit-def: $vgpr4
                                        ; kill: killed $vgpr4
	s_and_saveexec_b64 s[30:31], vcc
	s_xor_b64 vcc, exec, s[30:31]
	s_cbranch_execz .LBB6_822
; %bb.821:                              ;   in Loop: Header=BB6_357 Depth=4
	v_or_b32_sdwa v4, v7, s83 dst_sel:DWORD dst_unused:UNUSED_PAD src0_sel:BYTE_3 src1_sel:DWORD
	buffer_store_dword v4, off, s[0:3], s33 offset:184 ; 4-byte Folded Spill
                                        ; implicit-def: $vgpr7
.LBB6_822:                              ;   in Loop: Header=BB6_357 Depth=4
	s_andn2_saveexec_b64 s[30:31], vcc
	s_cbranch_execz .LBB6_824
; %bb.823:                              ;   in Loop: Header=BB6_357 Depth=4
	v_cmp_lt_i32_e32 vcc, -1, v7
	v_bfrev_b32_e32 v4, 0.5
	v_mov_b32_e32 v7, 0x7c
	v_cndmask_b32_e32 v4, v4, v7, vcc
	buffer_store_dword v4, off, s[0:3], s33 offset:184 ; 4-byte Folded Spill
.LBB6_824:                              ;   in Loop: Header=BB6_357 Depth=4
	s_or_b64 exec, exec, s[30:31]
.LBB6_825:                              ;   in Loop: Header=BB6_357 Depth=4
	s_or_b64 exec, exec, s[28:29]
	v_lshrrev_b16_e32 v28, 8, v33
	v_cmp_ne_u16_e32 vcc, 0, v28
	v_mov_b32_e32 v4, 0
	v_mov_b32_e32 v7, 0
	s_and_saveexec_b64 s[28:29], vcc
	s_cbranch_execz .LBB6_833
; %bb.826:                              ;   in Loop: Header=BB6_357 Depth=4
	v_cmp_ne_u16_e32 vcc, s44, v28
	v_bfrev_b32_e32 v7, 1
	s_and_saveexec_b64 s[30:31], vcc
	s_cbranch_execz .LBB6_832
; %bb.827:                              ;   in Loop: Header=BB6_357 Depth=4
	v_and_b32_e32 v7, 0x7c, v28
	v_and_b32_e32 v30, 3, v28
	v_cmp_ne_u32_e32 vcc, s81, v7
                                        ; implicit-def: $vgpr7
	s_and_saveexec_b64 s[34:35], vcc
	s_xor_b64 s[34:35], exec, s[34:35]
	s_cbranch_execz .LBB6_829
; %bb.828:                              ;   in Loop: Header=BB6_357 Depth=4
	v_ffbh_u32_e32 v32, v30
	v_min_u32_e32 v32, 32, v32
	v_mov_b32_e32 v29, v34
	v_subrev_u32_e32 v35, 29, v32
	v_bfe_u32 v7, v28, 2, 5
	v_lshlrev_b64 v[28:29], v35, v[28:29]
	v_sub_u32_e32 v29, 30, v32
	v_cmp_eq_u32_e32 vcc, 0, v7
	v_cndmask_b32_e32 v7, v7, v29, vcc
	v_lshlrev_b32_e32 v29, 16, v33
	v_and_b32_e32 v28, 3, v28
	v_and_b32_e32 v29, 0x80000000, v29
	v_cndmask_b32_e32 v28, v30, v28, vcc
	v_lshl_add_u32 v7, v7, 23, v29
	v_lshl_or_b32 v7, v28, 21, v7
	v_add_u32_e32 v7, 0x38000000, v7
                                        ; implicit-def: $vgpr30
.LBB6_829:                              ;   in Loop: Header=BB6_357 Depth=4
	s_andn2_saveexec_b64 s[34:35], s[34:35]
; %bb.830:                              ;   in Loop: Header=BB6_357 Depth=4
	v_cmp_lt_i16_e32 vcc, -1, v33
	v_mov_b32_e32 v7, 0xff800000
	v_mov_b32_e32 v28, 0x7f800000
	v_cndmask_b32_e32 v7, v7, v28, vcc
	v_cmp_eq_u32_e32 vcc, 0, v30
	v_mov_b32_e32 v28, 0x7f800001
	v_cndmask_b32_e32 v7, v28, v7, vcc
; %bb.831:                              ;   in Loop: Header=BB6_357 Depth=4
	s_or_b64 exec, exec, s[34:35]
.LBB6_832:                              ;   in Loop: Header=BB6_357 Depth=4
	s_or_b64 exec, exec, s[30:31]
.LBB6_833:                              ;   in Loop: Header=BB6_357 Depth=4
	s_or_b64 exec, exec, s[28:29]
	v_lshrrev_b16_e32 v28, 8, v39
	v_cmp_ne_u16_e32 vcc, 0, v28
	s_and_saveexec_b64 s[28:29], vcc
	s_cbranch_execz .LBB6_841
; %bb.834:                              ;   in Loop: Header=BB6_357 Depth=4
	v_cmp_ne_u16_e32 vcc, s44, v28
	v_bfrev_b32_e32 v4, 1
	s_and_saveexec_b64 s[30:31], vcc
	s_cbranch_execz .LBB6_840
; %bb.835:                              ;   in Loop: Header=BB6_357 Depth=4
	v_and_b32_e32 v4, 0x7c, v28
	v_and_b32_e32 v30, 3, v28
	v_cmp_ne_u32_e32 vcc, s81, v4
                                        ; implicit-def: $vgpr4
	s_and_saveexec_b64 s[34:35], vcc
	s_xor_b64 s[34:35], exec, s[34:35]
	s_cbranch_execz .LBB6_837
; %bb.836:                              ;   in Loop: Header=BB6_357 Depth=4
	v_ffbh_u32_e32 v32, v30
	v_min_u32_e32 v32, 32, v32
	v_mov_b32_e32 v29, v34
	v_subrev_u32_e32 v33, 29, v32
	v_bfe_u32 v4, v28, 2, 5
	v_lshlrev_b64 v[28:29], v33, v[28:29]
	v_sub_u32_e32 v29, 30, v32
	v_cmp_eq_u32_e32 vcc, 0, v4
	v_cndmask_b32_e32 v4, v4, v29, vcc
	v_lshlrev_b32_e32 v29, 16, v39
	v_and_b32_e32 v28, 3, v28
	v_and_b32_e32 v29, 0x80000000, v29
	v_cndmask_b32_e32 v28, v30, v28, vcc
	v_lshl_add_u32 v4, v4, 23, v29
	v_lshl_or_b32 v4, v28, 21, v4
	v_add_u32_e32 v4, 0x38000000, v4
                                        ; implicit-def: $vgpr30
.LBB6_837:                              ;   in Loop: Header=BB6_357 Depth=4
	s_andn2_saveexec_b64 s[34:35], s[34:35]
; %bb.838:                              ;   in Loop: Header=BB6_357 Depth=4
	v_cmp_lt_i16_e32 vcc, -1, v39
	v_mov_b32_e32 v4, 0xff800000
	v_mov_b32_e32 v28, 0x7f800000
	v_cndmask_b32_e32 v4, v4, v28, vcc
	v_cmp_eq_u32_e32 vcc, 0, v30
	v_mov_b32_e32 v28, 0x7f800001
	v_cndmask_b32_e32 v4, v28, v4, vcc
; %bb.839:                              ;   in Loop: Header=BB6_357 Depth=4
	s_or_b64 exec, exec, s[34:35]
.LBB6_840:                              ;   in Loop: Header=BB6_357 Depth=4
	s_or_b64 exec, exec, s[30:31]
.LBB6_841:                              ;   in Loop: Header=BB6_357 Depth=4
	s_or_b64 exec, exec, s[28:29]
	v_mul_f32_e32 v7, v7, v4
	v_and_b32_e32 v28, 0x7f800000, v7
	v_mov_b32_e32 v29, v34
	v_cmp_ne_u64_e32 vcc, s[76:77], v[28:29]
	v_and_b32_e32 v33, 0x7fffff, v7
                                        ; implicit-def: $vgpr4
                                        ; kill: killed $vgpr4
	s_and_saveexec_b64 s[28:29], vcc
	s_xor_b64 s[30:31], exec, s[28:29]
	s_cbranch_execz .LBB6_855
; %bb.842:                              ;   in Loop: Header=BB6_357 Depth=4
	v_and_b32_e32 v28, 0x7fffffff, v7
	v_mov_b32_e32 v29, v34
	v_cmp_gt_u64_e32 vcc, s[78:79], v[28:29]
	v_and_b32_sdwa v4, v7, s44 dst_sel:DWORD dst_unused:UNUSED_PAD src0_sel:BYTE_3 src1_sel:DWORD
                                        ; implicit-def: $vgpr28
                                        ; kill: killed $vgpr28
	s_and_saveexec_b64 s[28:29], vcc
	s_xor_b64 s[34:35], exec, s[28:29]
	s_cbranch_execz .LBB6_852
; %bb.843:                              ;   in Loop: Header=BB6_357 Depth=4
	v_mov_b32_e32 v28, 0
	v_cmp_ne_u32_e32 vcc, 0, v7
	buffer_store_dword v28, off, s[0:3], s33 offset:192 ; 4-byte Folded Spill
	s_and_saveexec_b64 s[36:37], vcc
	s_cbranch_execz .LBB6_851
; %bb.844:                              ;   in Loop: Header=BB6_357 Depth=4
	v_bfe_u32 v7, v7, 23, 8
	v_cmp_gt_u32_e64 s[28:29], s45, v7
	v_sub_u32_e32 v28, 0x71, v7
	v_cmp_eq_u32_e32 vcc, 0, v7
	v_cndmask_b32_e64 v28, 0, v28, s[28:29]
	v_mov_b32_e32 v30, 0x70
	v_cndmask_b32_e32 v32, v28, v30, vcc
	v_add_u32_e32 v30, 21, v32
	v_or_b32_e32 v29, 0x800000, v33
	v_lshlrev_b64 v[35:36], v30, -1
	v_cndmask_b32_e32 v28, v29, v33, vcc
	v_mov_b32_e32 v29, v34
	v_add_u32_e32 v30, 20, v32
	v_bfi_b32 v35, v35, 0, v28
	v_lshlrev_b64 v[48:49], v30, 1
	v_lshrrev_b64 v[28:29], v32, v[28:29]
	v_bfi_b32 v36, v36, 0, 0
	v_cmp_eq_u64_e64 s[28:29], v[35:36], v[48:49]
	v_mov_b32_e32 v30, v29
	v_mov_b32_e32 v29, v28
	s_and_saveexec_b64 s[38:39], s[28:29]
; %bb.845:                              ;   in Loop: Header=BB6_357 Depth=4
	v_bfe_u32 v29, v28, 21, 1
	v_add_co_u32_e64 v29, s[28:29], v28, v29
	v_add_co_u32_e64 v29, s[28:29], -1, v29
; %bb.846:                              ;   in Loop: Header=BB6_357 Depth=4
	s_or_b64 exec, exec, s[38:39]
	v_add_u32_e32 v7, 0xffffff81, v7
	v_mov_b32_e32 v30, 0xffffff82
	v_cndmask_b32_e32 v7, v7, v30, vcc
	v_lshrrev_b32_e32 v30, 23, v28
	v_add3_u32 v32, v32, v7, v30
	v_add_u32_e32 v30, 14, v32
	v_and_b32_e32 v7, 0x1fffff, v29
	v_add_u32_e32 v33, v7, v28
	v_cmp_ne_u32_e32 vcc, 0, v30
                                        ; implicit-def: $vgpr28_vgpr29
                                        ; implicit-def: $vgpr7
	s_and_saveexec_b64 s[28:29], vcc
	s_xor_b64 s[28:29], exec, s[28:29]
; %bb.847:                              ;   in Loop: Header=BB6_357 Depth=4
	v_cmp_lt_u64_e32 vcc, s[88:89], v[33:34]
	v_add_u32_e32 v7, 15, v32
	v_cndmask_b32_e64 v28, 0, 1, vcc
	v_cndmask_b32_e32 v7, v30, v7, vcc
	v_lshrrev_b64 v[28:29], v28, v[33:34]
; %bb.848:                              ;   in Loop: Header=BB6_357 Depth=4
	s_andn2_saveexec_b64 s[28:29], s[28:29]
; %bb.849:                              ;   in Loop: Header=BB6_357 Depth=4
	v_mov_b32_e32 v28, v33
	v_mov_b32_e32 v29, v34
	v_bfe_u32 v7, v33, 23, 1
; %bb.850:                              ;   in Loop: Header=BB6_357 Depth=4
	s_or_b64 exec, exec, s[28:29]
	v_lshrrev_b64 v[28:29], 21, v[28:29]
	v_cmp_gt_i32_e32 vcc, 32, v7
	v_cndmask_b32_e32 v29, 0, v29, vcc
	v_cndmask_b32_e32 v28, 3, v28, vcc
	v_cmp_eq_u32_e32 vcc, 0, v7
	v_min_i32_e32 v7, 31, v7
	v_cmp_eq_u64_e64 s[28:29], 0, v[28:29]
	v_lshlrev_b32_e32 v7, 2, v7
	v_and_b32_e32 v7, 0xfc, v7
	v_and_or_b32 v7, v28, 3, v7
	s_and_b64 s[28:29], vcc, s[28:29]
	v_cndmask_b32_e64 v7, v7, 0, s[28:29]
	v_or_b32_e32 v4, v7, v4
	buffer_store_dword v4, off, s[0:3], s33 offset:192 ; 4-byte Folded Spill
.LBB6_851:                              ;   in Loop: Header=BB6_357 Depth=4
	s_or_b64 exec, exec, s[36:37]
                                        ; implicit-def: $vgpr4
.LBB6_852:                              ;   in Loop: Header=BB6_357 Depth=4
	s_andn2_saveexec_b64 s[28:29], s[34:35]
	s_cbranch_execz .LBB6_854
; %bb.853:                              ;   in Loop: Header=BB6_357 Depth=4
	v_or_b32_e32 v4, 0x7b, v4
	buffer_store_dword v4, off, s[0:3], s33 offset:192 ; 4-byte Folded Spill
.LBB6_854:                              ;   in Loop: Header=BB6_357 Depth=4
	s_or_b64 exec, exec, s[28:29]
                                        ; implicit-def: $vgpr7
.LBB6_855:                              ;   in Loop: Header=BB6_357 Depth=4
	s_andn2_saveexec_b64 s[28:29], s[30:31]
	s_cbranch_execz .LBB6_861
; %bb.856:                              ;   in Loop: Header=BB6_357 Depth=4
	v_cmp_ne_u64_e32 vcc, 0, v[33:34]
                                        ; implicit-def: $vgpr4
                                        ; kill: killed $vgpr4
	s_and_saveexec_b64 s[30:31], vcc
	s_xor_b64 vcc, exec, s[30:31]
	s_cbranch_execz .LBB6_858
; %bb.857:                              ;   in Loop: Header=BB6_357 Depth=4
	v_or_b32_sdwa v4, v7, s83 dst_sel:DWORD dst_unused:UNUSED_PAD src0_sel:BYTE_3 src1_sel:DWORD
	buffer_store_dword v4, off, s[0:3], s33 offset:192 ; 4-byte Folded Spill
                                        ; implicit-def: $vgpr7
.LBB6_858:                              ;   in Loop: Header=BB6_357 Depth=4
	s_andn2_saveexec_b64 s[30:31], vcc
	s_cbranch_execz .LBB6_860
; %bb.859:                              ;   in Loop: Header=BB6_357 Depth=4
	v_cmp_lt_i32_e32 vcc, -1, v7
	v_bfrev_b32_e32 v4, 0.5
	v_mov_b32_e32 v7, 0x7c
	v_cndmask_b32_e32 v4, v4, v7, vcc
	buffer_store_dword v4, off, s[0:3], s33 offset:192 ; 4-byte Folded Spill
.LBB6_860:                              ;   in Loop: Header=BB6_357 Depth=4
	s_or_b64 exec, exec, s[30:31]
.LBB6_861:                              ;   in Loop: Header=BB6_357 Depth=4
	s_or_b64 exec, exec, s[28:29]
	v_lshrrev_b32_e32 v7, 16, v51
	v_cmp_ne_u16_sdwa vcc, v7, v34 src0_sel:BYTE_0 src1_sel:DWORD
	v_mov_b32_e32 v4, 0
	v_mov_b32_e32 v28, 0
	s_and_saveexec_b64 s[28:29], vcc
	s_cbranch_execz .LBB6_869
; %bb.862:                              ;   in Loop: Header=BB6_357 Depth=4
	v_cmp_ne_u16_sdwa vcc, v7, s44 src0_sel:BYTE_0 src1_sel:DWORD
	v_bfrev_b32_e32 v28, 1
	s_and_saveexec_b64 s[30:31], vcc
	s_cbranch_execz .LBB6_868
; %bb.863:                              ;   in Loop: Header=BB6_357 Depth=4
	v_and_b32_e32 v28, 0x7c0000, v51
	v_bfe_u32 v29, v51, 16, 2
	v_cmp_ne_u32_e32 vcc, s9, v28
                                        ; implicit-def: $vgpr28
	s_and_saveexec_b64 s[34:35], vcc
	s_xor_b64 s[34:35], exec, s[34:35]
	s_cbranch_execz .LBB6_865
; %bb.864:                              ;   in Loop: Header=BB6_357 Depth=4
	v_ffbh_u32_e32 v30, v29
	v_min_u32_e32 v30, 32, v30
	v_subrev_u32_e32 v32, 29, v30
	s_waitcnt vmcnt(0)
	v_lshlrev_b64 v[32:33], v32, v[7:8]
	v_bfe_u32 v28, v51, 18, 5
	v_sub_u32_e32 v7, 30, v30
	v_and_b32_e32 v30, 3, v32
	v_cmp_eq_u32_e32 vcc, 0, v28
	v_cndmask_b32_e32 v7, v28, v7, vcc
	v_cndmask_b32_e32 v28, v29, v30, vcc
	v_lshlrev_b32_e32 v29, 8, v51
	v_and_b32_e32 v29, 0x80000000, v29
	v_lshl_add_u32 v7, v7, 23, v29
	v_lshl_or_b32 v7, v28, 21, v7
	v_add_u32_e32 v28, 0x38000000, v7
                                        ; implicit-def: $vgpr29
                                        ; implicit-def: $vgpr7
.LBB6_865:                              ;   in Loop: Header=BB6_357 Depth=4
	s_andn2_saveexec_b64 s[34:35], s[34:35]
; %bb.866:                              ;   in Loop: Header=BB6_357 Depth=4
	v_mov_b32_e32 v28, -1
	v_cmp_gt_i16_sdwa vcc, sext(v7), v28 src0_sel:BYTE_0 src1_sel:DWORD
	v_mov_b32_e32 v7, 0xff800000
	v_mov_b32_e32 v28, 0x7f800000
	v_cndmask_b32_e32 v7, v7, v28, vcc
	v_cmp_eq_u32_e32 vcc, 0, v29
	v_mov_b32_e32 v28, 0x7f800001
	v_cndmask_b32_e32 v28, v28, v7, vcc
; %bb.867:                              ;   in Loop: Header=BB6_357 Depth=4
	s_or_b64 exec, exec, s[34:35]
.LBB6_868:                              ;   in Loop: Header=BB6_357 Depth=4
	s_or_b64 exec, exec, s[30:31]
.LBB6_869:                              ;   in Loop: Header=BB6_357 Depth=4
	s_or_b64 exec, exec, s[28:29]
	v_lshrrev_b32_e32 v7, 16, v39
	v_cmp_ne_u16_sdwa vcc, v7, v34 src0_sel:BYTE_0 src1_sel:DWORD
	s_and_saveexec_b64 s[28:29], vcc
	s_cbranch_execz .LBB6_877
; %bb.870:                              ;   in Loop: Header=BB6_357 Depth=4
	v_cmp_ne_u16_sdwa vcc, v7, s44 src0_sel:BYTE_0 src1_sel:DWORD
	v_bfrev_b32_e32 v4, 1
	s_and_saveexec_b64 s[30:31], vcc
	s_cbranch_execz .LBB6_876
; %bb.871:                              ;   in Loop: Header=BB6_357 Depth=4
	v_and_b32_e32 v4, 0x7c0000, v39
	v_bfe_u32 v29, v39, 16, 2
	v_cmp_ne_u32_e32 vcc, s9, v4
                                        ; implicit-def: $vgpr4
	s_and_saveexec_b64 s[34:35], vcc
	s_xor_b64 s[34:35], exec, s[34:35]
	s_cbranch_execz .LBB6_873
; %bb.872:                              ;   in Loop: Header=BB6_357 Depth=4
	v_ffbh_u32_e32 v30, v29
	v_min_u32_e32 v30, 32, v30
	v_subrev_u32_e32 v32, 29, v30
	s_waitcnt vmcnt(0)
	v_lshlrev_b64 v[32:33], v32, v[7:8]
	v_bfe_u32 v4, v39, 18, 5
	v_sub_u32_e32 v7, 30, v30
	v_and_b32_e32 v30, 3, v32
	v_cmp_eq_u32_e32 vcc, 0, v4
	v_cndmask_b32_e32 v4, v4, v7, vcc
	v_cndmask_b32_e32 v7, v29, v30, vcc
	v_lshlrev_b32_e32 v29, 8, v39
	v_and_b32_e32 v29, 0x80000000, v29
	v_lshl_add_u32 v4, v4, 23, v29
	v_lshl_or_b32 v4, v7, 21, v4
	v_add_u32_e32 v4, 0x38000000, v4
                                        ; implicit-def: $vgpr29
                                        ; implicit-def: $vgpr7
.LBB6_873:                              ;   in Loop: Header=BB6_357 Depth=4
	s_andn2_saveexec_b64 s[34:35], s[34:35]
; %bb.874:                              ;   in Loop: Header=BB6_357 Depth=4
	v_mov_b32_e32 v4, -1
	v_cmp_gt_i16_sdwa vcc, sext(v7), v4 src0_sel:BYTE_0 src1_sel:DWORD
	v_mov_b32_e32 v4, 0xff800000
	v_mov_b32_e32 v7, 0x7f800000
	v_cndmask_b32_e32 v4, v4, v7, vcc
	v_cmp_eq_u32_e32 vcc, 0, v29
	v_mov_b32_e32 v7, 0x7f800001
	v_cndmask_b32_e32 v4, v7, v4, vcc
; %bb.875:                              ;   in Loop: Header=BB6_357 Depth=4
	s_or_b64 exec, exec, s[34:35]
.LBB6_876:                              ;   in Loop: Header=BB6_357 Depth=4
	s_or_b64 exec, exec, s[30:31]
.LBB6_877:                              ;   in Loop: Header=BB6_357 Depth=4
	s_or_b64 exec, exec, s[28:29]
	v_mul_f32_e32 v7, v28, v4
	v_and_b32_e32 v28, 0x7f800000, v7
	v_mov_b32_e32 v29, v34
	v_cmp_ne_u64_e32 vcc, s[76:77], v[28:29]
	v_and_b32_e32 v33, 0x7fffff, v7
                                        ; implicit-def: $vgpr4
                                        ; kill: killed $vgpr4
	s_and_saveexec_b64 s[28:29], vcc
	s_xor_b64 s[30:31], exec, s[28:29]
	s_cbranch_execz .LBB6_891
; %bb.878:                              ;   in Loop: Header=BB6_357 Depth=4
	v_and_b32_e32 v28, 0x7fffffff, v7
	v_mov_b32_e32 v29, v34
	v_cmp_gt_u64_e32 vcc, s[78:79], v[28:29]
	v_and_b32_sdwa v4, v7, s44 dst_sel:DWORD dst_unused:UNUSED_PAD src0_sel:BYTE_3 src1_sel:DWORD
                                        ; implicit-def: $vgpr28
                                        ; kill: killed $vgpr28
	s_and_saveexec_b64 s[28:29], vcc
	s_xor_b64 s[34:35], exec, s[28:29]
	s_cbranch_execz .LBB6_888
; %bb.879:                              ;   in Loop: Header=BB6_357 Depth=4
	v_mov_b32_e32 v28, 0
	v_cmp_ne_u32_e32 vcc, 0, v7
	buffer_store_dword v28, off, s[0:3], s33 offset:200 ; 4-byte Folded Spill
	s_and_saveexec_b64 s[36:37], vcc
	s_cbranch_execz .LBB6_887
; %bb.880:                              ;   in Loop: Header=BB6_357 Depth=4
	v_bfe_u32 v7, v7, 23, 8
	v_cmp_gt_u32_e64 s[28:29], s45, v7
	v_sub_u32_e32 v28, 0x71, v7
	v_cmp_eq_u32_e32 vcc, 0, v7
	v_cndmask_b32_e64 v28, 0, v28, s[28:29]
	v_mov_b32_e32 v30, 0x70
	v_cndmask_b32_e32 v32, v28, v30, vcc
	v_add_u32_e32 v30, 21, v32
	v_or_b32_e32 v29, 0x800000, v33
	v_lshlrev_b64 v[35:36], v30, -1
	v_cndmask_b32_e32 v28, v29, v33, vcc
	v_mov_b32_e32 v29, v34
	v_add_u32_e32 v30, 20, v32
	v_bfi_b32 v35, v35, 0, v28
	v_lshlrev_b64 v[48:49], v30, 1
	v_lshrrev_b64 v[28:29], v32, v[28:29]
	v_bfi_b32 v36, v36, 0, 0
	v_cmp_eq_u64_e64 s[28:29], v[35:36], v[48:49]
	v_mov_b32_e32 v30, v29
	v_mov_b32_e32 v29, v28
	s_and_saveexec_b64 s[38:39], s[28:29]
; %bb.881:                              ;   in Loop: Header=BB6_357 Depth=4
	v_bfe_u32 v29, v28, 21, 1
	v_add_co_u32_e64 v29, s[28:29], v28, v29
	v_add_co_u32_e64 v29, s[28:29], -1, v29
; %bb.882:                              ;   in Loop: Header=BB6_357 Depth=4
	s_or_b64 exec, exec, s[38:39]
	v_add_u32_e32 v7, 0xffffff81, v7
	v_mov_b32_e32 v30, 0xffffff82
	v_cndmask_b32_e32 v7, v7, v30, vcc
	v_lshrrev_b32_e32 v30, 23, v28
	v_add3_u32 v32, v32, v7, v30
	v_add_u32_e32 v30, 14, v32
	v_and_b32_e32 v7, 0x1fffff, v29
	v_add_u32_e32 v33, v7, v28
	v_cmp_ne_u32_e32 vcc, 0, v30
                                        ; implicit-def: $vgpr28_vgpr29
                                        ; implicit-def: $vgpr7
	s_and_saveexec_b64 s[28:29], vcc
	s_xor_b64 s[28:29], exec, s[28:29]
; %bb.883:                              ;   in Loop: Header=BB6_357 Depth=4
	v_cmp_lt_u64_e32 vcc, s[88:89], v[33:34]
	v_add_u32_e32 v7, 15, v32
	v_cndmask_b32_e64 v28, 0, 1, vcc
	v_cndmask_b32_e32 v7, v30, v7, vcc
	v_lshrrev_b64 v[28:29], v28, v[33:34]
; %bb.884:                              ;   in Loop: Header=BB6_357 Depth=4
	s_andn2_saveexec_b64 s[28:29], s[28:29]
; %bb.885:                              ;   in Loop: Header=BB6_357 Depth=4
	v_mov_b32_e32 v28, v33
	v_mov_b32_e32 v29, v34
	v_bfe_u32 v7, v33, 23, 1
; %bb.886:                              ;   in Loop: Header=BB6_357 Depth=4
	s_or_b64 exec, exec, s[28:29]
	v_lshrrev_b64 v[28:29], 21, v[28:29]
	v_cmp_gt_i32_e32 vcc, 32, v7
	v_cndmask_b32_e32 v29, 0, v29, vcc
	v_cndmask_b32_e32 v28, 3, v28, vcc
	v_cmp_eq_u32_e32 vcc, 0, v7
	v_min_i32_e32 v7, 31, v7
	v_cmp_eq_u64_e64 s[28:29], 0, v[28:29]
	v_lshlrev_b32_e32 v7, 2, v7
	v_and_b32_e32 v7, 0xfc, v7
	v_and_or_b32 v7, v28, 3, v7
	s_and_b64 s[28:29], vcc, s[28:29]
	v_cndmask_b32_e64 v7, v7, 0, s[28:29]
	v_or_b32_e32 v4, v7, v4
	buffer_store_dword v4, off, s[0:3], s33 offset:200 ; 4-byte Folded Spill
.LBB6_887:                              ;   in Loop: Header=BB6_357 Depth=4
	s_or_b64 exec, exec, s[36:37]
                                        ; implicit-def: $vgpr4
.LBB6_888:                              ;   in Loop: Header=BB6_357 Depth=4
	s_andn2_saveexec_b64 s[28:29], s[34:35]
	s_cbranch_execz .LBB6_890
; %bb.889:                              ;   in Loop: Header=BB6_357 Depth=4
	v_or_b32_e32 v4, 0x7b, v4
	buffer_store_dword v4, off, s[0:3], s33 offset:200 ; 4-byte Folded Spill
.LBB6_890:                              ;   in Loop: Header=BB6_357 Depth=4
	s_or_b64 exec, exec, s[28:29]
                                        ; implicit-def: $vgpr7
.LBB6_891:                              ;   in Loop: Header=BB6_357 Depth=4
	s_andn2_saveexec_b64 s[28:29], s[30:31]
	s_cbranch_execz .LBB6_897
; %bb.892:                              ;   in Loop: Header=BB6_357 Depth=4
	v_cmp_ne_u64_e32 vcc, 0, v[33:34]
                                        ; implicit-def: $vgpr4
                                        ; kill: killed $vgpr4
	s_and_saveexec_b64 s[30:31], vcc
	s_xor_b64 vcc, exec, s[30:31]
	s_cbranch_execz .LBB6_894
; %bb.893:                              ;   in Loop: Header=BB6_357 Depth=4
	v_or_b32_sdwa v4, v7, s83 dst_sel:DWORD dst_unused:UNUSED_PAD src0_sel:BYTE_3 src1_sel:DWORD
	buffer_store_dword v4, off, s[0:3], s33 offset:200 ; 4-byte Folded Spill
                                        ; implicit-def: $vgpr7
.LBB6_894:                              ;   in Loop: Header=BB6_357 Depth=4
	s_andn2_saveexec_b64 s[30:31], vcc
	s_cbranch_execz .LBB6_896
; %bb.895:                              ;   in Loop: Header=BB6_357 Depth=4
	v_cmp_lt_i32_e32 vcc, -1, v7
	v_bfrev_b32_e32 v4, 0.5
	v_mov_b32_e32 v7, 0x7c
	v_cndmask_b32_e32 v4, v4, v7, vcc
	buffer_store_dword v4, off, s[0:3], s33 offset:200 ; 4-byte Folded Spill
.LBB6_896:                              ;   in Loop: Header=BB6_357 Depth=4
	s_or_b64 exec, exec, s[30:31]
.LBB6_897:                              ;   in Loop: Header=BB6_357 Depth=4
	s_or_b64 exec, exec, s[28:29]
	v_cmp_lt_u64_e32 vcc, s[56:57], v[50:51]
	v_mov_b32_e32 v4, 0
	v_mov_b32_e32 v28, 0
	s_and_saveexec_b64 s[28:29], vcc
	s_cbranch_execz .LBB6_905
; %bb.898:                              ;   in Loop: Header=BB6_357 Depth=4
	v_lshrrev_b32_e32 v7, 24, v51
	v_cmp_ne_u32_e32 vcc, s44, v7
	v_bfrev_b32_e32 v28, 1
	s_and_saveexec_b64 s[30:31], vcc
	s_cbranch_execz .LBB6_904
; %bb.899:                              ;   in Loop: Header=BB6_357 Depth=4
	v_and_b32_e32 v28, 0x7c000000, v51
	v_bfe_u32 v29, v51, 24, 2
	v_cmp_ne_u32_e32 vcc, s8, v28
                                        ; implicit-def: $vgpr28
	s_and_saveexec_b64 s[34:35], vcc
	s_xor_b64 s[34:35], exec, s[34:35]
	s_cbranch_execz .LBB6_901
; %bb.900:                              ;   in Loop: Header=BB6_357 Depth=4
	v_ffbh_u32_e32 v30, v29
	v_min_u32_e32 v30, 32, v30
	v_subrev_u32_e32 v32, 29, v30
	s_waitcnt vmcnt(0)
	v_lshlrev_b64 v[32:33], v32, v[7:8]
	v_bfe_u32 v28, v51, 26, 5
	v_sub_u32_e32 v7, 30, v30
	v_and_b32_e32 v30, 3, v32
	v_cmp_eq_u32_e32 vcc, 0, v28
	v_cndmask_b32_e32 v7, v28, v7, vcc
	v_cndmask_b32_e32 v28, v29, v30, vcc
	v_and_b32_e32 v29, 0x80000000, v51
	v_lshl_add_u32 v7, v7, 23, v29
	v_lshl_or_b32 v7, v28, 21, v7
	v_add_u32_e32 v28, 0x38000000, v7
                                        ; implicit-def: $vgpr29
                                        ; implicit-def: $vgpr50_vgpr51
.LBB6_901:                              ;   in Loop: Header=BB6_357 Depth=4
	s_andn2_saveexec_b64 s[34:35], s[34:35]
; %bb.902:                              ;   in Loop: Header=BB6_357 Depth=4
	v_cmp_lt_i64_e32 vcc, -1, v[50:51]
	v_mov_b32_e32 v7, 0xff800000
	v_mov_b32_e32 v28, 0x7f800000
	v_cndmask_b32_e32 v7, v7, v28, vcc
	v_cmp_eq_u32_e32 vcc, 0, v29
	v_mov_b32_e32 v28, 0x7f800001
	v_cndmask_b32_e32 v28, v28, v7, vcc
; %bb.903:                              ;   in Loop: Header=BB6_357 Depth=4
	s_or_b64 exec, exec, s[34:35]
.LBB6_904:                              ;   in Loop: Header=BB6_357 Depth=4
	s_or_b64 exec, exec, s[30:31]
.LBB6_905:                              ;   in Loop: Header=BB6_357 Depth=4
	s_or_b64 exec, exec, s[28:29]
	v_cmp_lt_u64_e32 vcc, s[56:57], v[38:39]
	s_and_saveexec_b64 s[28:29], vcc
	s_cbranch_execz .LBB6_913
; %bb.906:                              ;   in Loop: Header=BB6_357 Depth=4
	v_lshrrev_b32_e32 v7, 24, v39
	v_cmp_ne_u32_e32 vcc, s44, v7
	v_bfrev_b32_e32 v4, 1
	s_and_saveexec_b64 s[30:31], vcc
	s_cbranch_execz .LBB6_912
; %bb.907:                              ;   in Loop: Header=BB6_357 Depth=4
	v_and_b32_e32 v4, 0x7c000000, v39
	v_bfe_u32 v29, v39, 24, 2
	v_cmp_ne_u32_e32 vcc, s8, v4
                                        ; implicit-def: $vgpr4
	s_and_saveexec_b64 s[34:35], vcc
	s_xor_b64 s[34:35], exec, s[34:35]
	s_cbranch_execz .LBB6_909
; %bb.908:                              ;   in Loop: Header=BB6_357 Depth=4
	v_ffbh_u32_e32 v30, v29
	v_min_u32_e32 v30, 32, v30
	v_subrev_u32_e32 v32, 29, v30
	s_waitcnt vmcnt(0)
	v_lshlrev_b64 v[32:33], v32, v[7:8]
	v_bfe_u32 v4, v39, 26, 5
	v_sub_u32_e32 v7, 30, v30
	v_and_b32_e32 v30, 3, v32
	v_cmp_eq_u32_e32 vcc, 0, v4
	v_cndmask_b32_e32 v4, v4, v7, vcc
	v_cndmask_b32_e32 v7, v29, v30, vcc
	v_and_b32_e32 v29, 0x80000000, v39
	v_lshl_add_u32 v4, v4, 23, v29
	v_lshl_or_b32 v4, v7, 21, v4
	v_add_u32_e32 v4, 0x38000000, v4
                                        ; implicit-def: $vgpr29
                                        ; implicit-def: $vgpr38_vgpr39
.LBB6_909:                              ;   in Loop: Header=BB6_357 Depth=4
	s_andn2_saveexec_b64 s[34:35], s[34:35]
; %bb.910:                              ;   in Loop: Header=BB6_357 Depth=4
	v_cmp_lt_i64_e32 vcc, -1, v[38:39]
	v_mov_b32_e32 v4, 0xff800000
	v_mov_b32_e32 v7, 0x7f800000
	v_cndmask_b32_e32 v4, v4, v7, vcc
	v_cmp_eq_u32_e32 vcc, 0, v29
	v_mov_b32_e32 v7, 0x7f800001
	v_cndmask_b32_e32 v4, v7, v4, vcc
; %bb.911:                              ;   in Loop: Header=BB6_357 Depth=4
	s_or_b64 exec, exec, s[34:35]
.LBB6_912:                              ;   in Loop: Header=BB6_357 Depth=4
	s_or_b64 exec, exec, s[30:31]
.LBB6_913:                              ;   in Loop: Header=BB6_357 Depth=4
	s_or_b64 exec, exec, s[28:29]
	v_mul_f32_e32 v7, v28, v4
	v_and_b32_e32 v28, 0x7f800000, v7
	v_mov_b32_e32 v29, v34
	v_cmp_ne_u64_e32 vcc, s[76:77], v[28:29]
	v_and_b32_e32 v33, 0x7fffff, v7
                                        ; implicit-def: $vgpr4
                                        ; kill: killed $vgpr4
	s_and_saveexec_b64 s[28:29], vcc
	s_xor_b64 s[30:31], exec, s[28:29]
	s_cbranch_execz .LBB6_927
; %bb.914:                              ;   in Loop: Header=BB6_357 Depth=4
	v_and_b32_e32 v28, 0x7fffffff, v7
	v_mov_b32_e32 v29, v34
	v_cmp_gt_u64_e32 vcc, s[78:79], v[28:29]
	v_and_b32_sdwa v4, v7, s44 dst_sel:DWORD dst_unused:UNUSED_PAD src0_sel:BYTE_3 src1_sel:DWORD
                                        ; implicit-def: $vgpr28
                                        ; kill: killed $vgpr28
	s_and_saveexec_b64 s[28:29], vcc
	s_xor_b64 s[34:35], exec, s[28:29]
	s_cbranch_execz .LBB6_924
; %bb.915:                              ;   in Loop: Header=BB6_357 Depth=4
	v_mov_b32_e32 v28, 0
	v_cmp_ne_u32_e32 vcc, 0, v7
	buffer_store_dword v28, off, s[0:3], s33 offset:208 ; 4-byte Folded Spill
	s_and_saveexec_b64 s[36:37], vcc
	s_cbranch_execz .LBB6_923
; %bb.916:                              ;   in Loop: Header=BB6_357 Depth=4
	v_bfe_u32 v7, v7, 23, 8
	v_cmp_gt_u32_e64 s[28:29], s45, v7
	v_sub_u32_e32 v28, 0x71, v7
	v_cmp_eq_u32_e32 vcc, 0, v7
	v_cndmask_b32_e64 v28, 0, v28, s[28:29]
	v_mov_b32_e32 v30, 0x70
	v_cndmask_b32_e32 v32, v28, v30, vcc
	v_add_u32_e32 v30, 21, v32
	v_or_b32_e32 v29, 0x800000, v33
	v_lshlrev_b64 v[35:36], v30, -1
	v_cndmask_b32_e32 v28, v29, v33, vcc
	v_mov_b32_e32 v29, v34
	v_add_u32_e32 v30, 20, v32
	v_bfi_b32 v35, v35, 0, v28
	v_lshlrev_b64 v[37:38], v30, 1
	v_lshrrev_b64 v[28:29], v32, v[28:29]
	v_bfi_b32 v36, v36, 0, 0
	v_cmp_eq_u64_e64 s[28:29], v[35:36], v[37:38]
	v_mov_b32_e32 v30, v29
	v_mov_b32_e32 v29, v28
	s_and_saveexec_b64 s[38:39], s[28:29]
; %bb.917:                              ;   in Loop: Header=BB6_357 Depth=4
	v_bfe_u32 v29, v28, 21, 1
	v_add_co_u32_e64 v29, s[28:29], v28, v29
	v_add_co_u32_e64 v29, s[28:29], -1, v29
; %bb.918:                              ;   in Loop: Header=BB6_357 Depth=4
	s_or_b64 exec, exec, s[38:39]
	v_add_u32_e32 v7, 0xffffff81, v7
	v_mov_b32_e32 v30, 0xffffff82
	v_cndmask_b32_e32 v7, v7, v30, vcc
	v_lshrrev_b32_e32 v30, 23, v28
	v_add3_u32 v32, v32, v7, v30
	v_add_u32_e32 v30, 14, v32
	v_and_b32_e32 v7, 0x1fffff, v29
	v_add_u32_e32 v33, v7, v28
	v_cmp_ne_u32_e32 vcc, 0, v30
                                        ; implicit-def: $vgpr28_vgpr29
                                        ; implicit-def: $vgpr7
	s_and_saveexec_b64 s[28:29], vcc
	s_xor_b64 s[28:29], exec, s[28:29]
; %bb.919:                              ;   in Loop: Header=BB6_357 Depth=4
	v_cmp_lt_u64_e32 vcc, s[88:89], v[33:34]
	v_add_u32_e32 v7, 15, v32
	v_cndmask_b32_e64 v28, 0, 1, vcc
	v_cndmask_b32_e32 v7, v30, v7, vcc
	v_lshrrev_b64 v[28:29], v28, v[33:34]
; %bb.920:                              ;   in Loop: Header=BB6_357 Depth=4
	s_andn2_saveexec_b64 s[28:29], s[28:29]
; %bb.921:                              ;   in Loop: Header=BB6_357 Depth=4
	v_mov_b32_e32 v28, v33
	v_mov_b32_e32 v29, v34
	v_bfe_u32 v7, v33, 23, 1
; %bb.922:                              ;   in Loop: Header=BB6_357 Depth=4
	s_or_b64 exec, exec, s[28:29]
	v_lshrrev_b64 v[28:29], 21, v[28:29]
	v_cmp_gt_i32_e32 vcc, 32, v7
	v_cndmask_b32_e32 v29, 0, v29, vcc
	v_cndmask_b32_e32 v28, 3, v28, vcc
	v_cmp_eq_u32_e32 vcc, 0, v7
	v_min_i32_e32 v7, 31, v7
	v_cmp_eq_u64_e64 s[28:29], 0, v[28:29]
	v_lshlrev_b32_e32 v7, 2, v7
	v_and_b32_e32 v7, 0xfc, v7
	v_and_or_b32 v7, v28, 3, v7
	s_and_b64 s[28:29], vcc, s[28:29]
	v_cndmask_b32_e64 v7, v7, 0, s[28:29]
	v_or_b32_e32 v4, v7, v4
	buffer_store_dword v4, off, s[0:3], s33 offset:208 ; 4-byte Folded Spill
.LBB6_923:                              ;   in Loop: Header=BB6_357 Depth=4
	s_or_b64 exec, exec, s[36:37]
                                        ; implicit-def: $vgpr4
.LBB6_924:                              ;   in Loop: Header=BB6_357 Depth=4
	s_andn2_saveexec_b64 s[28:29], s[34:35]
	s_cbranch_execz .LBB6_926
; %bb.925:                              ;   in Loop: Header=BB6_357 Depth=4
	v_or_b32_e32 v4, 0x7b, v4
	buffer_store_dword v4, off, s[0:3], s33 offset:208 ; 4-byte Folded Spill
.LBB6_926:                              ;   in Loop: Header=BB6_357 Depth=4
	s_or_b64 exec, exec, s[28:29]
                                        ; implicit-def: $vgpr7
.LBB6_927:                              ;   in Loop: Header=BB6_357 Depth=4
	s_andn2_saveexec_b64 s[28:29], s[30:31]
	s_cbranch_execz .LBB6_933
; %bb.928:                              ;   in Loop: Header=BB6_357 Depth=4
	v_cmp_ne_u64_e32 vcc, 0, v[33:34]
                                        ; implicit-def: $vgpr4
                                        ; kill: killed $vgpr4
	s_and_saveexec_b64 s[30:31], vcc
	s_xor_b64 vcc, exec, s[30:31]
	s_cbranch_execz .LBB6_930
; %bb.929:                              ;   in Loop: Header=BB6_357 Depth=4
	v_or_b32_sdwa v4, v7, s83 dst_sel:DWORD dst_unused:UNUSED_PAD src0_sel:BYTE_3 src1_sel:DWORD
	buffer_store_dword v4, off, s[0:3], s33 offset:208 ; 4-byte Folded Spill
                                        ; implicit-def: $vgpr7
.LBB6_930:                              ;   in Loop: Header=BB6_357 Depth=4
	s_andn2_saveexec_b64 s[30:31], vcc
	s_cbranch_execz .LBB6_932
; %bb.931:                              ;   in Loop: Header=BB6_357 Depth=4
	v_cmp_lt_i32_e32 vcc, -1, v7
	v_bfrev_b32_e32 v4, 0.5
	v_mov_b32_e32 v7, 0x7c
	v_cndmask_b32_e32 v4, v4, v7, vcc
	buffer_store_dword v4, off, s[0:3], s33 offset:208 ; 4-byte Folded Spill
.LBB6_932:                              ;   in Loop: Header=BB6_357 Depth=4
	s_or_b64 exec, exec, s[30:31]
.LBB6_933:                              ;   in Loop: Header=BB6_357 Depth=4
	s_or_b64 exec, exec, s[28:29]
	v_cmp_ne_u16_sdwa vcc, v24, v34 src0_sel:BYTE_0 src1_sel:DWORD
	v_mov_b32_e32 v4, 0
	v_mov_b32_e32 v7, 0
	s_and_saveexec_b64 s[28:29], vcc
	s_cbranch_execz .LBB6_941
; %bb.934:                              ;   in Loop: Header=BB6_357 Depth=4
	v_cmp_ne_u16_sdwa vcc, sext(v24), s80 src0_sel:BYTE_0 src1_sel:DWORD
	v_bfrev_b32_e32 v7, 1
	s_and_saveexec_b64 s[30:31], vcc
	s_cbranch_execz .LBB6_940
; %bb.935:                              ;   in Loop: Header=BB6_357 Depth=4
	v_and_b32_e32 v7, 0x7c, v24
	v_and_b32_e32 v28, 3, v24
	v_cmp_ne_u32_e32 vcc, s81, v7
                                        ; implicit-def: $vgpr7
	s_and_saveexec_b64 s[34:35], vcc
	s_xor_b64 s[34:35], exec, s[34:35]
	s_cbranch_execz .LBB6_937
; %bb.936:                              ;   in Loop: Header=BB6_357 Depth=4
	v_ffbh_u32_e32 v29, v28
	v_min_u32_e32 v32, 32, v29
	v_subrev_u32_e32 v29, 29, v32
	v_lshlrev_b64 v[29:30], v29, v[24:25]
	v_bfe_u32 v7, v24, 2, 5
	v_and_b32_e32 v29, 3, v29
	v_cmp_eq_u32_e32 vcc, 0, v7
	v_sub_u32_e32 v30, 30, v32
	v_cndmask_b32_e32 v28, v28, v29, vcc
	v_lshlrev_b32_e32 v29, 24, v24
	v_cndmask_b32_e32 v7, v7, v30, vcc
	v_and_b32_e32 v29, 0x80000000, v29
	v_lshl_add_u32 v7, v7, 23, v29
	v_lshl_or_b32 v7, v28, 21, v7
	v_add_u32_e32 v7, 0x38000000, v7
                                        ; implicit-def: $vgpr28
.LBB6_937:                              ;   in Loop: Header=BB6_357 Depth=4
	s_andn2_saveexec_b64 s[34:35], s[34:35]
; %bb.938:                              ;   in Loop: Header=BB6_357 Depth=4
	v_mov_b32_e32 v7, -1
	v_cmp_gt_i16_sdwa vcc, sext(v24), v7 src0_sel:BYTE_0 src1_sel:DWORD
	v_mov_b32_e32 v7, 0xff800000
	v_mov_b32_e32 v29, 0x7f800000
	v_cndmask_b32_e32 v7, v7, v29, vcc
	v_cmp_eq_u32_e32 vcc, 0, v28
	v_mov_b32_e32 v28, 0x7f800001
	v_cndmask_b32_e32 v7, v28, v7, vcc
; %bb.939:                              ;   in Loop: Header=BB6_357 Depth=4
	s_or_b64 exec, exec, s[34:35]
.LBB6_940:                              ;   in Loop: Header=BB6_357 Depth=4
	s_or_b64 exec, exec, s[30:31]
.LBB6_941:                              ;   in Loop: Header=BB6_357 Depth=4
	s_or_b64 exec, exec, s[28:29]
	s_waitcnt vmcnt(2)
	v_cmp_ne_u16_sdwa vcc, v0, v34 src0_sel:BYTE_0 src1_sel:DWORD
	s_and_saveexec_b64 s[28:29], vcc
	s_cbranch_execz .LBB6_949
; %bb.942:                              ;   in Loop: Header=BB6_357 Depth=4
	v_cmp_ne_u16_sdwa vcc, sext(v0), s80 src0_sel:BYTE_0 src1_sel:DWORD
	v_bfrev_b32_e32 v4, 1
	s_and_saveexec_b64 s[30:31], vcc
	s_cbranch_execz .LBB6_948
; %bb.943:                              ;   in Loop: Header=BB6_357 Depth=4
	v_and_b32_e32 v4, 0x7c, v0
	v_and_b32_e32 v28, 3, v0
	v_cmp_ne_u32_e32 vcc, s81, v4
                                        ; implicit-def: $vgpr4
	s_and_saveexec_b64 s[34:35], vcc
	s_xor_b64 s[34:35], exec, s[34:35]
	s_cbranch_execz .LBB6_945
; %bb.944:                              ;   in Loop: Header=BB6_357 Depth=4
	v_ffbh_u32_e32 v29, v28
	v_min_u32_e32 v32, 32, v29
	v_subrev_u32_e32 v29, 29, v32
	v_lshlrev_b64 v[29:30], v29, v[0:1]
	v_bfe_u32 v4, v0, 2, 5
	v_and_b32_e32 v29, 3, v29
	v_cmp_eq_u32_e32 vcc, 0, v4
	v_sub_u32_e32 v30, 30, v32
	v_cndmask_b32_e32 v28, v28, v29, vcc
	v_lshlrev_b32_e32 v29, 24, v0
	v_cndmask_b32_e32 v4, v4, v30, vcc
	v_and_b32_e32 v29, 0x80000000, v29
	v_lshl_add_u32 v4, v4, 23, v29
	v_lshl_or_b32 v4, v28, 21, v4
	v_add_u32_e32 v4, 0x38000000, v4
                                        ; implicit-def: $vgpr28
.LBB6_945:                              ;   in Loop: Header=BB6_357 Depth=4
	s_andn2_saveexec_b64 s[34:35], s[34:35]
; %bb.946:                              ;   in Loop: Header=BB6_357 Depth=4
	v_mov_b32_e32 v4, -1
	v_cmp_gt_i16_sdwa vcc, sext(v0), v4 src0_sel:BYTE_0 src1_sel:DWORD
	v_mov_b32_e32 v4, 0xff800000
	v_mov_b32_e32 v29, 0x7f800000
	v_cndmask_b32_e32 v4, v4, v29, vcc
	v_cmp_eq_u32_e32 vcc, 0, v28
	v_mov_b32_e32 v28, 0x7f800001
	v_cndmask_b32_e32 v4, v28, v4, vcc
; %bb.947:                              ;   in Loop: Header=BB6_357 Depth=4
	s_or_b64 exec, exec, s[34:35]
.LBB6_948:                              ;   in Loop: Header=BB6_357 Depth=4
	s_or_b64 exec, exec, s[30:31]
.LBB6_949:                              ;   in Loop: Header=BB6_357 Depth=4
	s_or_b64 exec, exec, s[28:29]
	v_mul_f32_e32 v7, v7, v4
	v_and_b32_e32 v28, 0x7f800000, v7
	v_mov_b32_e32 v29, v34
	v_cmp_ne_u64_e32 vcc, s[76:77], v[28:29]
	v_and_b32_e32 v33, 0x7fffff, v7
                                        ; implicit-def: $vgpr4
                                        ; kill: killed $vgpr4
	s_and_saveexec_b64 s[28:29], vcc
	s_xor_b64 s[30:31], exec, s[28:29]
	s_cbranch_execz .LBB6_963
; %bb.950:                              ;   in Loop: Header=BB6_357 Depth=4
	v_and_b32_e32 v28, 0x7fffffff, v7
	v_mov_b32_e32 v29, v34
	v_cmp_gt_u64_e32 vcc, s[78:79], v[28:29]
	v_and_b32_sdwa v4, v7, s44 dst_sel:DWORD dst_unused:UNUSED_PAD src0_sel:BYTE_3 src1_sel:DWORD
                                        ; implicit-def: $vgpr28
                                        ; kill: killed $vgpr28
	s_and_saveexec_b64 s[28:29], vcc
	s_xor_b64 s[34:35], exec, s[28:29]
	s_cbranch_execz .LBB6_960
; %bb.951:                              ;   in Loop: Header=BB6_357 Depth=4
	v_mov_b32_e32 v28, 0
	v_cmp_ne_u32_e32 vcc, 0, v7
	buffer_store_dword v28, off, s[0:3], s33 offset:216 ; 4-byte Folded Spill
	s_and_saveexec_b64 s[36:37], vcc
	s_cbranch_execz .LBB6_959
; %bb.952:                              ;   in Loop: Header=BB6_357 Depth=4
	v_bfe_u32 v7, v7, 23, 8
	v_cmp_gt_u32_e64 s[28:29], s45, v7
	v_sub_u32_e32 v28, 0x71, v7
	v_cmp_eq_u32_e32 vcc, 0, v7
	v_cndmask_b32_e64 v28, 0, v28, s[28:29]
	v_mov_b32_e32 v30, 0x70
	v_cndmask_b32_e32 v32, v28, v30, vcc
	v_add_u32_e32 v30, 21, v32
	v_or_b32_e32 v29, 0x800000, v33
	v_lshlrev_b64 v[35:36], v30, -1
	v_cndmask_b32_e32 v28, v29, v33, vcc
	v_mov_b32_e32 v29, v34
	v_add_u32_e32 v30, 20, v32
	v_bfi_b32 v35, v35, 0, v28
	v_lshlrev_b64 v[37:38], v30, 1
	v_lshrrev_b64 v[28:29], v32, v[28:29]
	v_bfi_b32 v36, v36, 0, 0
	v_cmp_eq_u64_e64 s[28:29], v[35:36], v[37:38]
	v_mov_b32_e32 v30, v29
	v_mov_b32_e32 v29, v28
	s_and_saveexec_b64 s[38:39], s[28:29]
; %bb.953:                              ;   in Loop: Header=BB6_357 Depth=4
	v_bfe_u32 v29, v28, 21, 1
	v_add_co_u32_e64 v29, s[28:29], v28, v29
	v_add_co_u32_e64 v29, s[28:29], -1, v29
; %bb.954:                              ;   in Loop: Header=BB6_357 Depth=4
	s_or_b64 exec, exec, s[38:39]
	v_add_u32_e32 v7, 0xffffff81, v7
	v_mov_b32_e32 v30, 0xffffff82
	v_cndmask_b32_e32 v7, v7, v30, vcc
	v_lshrrev_b32_e32 v30, 23, v28
	v_add3_u32 v32, v32, v7, v30
	v_add_u32_e32 v30, 14, v32
	v_and_b32_e32 v7, 0x1fffff, v29
	v_add_u32_e32 v33, v7, v28
	v_cmp_ne_u32_e32 vcc, 0, v30
                                        ; implicit-def: $vgpr28_vgpr29
                                        ; implicit-def: $vgpr7
	s_and_saveexec_b64 s[28:29], vcc
	s_xor_b64 s[28:29], exec, s[28:29]
; %bb.955:                              ;   in Loop: Header=BB6_357 Depth=4
	v_cmp_lt_u64_e32 vcc, s[88:89], v[33:34]
	v_add_u32_e32 v7, 15, v32
	v_cndmask_b32_e64 v28, 0, 1, vcc
	v_lshrrev_b64 v[28:29], v28, v[33:34]
	v_cndmask_b32_e32 v7, v30, v7, vcc
; %bb.956:                              ;   in Loop: Header=BB6_357 Depth=4
	s_andn2_saveexec_b64 s[28:29], s[28:29]
; %bb.957:                              ;   in Loop: Header=BB6_357 Depth=4
	v_mov_b32_e32 v28, v33
	v_mov_b32_e32 v29, v34
	v_bfe_u32 v7, v33, 23, 1
; %bb.958:                              ;   in Loop: Header=BB6_357 Depth=4
	s_or_b64 exec, exec, s[28:29]
	v_lshrrev_b64 v[28:29], 21, v[28:29]
	v_cmp_gt_i32_e32 vcc, 32, v7
	v_cndmask_b32_e32 v29, 0, v29, vcc
	v_cndmask_b32_e32 v28, 3, v28, vcc
	v_cmp_eq_u32_e32 vcc, 0, v7
	v_min_i32_e32 v7, 31, v7
	v_cmp_eq_u64_e64 s[28:29], 0, v[28:29]
	v_lshlrev_b32_e32 v7, 2, v7
	v_and_b32_e32 v7, 0xfc, v7
	v_and_or_b32 v7, v28, 3, v7
	s_and_b64 s[28:29], vcc, s[28:29]
	v_cndmask_b32_e64 v7, v7, 0, s[28:29]
	v_or_b32_e32 v4, v7, v4
	buffer_store_dword v4, off, s[0:3], s33 offset:216 ; 4-byte Folded Spill
.LBB6_959:                              ;   in Loop: Header=BB6_357 Depth=4
	s_or_b64 exec, exec, s[36:37]
                                        ; implicit-def: $vgpr4
.LBB6_960:                              ;   in Loop: Header=BB6_357 Depth=4
	s_andn2_saveexec_b64 s[28:29], s[34:35]
	s_cbranch_execz .LBB6_962
; %bb.961:                              ;   in Loop: Header=BB6_357 Depth=4
	v_or_b32_e32 v4, 0x7b, v4
	buffer_store_dword v4, off, s[0:3], s33 offset:216 ; 4-byte Folded Spill
.LBB6_962:                              ;   in Loop: Header=BB6_357 Depth=4
	s_or_b64 exec, exec, s[28:29]
                                        ; implicit-def: $vgpr7
.LBB6_963:                              ;   in Loop: Header=BB6_357 Depth=4
	s_andn2_saveexec_b64 s[28:29], s[30:31]
	s_cbranch_execz .LBB6_969
; %bb.964:                              ;   in Loop: Header=BB6_357 Depth=4
	v_cmp_ne_u64_e32 vcc, 0, v[33:34]
                                        ; implicit-def: $vgpr4
                                        ; kill: killed $vgpr4
	s_and_saveexec_b64 s[30:31], vcc
	s_xor_b64 vcc, exec, s[30:31]
	s_cbranch_execz .LBB6_966
; %bb.965:                              ;   in Loop: Header=BB6_357 Depth=4
	v_or_b32_sdwa v4, v7, s83 dst_sel:DWORD dst_unused:UNUSED_PAD src0_sel:BYTE_3 src1_sel:DWORD
	buffer_store_dword v4, off, s[0:3], s33 offset:216 ; 4-byte Folded Spill
                                        ; implicit-def: $vgpr7
.LBB6_966:                              ;   in Loop: Header=BB6_357 Depth=4
	s_andn2_saveexec_b64 s[30:31], vcc
	s_cbranch_execz .LBB6_968
; %bb.967:                              ;   in Loop: Header=BB6_357 Depth=4
	v_cmp_lt_i32_e32 vcc, -1, v7
	v_bfrev_b32_e32 v4, 0.5
	v_mov_b32_e32 v7, 0x7c
	v_cndmask_b32_e32 v4, v4, v7, vcc
	buffer_store_dword v4, off, s[0:3], s33 offset:216 ; 4-byte Folded Spill
.LBB6_968:                              ;   in Loop: Header=BB6_357 Depth=4
	s_or_b64 exec, exec, s[30:31]
.LBB6_969:                              ;   in Loop: Header=BB6_357 Depth=4
	s_or_b64 exec, exec, s[28:29]
	v_lshrrev_b16_e32 v28, 8, v24
	v_cmp_ne_u16_e32 vcc, 0, v28
	v_mov_b32_e32 v4, 0
	v_mov_b32_e32 v7, 0
	s_and_saveexec_b64 s[28:29], vcc
	s_cbranch_execz .LBB6_977
; %bb.970:                              ;   in Loop: Header=BB6_357 Depth=4
	v_cmp_ne_u16_e32 vcc, s44, v28
	v_bfrev_b32_e32 v7, 1
	s_and_saveexec_b64 s[30:31], vcc
	s_cbranch_execz .LBB6_976
; %bb.971:                              ;   in Loop: Header=BB6_357 Depth=4
	v_and_b32_e32 v7, 0x7c, v28
	v_and_b32_e32 v30, 3, v28
	v_cmp_ne_u32_e32 vcc, s81, v7
                                        ; implicit-def: $vgpr7
	s_and_saveexec_b64 s[34:35], vcc
	s_xor_b64 s[34:35], exec, s[34:35]
	s_cbranch_execz .LBB6_973
; %bb.972:                              ;   in Loop: Header=BB6_357 Depth=4
	v_ffbh_u32_e32 v32, v30
	v_min_u32_e32 v32, 32, v32
	v_mov_b32_e32 v29, v34
	v_subrev_u32_e32 v33, 29, v32
	v_bfe_u32 v7, v28, 2, 5
	v_lshlrev_b64 v[28:29], v33, v[28:29]
	v_sub_u32_e32 v29, 30, v32
	v_cmp_eq_u32_e32 vcc, 0, v7
	v_cndmask_b32_e32 v7, v7, v29, vcc
	v_lshlrev_b32_e32 v29, 16, v24
	v_and_b32_e32 v28, 3, v28
	v_and_b32_e32 v29, 0x80000000, v29
	v_cndmask_b32_e32 v28, v30, v28, vcc
	v_lshl_add_u32 v7, v7, 23, v29
	v_lshl_or_b32 v7, v28, 21, v7
	v_add_u32_e32 v7, 0x38000000, v7
                                        ; implicit-def: $vgpr30
.LBB6_973:                              ;   in Loop: Header=BB6_357 Depth=4
	s_andn2_saveexec_b64 s[34:35], s[34:35]
; %bb.974:                              ;   in Loop: Header=BB6_357 Depth=4
	v_cmp_lt_i16_e32 vcc, -1, v24
	v_mov_b32_e32 v7, 0xff800000
	v_mov_b32_e32 v28, 0x7f800000
	v_cndmask_b32_e32 v7, v7, v28, vcc
	v_cmp_eq_u32_e32 vcc, 0, v30
	v_mov_b32_e32 v28, 0x7f800001
	v_cndmask_b32_e32 v7, v28, v7, vcc
; %bb.975:                              ;   in Loop: Header=BB6_357 Depth=4
	s_or_b64 exec, exec, s[34:35]
.LBB6_976:                              ;   in Loop: Header=BB6_357 Depth=4
	s_or_b64 exec, exec, s[30:31]
.LBB6_977:                              ;   in Loop: Header=BB6_357 Depth=4
	s_or_b64 exec, exec, s[28:29]
	v_lshrrev_b16_e32 v28, 8, v0
	v_cmp_ne_u16_e32 vcc, 0, v28
	s_and_saveexec_b64 s[28:29], vcc
	s_cbranch_execz .LBB6_985
; %bb.978:                              ;   in Loop: Header=BB6_357 Depth=4
	v_cmp_ne_u16_e32 vcc, s44, v28
	v_bfrev_b32_e32 v4, 1
	s_and_saveexec_b64 s[30:31], vcc
	s_cbranch_execz .LBB6_984
; %bb.979:                              ;   in Loop: Header=BB6_357 Depth=4
	v_and_b32_e32 v4, 0x7c, v28
	v_and_b32_e32 v30, 3, v28
	v_cmp_ne_u32_e32 vcc, s81, v4
                                        ; implicit-def: $vgpr4
	s_and_saveexec_b64 s[34:35], vcc
	s_xor_b64 s[34:35], exec, s[34:35]
	s_cbranch_execz .LBB6_981
; %bb.980:                              ;   in Loop: Header=BB6_357 Depth=4
	v_ffbh_u32_e32 v32, v30
	v_min_u32_e32 v32, 32, v32
	v_mov_b32_e32 v29, v34
	v_subrev_u32_e32 v33, 29, v32
	v_bfe_u32 v4, v28, 2, 5
	v_lshlrev_b64 v[28:29], v33, v[28:29]
	v_sub_u32_e32 v29, 30, v32
	v_cmp_eq_u32_e32 vcc, 0, v4
	v_cndmask_b32_e32 v4, v4, v29, vcc
	v_lshlrev_b32_e32 v29, 16, v0
	v_and_b32_e32 v28, 3, v28
	v_and_b32_e32 v29, 0x80000000, v29
	v_cndmask_b32_e32 v28, v30, v28, vcc
	v_lshl_add_u32 v4, v4, 23, v29
	v_lshl_or_b32 v4, v28, 21, v4
	v_add_u32_e32 v4, 0x38000000, v4
                                        ; implicit-def: $vgpr30
.LBB6_981:                              ;   in Loop: Header=BB6_357 Depth=4
	s_andn2_saveexec_b64 s[34:35], s[34:35]
; %bb.982:                              ;   in Loop: Header=BB6_357 Depth=4
	v_cmp_lt_i16_e32 vcc, -1, v0
	v_mov_b32_e32 v4, 0xff800000
	v_mov_b32_e32 v28, 0x7f800000
	v_cndmask_b32_e32 v4, v4, v28, vcc
	v_cmp_eq_u32_e32 vcc, 0, v30
	v_mov_b32_e32 v28, 0x7f800001
	v_cndmask_b32_e32 v4, v28, v4, vcc
; %bb.983:                              ;   in Loop: Header=BB6_357 Depth=4
	s_or_b64 exec, exec, s[34:35]
.LBB6_984:                              ;   in Loop: Header=BB6_357 Depth=4
	s_or_b64 exec, exec, s[30:31]
.LBB6_985:                              ;   in Loop: Header=BB6_357 Depth=4
	s_or_b64 exec, exec, s[28:29]
	v_mul_f32_e32 v7, v7, v4
	v_and_b32_e32 v28, 0x7f800000, v7
	v_mov_b32_e32 v29, v34
	v_cmp_ne_u64_e32 vcc, s[76:77], v[28:29]
	v_and_b32_e32 v33, 0x7fffff, v7
                                        ; implicit-def: $vgpr4
                                        ; kill: killed $vgpr4
	s_and_saveexec_b64 s[28:29], vcc
	s_xor_b64 s[30:31], exec, s[28:29]
	s_cbranch_execz .LBB6_999
; %bb.986:                              ;   in Loop: Header=BB6_357 Depth=4
	v_and_b32_e32 v28, 0x7fffffff, v7
	v_mov_b32_e32 v29, v34
	v_cmp_gt_u64_e32 vcc, s[78:79], v[28:29]
	v_and_b32_sdwa v4, v7, s44 dst_sel:DWORD dst_unused:UNUSED_PAD src0_sel:BYTE_3 src1_sel:DWORD
                                        ; implicit-def: $vgpr28
                                        ; kill: killed $vgpr28
	s_and_saveexec_b64 s[28:29], vcc
	s_xor_b64 s[34:35], exec, s[28:29]
	s_cbranch_execz .LBB6_996
; %bb.987:                              ;   in Loop: Header=BB6_357 Depth=4
	v_mov_b32_e32 v28, 0
	v_cmp_ne_u32_e32 vcc, 0, v7
	buffer_store_dword v28, off, s[0:3], s33 offset:224 ; 4-byte Folded Spill
	s_and_saveexec_b64 s[36:37], vcc
	s_cbranch_execz .LBB6_995
; %bb.988:                              ;   in Loop: Header=BB6_357 Depth=4
	v_bfe_u32 v7, v7, 23, 8
	v_cmp_gt_u32_e64 s[28:29], s45, v7
	v_sub_u32_e32 v28, 0x71, v7
	v_cmp_eq_u32_e32 vcc, 0, v7
	v_cndmask_b32_e64 v28, 0, v28, s[28:29]
	v_mov_b32_e32 v30, 0x70
	v_cndmask_b32_e32 v32, v28, v30, vcc
	v_add_u32_e32 v30, 21, v32
	v_or_b32_e32 v29, 0x800000, v33
	v_lshlrev_b64 v[35:36], v30, -1
	v_cndmask_b32_e32 v28, v29, v33, vcc
	v_mov_b32_e32 v29, v34
	v_add_u32_e32 v30, 20, v32
	v_bfi_b32 v35, v35, 0, v28
	v_lshlrev_b64 v[37:38], v30, 1
	v_lshrrev_b64 v[28:29], v32, v[28:29]
	v_bfi_b32 v36, v36, 0, 0
	v_cmp_eq_u64_e64 s[28:29], v[35:36], v[37:38]
	v_mov_b32_e32 v30, v29
	v_mov_b32_e32 v29, v28
	s_and_saveexec_b64 s[38:39], s[28:29]
; %bb.989:                              ;   in Loop: Header=BB6_357 Depth=4
	v_bfe_u32 v29, v28, 21, 1
	v_add_co_u32_e64 v29, s[28:29], v28, v29
	v_add_co_u32_e64 v29, s[28:29], -1, v29
; %bb.990:                              ;   in Loop: Header=BB6_357 Depth=4
	s_or_b64 exec, exec, s[38:39]
	v_add_u32_e32 v7, 0xffffff81, v7
	v_mov_b32_e32 v30, 0xffffff82
	v_cndmask_b32_e32 v7, v7, v30, vcc
	v_lshrrev_b32_e32 v30, 23, v28
	v_add3_u32 v32, v32, v7, v30
	v_add_u32_e32 v30, 14, v32
	v_and_b32_e32 v7, 0x1fffff, v29
	v_add_u32_e32 v33, v7, v28
	v_cmp_ne_u32_e32 vcc, 0, v30
                                        ; implicit-def: $vgpr28_vgpr29
                                        ; implicit-def: $vgpr7
	s_and_saveexec_b64 s[28:29], vcc
	s_xor_b64 s[28:29], exec, s[28:29]
; %bb.991:                              ;   in Loop: Header=BB6_357 Depth=4
	v_cmp_lt_u64_e32 vcc, s[88:89], v[33:34]
	v_add_u32_e32 v7, 15, v32
	v_cndmask_b32_e64 v28, 0, 1, vcc
	v_lshrrev_b64 v[28:29], v28, v[33:34]
	v_cndmask_b32_e32 v7, v30, v7, vcc
; %bb.992:                              ;   in Loop: Header=BB6_357 Depth=4
	s_andn2_saveexec_b64 s[28:29], s[28:29]
; %bb.993:                              ;   in Loop: Header=BB6_357 Depth=4
	v_mov_b32_e32 v28, v33
	v_mov_b32_e32 v29, v34
	v_bfe_u32 v7, v33, 23, 1
; %bb.994:                              ;   in Loop: Header=BB6_357 Depth=4
	s_or_b64 exec, exec, s[28:29]
	v_lshrrev_b64 v[28:29], 21, v[28:29]
	v_cmp_gt_i32_e32 vcc, 32, v7
	v_cndmask_b32_e32 v29, 0, v29, vcc
	v_cndmask_b32_e32 v28, 3, v28, vcc
	v_cmp_eq_u32_e32 vcc, 0, v7
	v_min_i32_e32 v7, 31, v7
	v_cmp_eq_u64_e64 s[28:29], 0, v[28:29]
	v_lshlrev_b32_e32 v7, 2, v7
	v_and_b32_e32 v7, 0xfc, v7
	v_and_or_b32 v7, v28, 3, v7
	s_and_b64 s[28:29], vcc, s[28:29]
	v_cndmask_b32_e64 v7, v7, 0, s[28:29]
	v_or_b32_e32 v4, v7, v4
	buffer_store_dword v4, off, s[0:3], s33 offset:224 ; 4-byte Folded Spill
.LBB6_995:                              ;   in Loop: Header=BB6_357 Depth=4
	s_or_b64 exec, exec, s[36:37]
                                        ; implicit-def: $vgpr4
.LBB6_996:                              ;   in Loop: Header=BB6_357 Depth=4
	s_andn2_saveexec_b64 s[28:29], s[34:35]
	s_cbranch_execz .LBB6_998
; %bb.997:                              ;   in Loop: Header=BB6_357 Depth=4
	v_or_b32_e32 v4, 0x7b, v4
	buffer_store_dword v4, off, s[0:3], s33 offset:224 ; 4-byte Folded Spill
.LBB6_998:                              ;   in Loop: Header=BB6_357 Depth=4
	s_or_b64 exec, exec, s[28:29]
                                        ; implicit-def: $vgpr7
.LBB6_999:                              ;   in Loop: Header=BB6_357 Depth=4
	s_andn2_saveexec_b64 s[28:29], s[30:31]
	s_cbranch_execz .LBB6_1005
; %bb.1000:                             ;   in Loop: Header=BB6_357 Depth=4
	v_cmp_ne_u64_e32 vcc, 0, v[33:34]
                                        ; implicit-def: $vgpr4
                                        ; kill: killed $vgpr4
	s_and_saveexec_b64 s[30:31], vcc
	s_xor_b64 vcc, exec, s[30:31]
	s_cbranch_execz .LBB6_1002
; %bb.1001:                             ;   in Loop: Header=BB6_357 Depth=4
	v_or_b32_sdwa v4, v7, s83 dst_sel:DWORD dst_unused:UNUSED_PAD src0_sel:BYTE_3 src1_sel:DWORD
	buffer_store_dword v4, off, s[0:3], s33 offset:224 ; 4-byte Folded Spill
                                        ; implicit-def: $vgpr7
.LBB6_1002:                             ;   in Loop: Header=BB6_357 Depth=4
	s_andn2_saveexec_b64 s[30:31], vcc
	s_cbranch_execz .LBB6_1004
; %bb.1003:                             ;   in Loop: Header=BB6_357 Depth=4
	v_cmp_lt_i32_e32 vcc, -1, v7
	v_bfrev_b32_e32 v4, 0.5
	v_mov_b32_e32 v7, 0x7c
	v_cndmask_b32_e32 v4, v4, v7, vcc
	buffer_store_dword v4, off, s[0:3], s33 offset:224 ; 4-byte Folded Spill
.LBB6_1004:                             ;   in Loop: Header=BB6_357 Depth=4
	s_or_b64 exec, exec, s[30:31]
.LBB6_1005:                             ;   in Loop: Header=BB6_357 Depth=4
	s_or_b64 exec, exec, s[28:29]
	v_lshrrev_b32_e32 v7, 16, v24
	v_cmp_ne_u16_sdwa vcc, v7, v34 src0_sel:BYTE_0 src1_sel:DWORD
	v_mov_b32_e32 v4, 0
	v_mov_b32_e32 v28, 0
	s_and_saveexec_b64 s[28:29], vcc
	s_cbranch_execz .LBB6_1013
; %bb.1006:                             ;   in Loop: Header=BB6_357 Depth=4
	v_cmp_ne_u16_sdwa vcc, v7, s44 src0_sel:BYTE_0 src1_sel:DWORD
	v_bfrev_b32_e32 v28, 1
	s_and_saveexec_b64 s[30:31], vcc
	s_cbranch_execz .LBB6_1012
; %bb.1007:                             ;   in Loop: Header=BB6_357 Depth=4
	v_and_b32_e32 v28, 0x7c0000, v24
	v_bfe_u32 v29, v24, 16, 2
	v_cmp_ne_u32_e32 vcc, s9, v28
                                        ; implicit-def: $vgpr28
	s_and_saveexec_b64 s[34:35], vcc
	s_xor_b64 s[34:35], exec, s[34:35]
	s_cbranch_execz .LBB6_1009
; %bb.1008:                             ;   in Loop: Header=BB6_357 Depth=4
	v_ffbh_u32_e32 v30, v29
	v_min_u32_e32 v30, 32, v30
	v_subrev_u32_e32 v32, 29, v30
	s_waitcnt vmcnt(0)
	v_lshlrev_b64 v[32:33], v32, v[7:8]
	v_bfe_u32 v28, v24, 18, 5
	v_sub_u32_e32 v7, 30, v30
	v_and_b32_e32 v30, 3, v32
	v_cmp_eq_u32_e32 vcc, 0, v28
	v_cndmask_b32_e32 v7, v28, v7, vcc
	v_cndmask_b32_e32 v28, v29, v30, vcc
	v_lshlrev_b32_e32 v29, 8, v24
	v_and_b32_e32 v29, 0x80000000, v29
	v_lshl_add_u32 v7, v7, 23, v29
	v_lshl_or_b32 v7, v28, 21, v7
	v_add_u32_e32 v28, 0x38000000, v7
                                        ; implicit-def: $vgpr29
                                        ; implicit-def: $vgpr7
.LBB6_1009:                             ;   in Loop: Header=BB6_357 Depth=4
	s_andn2_saveexec_b64 s[34:35], s[34:35]
; %bb.1010:                             ;   in Loop: Header=BB6_357 Depth=4
	v_mov_b32_e32 v28, -1
	v_cmp_gt_i16_sdwa vcc, sext(v7), v28 src0_sel:BYTE_0 src1_sel:DWORD
	v_mov_b32_e32 v7, 0xff800000
	v_mov_b32_e32 v28, 0x7f800000
	v_cndmask_b32_e32 v7, v7, v28, vcc
	v_cmp_eq_u32_e32 vcc, 0, v29
	v_mov_b32_e32 v28, 0x7f800001
	v_cndmask_b32_e32 v28, v28, v7, vcc
; %bb.1011:                             ;   in Loop: Header=BB6_357 Depth=4
	s_or_b64 exec, exec, s[34:35]
.LBB6_1012:                             ;   in Loop: Header=BB6_357 Depth=4
	s_or_b64 exec, exec, s[30:31]
.LBB6_1013:                             ;   in Loop: Header=BB6_357 Depth=4
	s_or_b64 exec, exec, s[28:29]
	v_lshrrev_b32_e32 v7, 16, v0
	v_cmp_ne_u16_sdwa vcc, v7, v34 src0_sel:BYTE_0 src1_sel:DWORD
	s_and_saveexec_b64 s[28:29], vcc
	s_cbranch_execz .LBB6_1021
; %bb.1014:                             ;   in Loop: Header=BB6_357 Depth=4
	v_cmp_ne_u16_sdwa vcc, v7, s44 src0_sel:BYTE_0 src1_sel:DWORD
	v_bfrev_b32_e32 v4, 1
	s_and_saveexec_b64 s[30:31], vcc
	s_cbranch_execz .LBB6_1020
; %bb.1015:                             ;   in Loop: Header=BB6_357 Depth=4
	v_and_b32_e32 v4, 0x7c0000, v0
	v_bfe_u32 v29, v0, 16, 2
	v_cmp_ne_u32_e32 vcc, s9, v4
                                        ; implicit-def: $vgpr4
	s_and_saveexec_b64 s[34:35], vcc
	s_xor_b64 s[34:35], exec, s[34:35]
	s_cbranch_execz .LBB6_1017
; %bb.1016:                             ;   in Loop: Header=BB6_357 Depth=4
	v_ffbh_u32_e32 v30, v29
	v_min_u32_e32 v30, 32, v30
	v_subrev_u32_e32 v32, 29, v30
	s_waitcnt vmcnt(0)
	v_lshlrev_b64 v[32:33], v32, v[7:8]
	v_bfe_u32 v4, v0, 18, 5
	v_sub_u32_e32 v7, 30, v30
	v_and_b32_e32 v30, 3, v32
	v_cmp_eq_u32_e32 vcc, 0, v4
	v_cndmask_b32_e32 v4, v4, v7, vcc
	v_cndmask_b32_e32 v7, v29, v30, vcc
	v_lshlrev_b32_e32 v29, 8, v0
	v_and_b32_e32 v29, 0x80000000, v29
	v_lshl_add_u32 v4, v4, 23, v29
	v_lshl_or_b32 v4, v7, 21, v4
	v_add_u32_e32 v4, 0x38000000, v4
                                        ; implicit-def: $vgpr29
                                        ; implicit-def: $vgpr7
.LBB6_1017:                             ;   in Loop: Header=BB6_357 Depth=4
	s_andn2_saveexec_b64 s[34:35], s[34:35]
; %bb.1018:                             ;   in Loop: Header=BB6_357 Depth=4
	v_mov_b32_e32 v4, -1
	v_cmp_gt_i16_sdwa vcc, sext(v7), v4 src0_sel:BYTE_0 src1_sel:DWORD
	v_mov_b32_e32 v4, 0xff800000
	v_mov_b32_e32 v7, 0x7f800000
	v_cndmask_b32_e32 v4, v4, v7, vcc
	v_cmp_eq_u32_e32 vcc, 0, v29
	v_mov_b32_e32 v7, 0x7f800001
	v_cndmask_b32_e32 v4, v7, v4, vcc
; %bb.1019:                             ;   in Loop: Header=BB6_357 Depth=4
	s_or_b64 exec, exec, s[34:35]
.LBB6_1020:                             ;   in Loop: Header=BB6_357 Depth=4
	s_or_b64 exec, exec, s[30:31]
.LBB6_1021:                             ;   in Loop: Header=BB6_357 Depth=4
	s_or_b64 exec, exec, s[28:29]
	v_mul_f32_e32 v7, v28, v4
	v_and_b32_e32 v28, 0x7f800000, v7
	v_mov_b32_e32 v29, v34
	v_cmp_ne_u64_e32 vcc, s[76:77], v[28:29]
	v_and_b32_e32 v33, 0x7fffff, v7
                                        ; implicit-def: $vgpr4
                                        ; kill: killed $vgpr4
	s_and_saveexec_b64 s[28:29], vcc
	s_xor_b64 s[30:31], exec, s[28:29]
	s_cbranch_execz .LBB6_1035
; %bb.1022:                             ;   in Loop: Header=BB6_357 Depth=4
	v_and_b32_e32 v28, 0x7fffffff, v7
	v_mov_b32_e32 v29, v34
	v_cmp_gt_u64_e32 vcc, s[78:79], v[28:29]
	v_and_b32_sdwa v4, v7, s44 dst_sel:DWORD dst_unused:UNUSED_PAD src0_sel:BYTE_3 src1_sel:DWORD
                                        ; implicit-def: $vgpr28
                                        ; kill: killed $vgpr28
	s_and_saveexec_b64 s[28:29], vcc
	s_xor_b64 s[34:35], exec, s[28:29]
	s_cbranch_execz .LBB6_1032
; %bb.1023:                             ;   in Loop: Header=BB6_357 Depth=4
	v_mov_b32_e32 v28, 0
	v_cmp_ne_u32_e32 vcc, 0, v7
	buffer_store_dword v28, off, s[0:3], s33 offset:232 ; 4-byte Folded Spill
	s_and_saveexec_b64 s[36:37], vcc
	s_cbranch_execz .LBB6_1031
; %bb.1024:                             ;   in Loop: Header=BB6_357 Depth=4
	v_bfe_u32 v7, v7, 23, 8
	v_cmp_gt_u32_e64 s[28:29], s45, v7
	v_sub_u32_e32 v28, 0x71, v7
	v_cmp_eq_u32_e32 vcc, 0, v7
	v_cndmask_b32_e64 v28, 0, v28, s[28:29]
	v_mov_b32_e32 v30, 0x70
	v_cndmask_b32_e32 v32, v28, v30, vcc
	v_add_u32_e32 v30, 21, v32
	v_or_b32_e32 v29, 0x800000, v33
	v_lshlrev_b64 v[35:36], v30, -1
	v_cndmask_b32_e32 v28, v29, v33, vcc
	v_mov_b32_e32 v29, v34
	v_add_u32_e32 v30, 20, v32
	v_bfi_b32 v35, v35, 0, v28
	v_lshlrev_b64 v[37:38], v30, 1
	v_lshrrev_b64 v[28:29], v32, v[28:29]
	v_bfi_b32 v36, v36, 0, 0
	v_cmp_eq_u64_e64 s[28:29], v[35:36], v[37:38]
	v_mov_b32_e32 v30, v29
	v_mov_b32_e32 v29, v28
	s_and_saveexec_b64 s[38:39], s[28:29]
; %bb.1025:                             ;   in Loop: Header=BB6_357 Depth=4
	v_bfe_u32 v29, v28, 21, 1
	v_add_co_u32_e64 v29, s[28:29], v28, v29
	v_add_co_u32_e64 v29, s[28:29], -1, v29
; %bb.1026:                             ;   in Loop: Header=BB6_357 Depth=4
	s_or_b64 exec, exec, s[38:39]
	v_add_u32_e32 v7, 0xffffff81, v7
	v_mov_b32_e32 v30, 0xffffff82
	v_cndmask_b32_e32 v7, v7, v30, vcc
	v_lshrrev_b32_e32 v30, 23, v28
	v_add3_u32 v32, v32, v7, v30
	v_add_u32_e32 v30, 14, v32
	v_and_b32_e32 v7, 0x1fffff, v29
	v_add_u32_e32 v33, v7, v28
	v_cmp_ne_u32_e32 vcc, 0, v30
                                        ; implicit-def: $vgpr28_vgpr29
                                        ; implicit-def: $vgpr7
	s_and_saveexec_b64 s[28:29], vcc
	s_xor_b64 s[28:29], exec, s[28:29]
; %bb.1027:                             ;   in Loop: Header=BB6_357 Depth=4
	v_cmp_lt_u64_e32 vcc, s[88:89], v[33:34]
	v_add_u32_e32 v7, 15, v32
	v_cndmask_b32_e64 v28, 0, 1, vcc
	v_lshrrev_b64 v[28:29], v28, v[33:34]
	v_cndmask_b32_e32 v7, v30, v7, vcc
; %bb.1028:                             ;   in Loop: Header=BB6_357 Depth=4
	s_andn2_saveexec_b64 s[28:29], s[28:29]
; %bb.1029:                             ;   in Loop: Header=BB6_357 Depth=4
	v_mov_b32_e32 v28, v33
	v_mov_b32_e32 v29, v34
	v_bfe_u32 v7, v33, 23, 1
; %bb.1030:                             ;   in Loop: Header=BB6_357 Depth=4
	s_or_b64 exec, exec, s[28:29]
	v_lshrrev_b64 v[28:29], 21, v[28:29]
	v_cmp_gt_i32_e32 vcc, 32, v7
	v_cndmask_b32_e32 v29, 0, v29, vcc
	v_cndmask_b32_e32 v28, 3, v28, vcc
	v_cmp_eq_u32_e32 vcc, 0, v7
	v_min_i32_e32 v7, 31, v7
	v_cmp_eq_u64_e64 s[28:29], 0, v[28:29]
	v_lshlrev_b32_e32 v7, 2, v7
	v_and_b32_e32 v7, 0xfc, v7
	v_and_or_b32 v7, v28, 3, v7
	s_and_b64 s[28:29], vcc, s[28:29]
	v_cndmask_b32_e64 v7, v7, 0, s[28:29]
	v_or_b32_e32 v4, v7, v4
	buffer_store_dword v4, off, s[0:3], s33 offset:232 ; 4-byte Folded Spill
.LBB6_1031:                             ;   in Loop: Header=BB6_357 Depth=4
	s_or_b64 exec, exec, s[36:37]
                                        ; implicit-def: $vgpr4
.LBB6_1032:                             ;   in Loop: Header=BB6_357 Depth=4
	s_andn2_saveexec_b64 s[28:29], s[34:35]
	s_cbranch_execz .LBB6_1034
; %bb.1033:                             ;   in Loop: Header=BB6_357 Depth=4
	v_or_b32_e32 v4, 0x7b, v4
	buffer_store_dword v4, off, s[0:3], s33 offset:232 ; 4-byte Folded Spill
.LBB6_1034:                             ;   in Loop: Header=BB6_357 Depth=4
	s_or_b64 exec, exec, s[28:29]
                                        ; implicit-def: $vgpr7
.LBB6_1035:                             ;   in Loop: Header=BB6_357 Depth=4
	s_andn2_saveexec_b64 s[28:29], s[30:31]
	s_cbranch_execz .LBB6_1041
; %bb.1036:                             ;   in Loop: Header=BB6_357 Depth=4
	v_cmp_ne_u64_e32 vcc, 0, v[33:34]
                                        ; implicit-def: $vgpr4
                                        ; kill: killed $vgpr4
	s_and_saveexec_b64 s[30:31], vcc
	s_xor_b64 vcc, exec, s[30:31]
	s_cbranch_execz .LBB6_1038
; %bb.1037:                             ;   in Loop: Header=BB6_357 Depth=4
	v_or_b32_sdwa v4, v7, s83 dst_sel:DWORD dst_unused:UNUSED_PAD src0_sel:BYTE_3 src1_sel:DWORD
	buffer_store_dword v4, off, s[0:3], s33 offset:232 ; 4-byte Folded Spill
                                        ; implicit-def: $vgpr7
.LBB6_1038:                             ;   in Loop: Header=BB6_357 Depth=4
	s_andn2_saveexec_b64 s[30:31], vcc
	s_cbranch_execz .LBB6_1040
; %bb.1039:                             ;   in Loop: Header=BB6_357 Depth=4
	v_cmp_lt_i32_e32 vcc, -1, v7
	v_bfrev_b32_e32 v4, 0.5
	v_mov_b32_e32 v7, 0x7c
	v_cndmask_b32_e32 v4, v4, v7, vcc
	buffer_store_dword v4, off, s[0:3], s33 offset:232 ; 4-byte Folded Spill
.LBB6_1040:                             ;   in Loop: Header=BB6_357 Depth=4
	s_or_b64 exec, exec, s[30:31]
.LBB6_1041:                             ;   in Loop: Header=BB6_357 Depth=4
	s_or_b64 exec, exec, s[28:29]
	v_cmp_lt_u32_e32 vcc, s57, v24
	v_mov_b32_e32 v4, 0
	v_mov_b32_e32 v28, 0
	s_and_saveexec_b64 s[28:29], vcc
	s_cbranch_execz .LBB6_1049
; %bb.1042:                             ;   in Loop: Header=BB6_357 Depth=4
	v_lshrrev_b32_e32 v7, 24, v24
	v_cmp_ne_u32_e32 vcc, s44, v7
	v_bfrev_b32_e32 v28, 1
	s_and_saveexec_b64 s[30:31], vcc
	s_cbranch_execz .LBB6_1048
; %bb.1043:                             ;   in Loop: Header=BB6_357 Depth=4
	v_and_b32_e32 v28, 0x7c000000, v24
	v_bfe_u32 v29, v24, 24, 2
	v_cmp_ne_u32_e32 vcc, s8, v28
                                        ; implicit-def: $vgpr28
	s_and_saveexec_b64 s[34:35], vcc
	s_xor_b64 s[34:35], exec, s[34:35]
	s_cbranch_execz .LBB6_1045
; %bb.1044:                             ;   in Loop: Header=BB6_357 Depth=4
	v_ffbh_u32_e32 v30, v29
	v_min_u32_e32 v30, 32, v30
	v_subrev_u32_e32 v32, 29, v30
	s_waitcnt vmcnt(0)
	v_lshlrev_b64 v[32:33], v32, v[7:8]
	v_bfe_u32 v28, v24, 26, 5
	v_sub_u32_e32 v7, 30, v30
	v_and_b32_e32 v30, 3, v32
	v_cmp_eq_u32_e32 vcc, 0, v28
	v_cndmask_b32_e32 v7, v28, v7, vcc
	v_cndmask_b32_e32 v28, v29, v30, vcc
	v_and_b32_e32 v29, 0x80000000, v24
	v_lshl_add_u32 v7, v7, 23, v29
	v_lshl_or_b32 v7, v28, 21, v7
	v_add_u32_e32 v28, 0x38000000, v7
                                        ; implicit-def: $vgpr29
.LBB6_1045:                             ;   in Loop: Header=BB6_357 Depth=4
	s_andn2_saveexec_b64 s[34:35], s[34:35]
; %bb.1046:                             ;   in Loop: Header=BB6_357 Depth=4
	v_cmp_lt_i32_e32 vcc, -1, v24
	v_mov_b32_e32 v7, 0xff800000
	v_mov_b32_e32 v28, 0x7f800000
	v_cndmask_b32_e32 v7, v7, v28, vcc
	v_cmp_eq_u32_e32 vcc, 0, v29
	v_mov_b32_e32 v28, 0x7f800001
	v_cndmask_b32_e32 v28, v28, v7, vcc
; %bb.1047:                             ;   in Loop: Header=BB6_357 Depth=4
	s_or_b64 exec, exec, s[34:35]
.LBB6_1048:                             ;   in Loop: Header=BB6_357 Depth=4
	s_or_b64 exec, exec, s[30:31]
.LBB6_1049:                             ;   in Loop: Header=BB6_357 Depth=4
	s_or_b64 exec, exec, s[28:29]
	v_cmp_lt_u32_e32 vcc, s57, v0
	s_and_saveexec_b64 s[28:29], vcc
	s_cbranch_execz .LBB6_1057
; %bb.1050:                             ;   in Loop: Header=BB6_357 Depth=4
	v_lshrrev_b32_e32 v7, 24, v0
	v_cmp_ne_u32_e32 vcc, s44, v7
	v_bfrev_b32_e32 v4, 1
	s_and_saveexec_b64 s[30:31], vcc
	s_cbranch_execz .LBB6_1056
; %bb.1051:                             ;   in Loop: Header=BB6_357 Depth=4
	v_and_b32_e32 v4, 0x7c000000, v0
	v_bfe_u32 v29, v0, 24, 2
	v_cmp_ne_u32_e32 vcc, s8, v4
                                        ; implicit-def: $vgpr4
	s_and_saveexec_b64 s[34:35], vcc
	s_xor_b64 s[34:35], exec, s[34:35]
	s_cbranch_execz .LBB6_1053
; %bb.1052:                             ;   in Loop: Header=BB6_357 Depth=4
	v_ffbh_u32_e32 v30, v29
	v_min_u32_e32 v30, 32, v30
	v_subrev_u32_e32 v32, 29, v30
	s_waitcnt vmcnt(0)
	v_lshlrev_b64 v[32:33], v32, v[7:8]
	v_bfe_u32 v4, v0, 26, 5
	v_sub_u32_e32 v7, 30, v30
	v_and_b32_e32 v30, 3, v32
	v_cmp_eq_u32_e32 vcc, 0, v4
	v_cndmask_b32_e32 v4, v4, v7, vcc
	v_cndmask_b32_e32 v7, v29, v30, vcc
	v_and_b32_e32 v29, 0x80000000, v0
	v_lshl_add_u32 v4, v4, 23, v29
	v_lshl_or_b32 v4, v7, 21, v4
	v_add_u32_e32 v4, 0x38000000, v4
                                        ; implicit-def: $vgpr29
.LBB6_1053:                             ;   in Loop: Header=BB6_357 Depth=4
	s_andn2_saveexec_b64 s[34:35], s[34:35]
; %bb.1054:                             ;   in Loop: Header=BB6_357 Depth=4
	v_cmp_lt_i32_e32 vcc, -1, v0
	v_mov_b32_e32 v4, 0xff800000
	v_mov_b32_e32 v7, 0x7f800000
	v_cndmask_b32_e32 v4, v4, v7, vcc
	v_cmp_eq_u32_e32 vcc, 0, v29
	v_mov_b32_e32 v7, 0x7f800001
	v_cndmask_b32_e32 v4, v7, v4, vcc
; %bb.1055:                             ;   in Loop: Header=BB6_357 Depth=4
	s_or_b64 exec, exec, s[34:35]
.LBB6_1056:                             ;   in Loop: Header=BB6_357 Depth=4
	s_or_b64 exec, exec, s[30:31]
.LBB6_1057:                             ;   in Loop: Header=BB6_357 Depth=4
	s_or_b64 exec, exec, s[28:29]
	v_mul_f32_e32 v7, v28, v4
	v_and_b32_e32 v28, 0x7f800000, v7
	v_mov_b32_e32 v29, v34
	v_cmp_ne_u64_e32 vcc, s[76:77], v[28:29]
	v_and_b32_e32 v33, 0x7fffff, v7
                                        ; implicit-def: $vgpr4
                                        ; kill: killed $vgpr4
	s_and_saveexec_b64 s[28:29], vcc
	s_xor_b64 s[30:31], exec, s[28:29]
	s_cbranch_execz .LBB6_1071
; %bb.1058:                             ;   in Loop: Header=BB6_357 Depth=4
	v_and_b32_e32 v28, 0x7fffffff, v7
	v_mov_b32_e32 v29, v34
	v_cmp_gt_u64_e32 vcc, s[78:79], v[28:29]
	v_and_b32_sdwa v4, v7, s44 dst_sel:DWORD dst_unused:UNUSED_PAD src0_sel:BYTE_3 src1_sel:DWORD
                                        ; implicit-def: $vgpr28
                                        ; kill: killed $vgpr28
	s_and_saveexec_b64 s[28:29], vcc
	s_xor_b64 s[34:35], exec, s[28:29]
	s_cbranch_execz .LBB6_1068
; %bb.1059:                             ;   in Loop: Header=BB6_357 Depth=4
	v_mov_b32_e32 v28, 0
	v_cmp_ne_u32_e32 vcc, 0, v7
	buffer_store_dword v28, off, s[0:3], s33 offset:240 ; 4-byte Folded Spill
	s_and_saveexec_b64 s[36:37], vcc
	s_cbranch_execz .LBB6_1067
; %bb.1060:                             ;   in Loop: Header=BB6_357 Depth=4
	v_bfe_u32 v7, v7, 23, 8
	v_cmp_gt_u32_e64 s[28:29], s45, v7
	v_sub_u32_e32 v28, 0x71, v7
	v_cmp_eq_u32_e32 vcc, 0, v7
	v_cndmask_b32_e64 v28, 0, v28, s[28:29]
	v_mov_b32_e32 v30, 0x70
	v_cndmask_b32_e32 v32, v28, v30, vcc
	v_add_u32_e32 v30, 21, v32
	v_or_b32_e32 v29, 0x800000, v33
	v_lshlrev_b64 v[35:36], v30, -1
	v_cndmask_b32_e32 v28, v29, v33, vcc
	v_mov_b32_e32 v29, v34
	v_add_u32_e32 v30, 20, v32
	v_bfi_b32 v35, v35, 0, v28
	v_lshlrev_b64 v[37:38], v30, 1
	v_lshrrev_b64 v[28:29], v32, v[28:29]
	v_bfi_b32 v36, v36, 0, 0
	v_cmp_eq_u64_e64 s[28:29], v[35:36], v[37:38]
	v_mov_b32_e32 v30, v29
	v_mov_b32_e32 v29, v28
	s_and_saveexec_b64 s[38:39], s[28:29]
; %bb.1061:                             ;   in Loop: Header=BB6_357 Depth=4
	v_bfe_u32 v29, v28, 21, 1
	v_add_co_u32_e64 v29, s[28:29], v28, v29
	v_add_co_u32_e64 v29, s[28:29], -1, v29
; %bb.1062:                             ;   in Loop: Header=BB6_357 Depth=4
	s_or_b64 exec, exec, s[38:39]
	v_add_u32_e32 v7, 0xffffff81, v7
	v_mov_b32_e32 v30, 0xffffff82
	v_cndmask_b32_e32 v7, v7, v30, vcc
	v_lshrrev_b32_e32 v30, 23, v28
	v_add3_u32 v32, v32, v7, v30
	v_add_u32_e32 v30, 14, v32
	v_and_b32_e32 v7, 0x1fffff, v29
	v_add_u32_e32 v33, v7, v28
	v_cmp_ne_u32_e32 vcc, 0, v30
                                        ; implicit-def: $vgpr28_vgpr29
                                        ; implicit-def: $vgpr7
	s_and_saveexec_b64 s[28:29], vcc
	s_xor_b64 s[28:29], exec, s[28:29]
; %bb.1063:                             ;   in Loop: Header=BB6_357 Depth=4
	v_cmp_lt_u64_e32 vcc, s[88:89], v[33:34]
	v_add_u32_e32 v7, 15, v32
	v_cndmask_b32_e64 v28, 0, 1, vcc
	v_lshrrev_b64 v[28:29], v28, v[33:34]
	v_cndmask_b32_e32 v7, v30, v7, vcc
; %bb.1064:                             ;   in Loop: Header=BB6_357 Depth=4
	s_andn2_saveexec_b64 s[28:29], s[28:29]
; %bb.1065:                             ;   in Loop: Header=BB6_357 Depth=4
	v_mov_b32_e32 v28, v33
	v_mov_b32_e32 v29, v34
	v_bfe_u32 v7, v33, 23, 1
; %bb.1066:                             ;   in Loop: Header=BB6_357 Depth=4
	s_or_b64 exec, exec, s[28:29]
	v_lshrrev_b64 v[28:29], 21, v[28:29]
	v_cmp_gt_i32_e32 vcc, 32, v7
	v_cndmask_b32_e32 v29, 0, v29, vcc
	v_cndmask_b32_e32 v28, 3, v28, vcc
	v_cmp_eq_u32_e32 vcc, 0, v7
	v_min_i32_e32 v7, 31, v7
	v_cmp_eq_u64_e64 s[28:29], 0, v[28:29]
	v_lshlrev_b32_e32 v7, 2, v7
	v_and_b32_e32 v7, 0xfc, v7
	v_and_or_b32 v7, v28, 3, v7
	s_and_b64 s[28:29], vcc, s[28:29]
	v_cndmask_b32_e64 v7, v7, 0, s[28:29]
	v_or_b32_e32 v4, v7, v4
	buffer_store_dword v4, off, s[0:3], s33 offset:240 ; 4-byte Folded Spill
.LBB6_1067:                             ;   in Loop: Header=BB6_357 Depth=4
	s_or_b64 exec, exec, s[36:37]
                                        ; implicit-def: $vgpr4
.LBB6_1068:                             ;   in Loop: Header=BB6_357 Depth=4
	s_andn2_saveexec_b64 s[28:29], s[34:35]
	s_cbranch_execz .LBB6_1070
; %bb.1069:                             ;   in Loop: Header=BB6_357 Depth=4
	v_or_b32_e32 v4, 0x7b, v4
	buffer_store_dword v4, off, s[0:3], s33 offset:240 ; 4-byte Folded Spill
.LBB6_1070:                             ;   in Loop: Header=BB6_357 Depth=4
	s_or_b64 exec, exec, s[28:29]
                                        ; implicit-def: $vgpr7
.LBB6_1071:                             ;   in Loop: Header=BB6_357 Depth=4
	s_andn2_saveexec_b64 s[28:29], s[30:31]
	s_cbranch_execz .LBB6_1077
; %bb.1072:                             ;   in Loop: Header=BB6_357 Depth=4
	v_cmp_ne_u64_e32 vcc, 0, v[33:34]
                                        ; implicit-def: $vgpr4
                                        ; kill: killed $vgpr4
	s_and_saveexec_b64 s[30:31], vcc
	s_xor_b64 vcc, exec, s[30:31]
	s_cbranch_execz .LBB6_1074
; %bb.1073:                             ;   in Loop: Header=BB6_357 Depth=4
	v_or_b32_sdwa v4, v7, s83 dst_sel:DWORD dst_unused:UNUSED_PAD src0_sel:BYTE_3 src1_sel:DWORD
	buffer_store_dword v4, off, s[0:3], s33 offset:240 ; 4-byte Folded Spill
                                        ; implicit-def: $vgpr7
.LBB6_1074:                             ;   in Loop: Header=BB6_357 Depth=4
	s_andn2_saveexec_b64 s[30:31], vcc
	s_cbranch_execz .LBB6_1076
; %bb.1075:                             ;   in Loop: Header=BB6_357 Depth=4
	v_cmp_lt_i32_e32 vcc, -1, v7
	v_bfrev_b32_e32 v4, 0.5
	v_mov_b32_e32 v7, 0x7c
	v_cndmask_b32_e32 v4, v4, v7, vcc
	buffer_store_dword v4, off, s[0:3], s33 offset:240 ; 4-byte Folded Spill
.LBB6_1076:                             ;   in Loop: Header=BB6_357 Depth=4
	s_or_b64 exec, exec, s[30:31]
.LBB6_1077:                             ;   in Loop: Header=BB6_357 Depth=4
	s_or_b64 exec, exec, s[28:29]
	v_mov_b32_e32 v33, v25
	v_cmp_ne_u16_sdwa vcc, v25, v34 src0_sel:BYTE_0 src1_sel:DWORD
	v_mov_b32_e32 v7, 0
	v_mov_b32_e32 v4, 0
	s_and_saveexec_b64 s[28:29], vcc
	s_cbranch_execz .LBB6_1085
; %bb.1078:                             ;   in Loop: Header=BB6_357 Depth=4
	v_cmp_ne_u16_sdwa vcc, v25, s44 src0_sel:BYTE_0 src1_sel:DWORD
	v_bfrev_b32_e32 v4, 1
	s_and_saveexec_b64 s[30:31], vcc
	s_cbranch_execz .LBB6_1084
; %bb.1079:                             ;   in Loop: Header=BB6_357 Depth=4
	v_and_b32_e32 v4, 0x7c, v25
	v_and_b32_e32 v28, 3, v25
	v_cmp_ne_u32_e32 vcc, s81, v4
                                        ; implicit-def: $vgpr4
	s_and_saveexec_b64 s[34:35], vcc
	s_xor_b64 s[34:35], exec, s[34:35]
	s_cbranch_execz .LBB6_1081
; %bb.1080:                             ;   in Loop: Header=BB6_357 Depth=4
	v_ffbh_u32_e32 v29, v28
	v_min_u32_e32 v32, 32, v29
	v_subrev_u32_e32 v29, 29, v32
	v_lshlrev_b64 v[29:30], v29, v[33:34]
	v_bfe_u32 v4, v25, 2, 5
	v_and_b32_e32 v29, 3, v29
	v_cmp_eq_u32_e32 vcc, 0, v4
	v_sub_u32_e32 v30, 30, v32
	v_cndmask_b32_e32 v28, v28, v29, vcc
	v_lshlrev_b32_e32 v29, 24, v25
	v_cndmask_b32_e32 v4, v4, v30, vcc
	v_and_b32_e32 v29, 0x80000000, v29
	v_lshl_add_u32 v4, v4, 23, v29
	v_lshl_or_b32 v4, v28, 21, v4
	v_add_u32_e32 v4, 0x38000000, v4
                                        ; implicit-def: $vgpr28
.LBB6_1081:                             ;   in Loop: Header=BB6_357 Depth=4
	s_andn2_saveexec_b64 s[34:35], s[34:35]
; %bb.1082:                             ;   in Loop: Header=BB6_357 Depth=4
	v_mov_b32_e32 v4, -1
	v_cmp_gt_i16_sdwa vcc, sext(v25), v4 src0_sel:BYTE_0 src1_sel:DWORD
	v_mov_b32_e32 v4, 0xff800000
	v_mov_b32_e32 v29, 0x7f800000
	v_cndmask_b32_e32 v4, v4, v29, vcc
	v_cmp_eq_u32_e32 vcc, 0, v28
	v_mov_b32_e32 v28, 0x7f800001
	v_cndmask_b32_e32 v4, v28, v4, vcc
; %bb.1083:                             ;   in Loop: Header=BB6_357 Depth=4
	s_or_b64 exec, exec, s[34:35]
.LBB6_1084:                             ;   in Loop: Header=BB6_357 Depth=4
	s_or_b64 exec, exec, s[30:31]
.LBB6_1085:                             ;   in Loop: Header=BB6_357 Depth=4
	s_or_b64 exec, exec, s[28:29]
	v_cmp_ne_u16_sdwa vcc, v1, v34 src0_sel:BYTE_0 src1_sel:DWORD
	s_and_saveexec_b64 s[28:29], vcc
	s_cbranch_execz .LBB6_1093
; %bb.1086:                             ;   in Loop: Header=BB6_357 Depth=4
	v_cmp_ne_u16_sdwa vcc, v1, s44 src0_sel:BYTE_0 src1_sel:DWORD
	v_bfrev_b32_e32 v7, 1
	s_and_saveexec_b64 s[30:31], vcc
	s_cbranch_execz .LBB6_1092
; %bb.1087:                             ;   in Loop: Header=BB6_357 Depth=4
	v_and_b32_e32 v7, 0x7c, v1
	v_and_b32_e32 v28, 3, v1
	v_cmp_ne_u32_e32 vcc, s81, v7
                                        ; implicit-def: $vgpr7
	s_and_saveexec_b64 s[34:35], vcc
	s_xor_b64 s[34:35], exec, s[34:35]
	s_cbranch_execz .LBB6_1089
; %bb.1088:                             ;   in Loop: Header=BB6_357 Depth=4
	v_ffbh_u32_e32 v32, v28
	v_min_u32_e32 v32, 32, v32
	v_mov_b32_e32 v29, v1
	v_mov_b32_e32 v30, v34
	v_subrev_u32_e32 v35, 29, v32
	v_lshlrev_b64 v[29:30], v35, v[29:30]
	v_bfe_u32 v7, v1, 2, 5
	v_and_b32_e32 v29, 3, v29
	v_cmp_eq_u32_e32 vcc, 0, v7
	v_sub_u32_e32 v30, 30, v32
	v_cndmask_b32_e32 v28, v28, v29, vcc
	v_lshlrev_b32_e32 v29, 24, v1
	v_cndmask_b32_e32 v7, v7, v30, vcc
	v_and_b32_e32 v29, 0x80000000, v29
	v_lshl_add_u32 v7, v7, 23, v29
	v_lshl_or_b32 v7, v28, 21, v7
	v_add_u32_e32 v7, 0x38000000, v7
                                        ; implicit-def: $vgpr28
.LBB6_1089:                             ;   in Loop: Header=BB6_357 Depth=4
	s_andn2_saveexec_b64 s[34:35], s[34:35]
; %bb.1090:                             ;   in Loop: Header=BB6_357 Depth=4
	v_mov_b32_e32 v7, -1
	v_cmp_gt_i16_sdwa vcc, sext(v1), v7 src0_sel:BYTE_0 src1_sel:DWORD
	v_mov_b32_e32 v7, 0xff800000
	v_mov_b32_e32 v29, 0x7f800000
	v_cndmask_b32_e32 v7, v7, v29, vcc
	v_cmp_eq_u32_e32 vcc, 0, v28
	v_mov_b32_e32 v28, 0x7f800001
	v_cndmask_b32_e32 v7, v28, v7, vcc
; %bb.1091:                             ;   in Loop: Header=BB6_357 Depth=4
	s_or_b64 exec, exec, s[34:35]
.LBB6_1092:                             ;   in Loop: Header=BB6_357 Depth=4
	s_or_b64 exec, exec, s[30:31]
.LBB6_1093:                             ;   in Loop: Header=BB6_357 Depth=4
	s_or_b64 exec, exec, s[28:29]
	v_mul_f32_e32 v7, v4, v7
	v_and_b32_e32 v29, 0x7f800000, v7
	v_mov_b32_e32 v30, v34
	v_cmp_ne_u64_e32 vcc, s[76:77], v[29:30]
	v_and_b32_e32 v28, 0x7fffff, v7
	v_mov_b32_e32 v29, v34
                                        ; implicit-def: $vgpr4
                                        ; kill: killed $vgpr4
	s_and_saveexec_b64 s[28:29], vcc
	s_xor_b64 s[30:31], exec, s[28:29]
	s_cbranch_execz .LBB6_1107
; %bb.1094:                             ;   in Loop: Header=BB6_357 Depth=4
	v_and_b32_e32 v35, 0x7fffffff, v7
	v_mov_b32_e32 v36, v34
	v_cmp_gt_u64_e32 vcc, s[78:79], v[35:36]
	v_and_b32_sdwa v4, v7, s44 dst_sel:DWORD dst_unused:UNUSED_PAD src0_sel:BYTE_3 src1_sel:DWORD
                                        ; implicit-def: $vgpr30
                                        ; kill: killed $vgpr30
	s_and_saveexec_b64 s[28:29], vcc
	s_xor_b64 s[34:35], exec, s[28:29]
	s_cbranch_execz .LBB6_1104
; %bb.1095:                             ;   in Loop: Header=BB6_357 Depth=4
	v_mov_b32_e32 v30, 0
	v_cmp_ne_u32_e32 vcc, 0, v7
	buffer_store_dword v30, off, s[0:3], s33 offset:248 ; 4-byte Folded Spill
	s_and_saveexec_b64 s[36:37], vcc
	s_cbranch_execz .LBB6_1103
; %bb.1096:                             ;   in Loop: Header=BB6_357 Depth=4
	v_bfe_u32 v7, v7, 23, 8
	v_cmp_gt_u32_e64 s[28:29], s45, v7
	v_sub_u32_e32 v30, 0x71, v7
	v_cmp_eq_u32_e32 vcc, 0, v7
	v_cndmask_b32_e64 v30, 0, v30, s[28:29]
	v_mov_b32_e32 v35, 0x70
	v_cndmask_b32_e32 v35, v30, v35, vcc
	v_add_u32_e32 v30, 21, v35
	v_or_b32_e32 v32, 0x800000, v28
	v_lshlrev_b64 v[36:37], v30, -1
	v_cndmask_b32_e32 v28, v32, v28, vcc
	v_add_u32_e32 v30, 20, v35
	v_bfi_b32 v36, v36, 0, v28
	v_lshlrev_b64 v[38:39], v30, 1
	v_lshrrev_b64 v[28:29], v35, v[28:29]
	v_bfi_b32 v37, v37, 0, 0
	v_cmp_eq_u64_e64 s[28:29], v[36:37], v[38:39]
	v_mov_b32_e32 v30, v29
	v_mov_b32_e32 v29, v28
	s_and_saveexec_b64 s[38:39], s[28:29]
; %bb.1097:                             ;   in Loop: Header=BB6_357 Depth=4
	v_bfe_u32 v29, v28, 21, 1
	v_add_co_u32_e64 v29, s[28:29], v28, v29
	v_add_co_u32_e64 v29, s[28:29], -1, v29
; %bb.1098:                             ;   in Loop: Header=BB6_357 Depth=4
	s_or_b64 exec, exec, s[38:39]
	v_add_u32_e32 v7, 0xffffff81, v7
	v_mov_b32_e32 v30, 0xffffff82
	v_cndmask_b32_e32 v7, v7, v30, vcc
	v_lshrrev_b32_e32 v30, 23, v28
	v_add3_u32 v35, v35, v7, v30
	v_add_u32_e32 v30, 14, v35
	v_and_b32_e32 v7, 0x1fffff, v29
	v_add_u32_e32 v28, v7, v28
	v_mov_b32_e32 v29, v34
	v_cmp_ne_u32_e32 vcc, 0, v30
                                        ; implicit-def: $vgpr7
	s_and_saveexec_b64 s[28:29], vcc
	s_xor_b64 s[28:29], exec, s[28:29]
; %bb.1099:                             ;   in Loop: Header=BB6_357 Depth=4
	v_cmp_lt_u64_e32 vcc, s[88:89], v[28:29]
	v_add_u32_e32 v7, 15, v35
	v_cndmask_b32_e32 v7, v30, v7, vcc
	v_cndmask_b32_e64 v30, 0, 1, vcc
	v_lshrrev_b64 v[28:29], v30, v[28:29]
; %bb.1100:                             ;   in Loop: Header=BB6_357 Depth=4
	s_andn2_saveexec_b64 s[28:29], s[28:29]
; %bb.1101:                             ;   in Loop: Header=BB6_357 Depth=4
	v_bfe_u32 v7, v28, 23, 1
; %bb.1102:                             ;   in Loop: Header=BB6_357 Depth=4
	s_or_b64 exec, exec, s[28:29]
	v_lshrrev_b64 v[28:29], 21, v[28:29]
	v_cmp_gt_i32_e32 vcc, 32, v7
	v_cndmask_b32_e32 v29, 0, v29, vcc
	v_cndmask_b32_e32 v28, 3, v28, vcc
	v_cmp_eq_u32_e32 vcc, 0, v7
	v_min_i32_e32 v7, 31, v7
	v_cmp_eq_u64_e64 s[28:29], 0, v[28:29]
	v_lshlrev_b32_e32 v7, 2, v7
	v_and_b32_e32 v7, 0xfc, v7
	v_and_or_b32 v7, v28, 3, v7
	s_and_b64 s[28:29], vcc, s[28:29]
	v_cndmask_b32_e64 v7, v7, 0, s[28:29]
	v_or_b32_e32 v4, v7, v4
	buffer_store_dword v4, off, s[0:3], s33 offset:248 ; 4-byte Folded Spill
.LBB6_1103:                             ;   in Loop: Header=BB6_357 Depth=4
	s_or_b64 exec, exec, s[36:37]
                                        ; implicit-def: $vgpr4
.LBB6_1104:                             ;   in Loop: Header=BB6_357 Depth=4
	s_andn2_saveexec_b64 s[28:29], s[34:35]
	s_cbranch_execz .LBB6_1106
; %bb.1105:                             ;   in Loop: Header=BB6_357 Depth=4
	v_or_b32_e32 v4, 0x7b, v4
	buffer_store_dword v4, off, s[0:3], s33 offset:248 ; 4-byte Folded Spill
.LBB6_1106:                             ;   in Loop: Header=BB6_357 Depth=4
	s_or_b64 exec, exec, s[28:29]
                                        ; implicit-def: $vgpr7
                                        ; implicit-def: $vgpr28_vgpr29
.LBB6_1107:                             ;   in Loop: Header=BB6_357 Depth=4
	s_andn2_saveexec_b64 s[28:29], s[30:31]
	s_cbranch_execz .LBB6_1113
; %bb.1108:                             ;   in Loop: Header=BB6_357 Depth=4
	v_cmp_ne_u64_e32 vcc, 0, v[28:29]
                                        ; implicit-def: $vgpr4
                                        ; kill: killed $vgpr4
	s_and_saveexec_b64 s[30:31], vcc
	s_xor_b64 vcc, exec, s[30:31]
	s_cbranch_execz .LBB6_1110
; %bb.1109:                             ;   in Loop: Header=BB6_357 Depth=4
	v_or_b32_sdwa v4, v7, s83 dst_sel:DWORD dst_unused:UNUSED_PAD src0_sel:BYTE_3 src1_sel:DWORD
	buffer_store_dword v4, off, s[0:3], s33 offset:248 ; 4-byte Folded Spill
                                        ; implicit-def: $vgpr7
.LBB6_1110:                             ;   in Loop: Header=BB6_357 Depth=4
	s_andn2_saveexec_b64 s[30:31], vcc
	s_cbranch_execz .LBB6_1112
; %bb.1111:                             ;   in Loop: Header=BB6_357 Depth=4
	v_cmp_lt_i32_e32 vcc, -1, v7
	v_bfrev_b32_e32 v4, 0.5
	v_mov_b32_e32 v7, 0x7c
	v_cndmask_b32_e32 v4, v4, v7, vcc
	buffer_store_dword v4, off, s[0:3], s33 offset:248 ; 4-byte Folded Spill
.LBB6_1112:                             ;   in Loop: Header=BB6_357 Depth=4
	s_or_b64 exec, exec, s[30:31]
.LBB6_1113:                             ;   in Loop: Header=BB6_357 Depth=4
	s_or_b64 exec, exec, s[28:29]
	v_lshrrev_b16_e32 v28, 8, v33
	v_cmp_ne_u16_e32 vcc, 0, v28
	v_mov_b32_e32 v4, 0
	v_mov_b32_e32 v7, 0
	s_and_saveexec_b64 s[28:29], vcc
	s_cbranch_execz .LBB6_1121
; %bb.1114:                             ;   in Loop: Header=BB6_357 Depth=4
	v_cmp_ne_u16_e32 vcc, s44, v28
	v_bfrev_b32_e32 v7, 1
	s_and_saveexec_b64 s[30:31], vcc
	s_cbranch_execz .LBB6_1120
; %bb.1115:                             ;   in Loop: Header=BB6_357 Depth=4
	v_and_b32_e32 v7, 0x7c, v28
	v_and_b32_e32 v30, 3, v28
	v_cmp_ne_u32_e32 vcc, s81, v7
                                        ; implicit-def: $vgpr7
	s_and_saveexec_b64 s[34:35], vcc
	s_xor_b64 s[34:35], exec, s[34:35]
	s_cbranch_execz .LBB6_1117
; %bb.1116:                             ;   in Loop: Header=BB6_357 Depth=4
	v_ffbh_u32_e32 v32, v30
	v_min_u32_e32 v32, 32, v32
	v_mov_b32_e32 v29, v34
	v_subrev_u32_e32 v35, 29, v32
	v_bfe_u32 v7, v28, 2, 5
	v_lshlrev_b64 v[28:29], v35, v[28:29]
	v_sub_u32_e32 v29, 30, v32
	v_cmp_eq_u32_e32 vcc, 0, v7
	v_cndmask_b32_e32 v7, v7, v29, vcc
	v_lshlrev_b32_e32 v29, 16, v33
	v_and_b32_e32 v28, 3, v28
	v_and_b32_e32 v29, 0x80000000, v29
	v_cndmask_b32_e32 v28, v30, v28, vcc
	v_lshl_add_u32 v7, v7, 23, v29
	v_lshl_or_b32 v7, v28, 21, v7
	v_add_u32_e32 v7, 0x38000000, v7
                                        ; implicit-def: $vgpr30
.LBB6_1117:                             ;   in Loop: Header=BB6_357 Depth=4
	s_andn2_saveexec_b64 s[34:35], s[34:35]
; %bb.1118:                             ;   in Loop: Header=BB6_357 Depth=4
	v_cmp_lt_i16_e32 vcc, -1, v33
	v_mov_b32_e32 v7, 0xff800000
	v_mov_b32_e32 v28, 0x7f800000
	v_cndmask_b32_e32 v7, v7, v28, vcc
	v_cmp_eq_u32_e32 vcc, 0, v30
	v_mov_b32_e32 v28, 0x7f800001
	v_cndmask_b32_e32 v7, v28, v7, vcc
; %bb.1119:                             ;   in Loop: Header=BB6_357 Depth=4
	s_or_b64 exec, exec, s[34:35]
.LBB6_1120:                             ;   in Loop: Header=BB6_357 Depth=4
	s_or_b64 exec, exec, s[30:31]
.LBB6_1121:                             ;   in Loop: Header=BB6_357 Depth=4
	s_or_b64 exec, exec, s[28:29]
	v_lshrrev_b16_e32 v28, 8, v1
	v_cmp_ne_u16_e32 vcc, 0, v28
	s_and_saveexec_b64 s[28:29], vcc
	s_cbranch_execz .LBB6_1129
; %bb.1122:                             ;   in Loop: Header=BB6_357 Depth=4
	v_cmp_ne_u16_e32 vcc, s44, v28
	v_bfrev_b32_e32 v4, 1
	s_and_saveexec_b64 s[30:31], vcc
	s_cbranch_execz .LBB6_1128
; %bb.1123:                             ;   in Loop: Header=BB6_357 Depth=4
	v_and_b32_e32 v4, 0x7c, v28
	v_and_b32_e32 v30, 3, v28
	v_cmp_ne_u32_e32 vcc, s81, v4
                                        ; implicit-def: $vgpr4
	s_and_saveexec_b64 s[34:35], vcc
	s_xor_b64 s[34:35], exec, s[34:35]
	s_cbranch_execz .LBB6_1125
; %bb.1124:                             ;   in Loop: Header=BB6_357 Depth=4
	v_ffbh_u32_e32 v32, v30
	v_min_u32_e32 v32, 32, v32
	v_mov_b32_e32 v29, v34
	v_subrev_u32_e32 v33, 29, v32
	v_bfe_u32 v4, v28, 2, 5
	v_lshlrev_b64 v[28:29], v33, v[28:29]
	v_sub_u32_e32 v29, 30, v32
	v_cmp_eq_u32_e32 vcc, 0, v4
	v_cndmask_b32_e32 v4, v4, v29, vcc
	v_lshlrev_b32_e32 v29, 16, v1
	v_and_b32_e32 v28, 3, v28
	v_and_b32_e32 v29, 0x80000000, v29
	v_cndmask_b32_e32 v28, v30, v28, vcc
	v_lshl_add_u32 v4, v4, 23, v29
	v_lshl_or_b32 v4, v28, 21, v4
	v_add_u32_e32 v4, 0x38000000, v4
                                        ; implicit-def: $vgpr30
.LBB6_1125:                             ;   in Loop: Header=BB6_357 Depth=4
	s_andn2_saveexec_b64 s[34:35], s[34:35]
; %bb.1126:                             ;   in Loop: Header=BB6_357 Depth=4
	v_cmp_lt_i16_e32 vcc, -1, v1
	v_mov_b32_e32 v4, 0xff800000
	v_mov_b32_e32 v28, 0x7f800000
	v_cndmask_b32_e32 v4, v4, v28, vcc
	v_cmp_eq_u32_e32 vcc, 0, v30
	v_mov_b32_e32 v28, 0x7f800001
	v_cndmask_b32_e32 v4, v28, v4, vcc
; %bb.1127:                             ;   in Loop: Header=BB6_357 Depth=4
	s_or_b64 exec, exec, s[34:35]
.LBB6_1128:                             ;   in Loop: Header=BB6_357 Depth=4
	s_or_b64 exec, exec, s[30:31]
.LBB6_1129:                             ;   in Loop: Header=BB6_357 Depth=4
	s_or_b64 exec, exec, s[28:29]
	v_mul_f32_e32 v7, v7, v4
	v_and_b32_e32 v28, 0x7f800000, v7
	v_mov_b32_e32 v29, v34
	v_cmp_ne_u64_e32 vcc, s[76:77], v[28:29]
	v_and_b32_e32 v33, 0x7fffff, v7
                                        ; implicit-def: $vgpr4
                                        ; kill: killed $vgpr4
	s_and_saveexec_b64 s[28:29], vcc
	s_xor_b64 s[30:31], exec, s[28:29]
	s_cbranch_execz .LBB6_1143
; %bb.1130:                             ;   in Loop: Header=BB6_357 Depth=4
	v_and_b32_e32 v28, 0x7fffffff, v7
	v_mov_b32_e32 v29, v34
	v_cmp_gt_u64_e32 vcc, s[78:79], v[28:29]
	v_and_b32_sdwa v4, v7, s44 dst_sel:DWORD dst_unused:UNUSED_PAD src0_sel:BYTE_3 src1_sel:DWORD
                                        ; implicit-def: $vgpr28
                                        ; kill: killed $vgpr28
	s_and_saveexec_b64 s[28:29], vcc
	s_xor_b64 s[34:35], exec, s[28:29]
	s_cbranch_execz .LBB6_1140
; %bb.1131:                             ;   in Loop: Header=BB6_357 Depth=4
	v_mov_b32_e32 v28, 0
	v_cmp_ne_u32_e32 vcc, 0, v7
	buffer_store_dword v28, off, s[0:3], s33 offset:256 ; 4-byte Folded Spill
	s_and_saveexec_b64 s[36:37], vcc
	s_cbranch_execz .LBB6_1139
; %bb.1132:                             ;   in Loop: Header=BB6_357 Depth=4
	v_bfe_u32 v7, v7, 23, 8
	v_cmp_gt_u32_e64 s[28:29], s45, v7
	v_sub_u32_e32 v28, 0x71, v7
	v_cmp_eq_u32_e32 vcc, 0, v7
	v_cndmask_b32_e64 v28, 0, v28, s[28:29]
	v_mov_b32_e32 v30, 0x70
	v_cndmask_b32_e32 v35, v28, v30, vcc
	v_add_u32_e32 v30, 21, v35
	v_or_b32_e32 v29, 0x800000, v33
	v_lshlrev_b64 v[36:37], v30, -1
	v_cndmask_b32_e32 v28, v29, v33, vcc
	v_mov_b32_e32 v29, v34
	v_add_u32_e32 v30, 20, v35
	v_bfi_b32 v36, v36, 0, v28
	v_lshlrev_b64 v[38:39], v30, 1
	v_lshrrev_b64 v[28:29], v35, v[28:29]
	v_bfi_b32 v37, v37, 0, 0
	v_cmp_eq_u64_e64 s[28:29], v[36:37], v[38:39]
	v_mov_b32_e32 v30, v29
	v_mov_b32_e32 v29, v28
	s_and_saveexec_b64 s[38:39], s[28:29]
; %bb.1133:                             ;   in Loop: Header=BB6_357 Depth=4
	v_bfe_u32 v29, v28, 21, 1
	v_add_co_u32_e64 v29, s[28:29], v28, v29
	v_add_co_u32_e64 v29, s[28:29], -1, v29
; %bb.1134:                             ;   in Loop: Header=BB6_357 Depth=4
	s_or_b64 exec, exec, s[38:39]
	v_add_u32_e32 v7, 0xffffff81, v7
	v_mov_b32_e32 v30, 0xffffff82
	v_cndmask_b32_e32 v7, v7, v30, vcc
	v_lshrrev_b32_e32 v30, 23, v28
	v_add3_u32 v35, v35, v7, v30
	v_add_u32_e32 v30, 14, v35
	v_and_b32_e32 v7, 0x1fffff, v29
	v_add_u32_e32 v33, v7, v28
	v_cmp_ne_u32_e32 vcc, 0, v30
                                        ; implicit-def: $vgpr28_vgpr29
                                        ; implicit-def: $vgpr7
	s_and_saveexec_b64 s[28:29], vcc
	s_xor_b64 s[28:29], exec, s[28:29]
; %bb.1135:                             ;   in Loop: Header=BB6_357 Depth=4
	v_cmp_lt_u64_e32 vcc, s[88:89], v[33:34]
	v_add_u32_e32 v7, 15, v35
	v_cndmask_b32_e64 v28, 0, 1, vcc
	v_lshrrev_b64 v[28:29], v28, v[33:34]
	v_cndmask_b32_e32 v7, v30, v7, vcc
; %bb.1136:                             ;   in Loop: Header=BB6_357 Depth=4
	s_andn2_saveexec_b64 s[28:29], s[28:29]
; %bb.1137:                             ;   in Loop: Header=BB6_357 Depth=4
	v_mov_b32_e32 v28, v33
	v_mov_b32_e32 v29, v34
	v_bfe_u32 v7, v33, 23, 1
; %bb.1138:                             ;   in Loop: Header=BB6_357 Depth=4
	s_or_b64 exec, exec, s[28:29]
	v_lshrrev_b64 v[28:29], 21, v[28:29]
	v_cmp_gt_i32_e32 vcc, 32, v7
	v_cndmask_b32_e32 v29, 0, v29, vcc
	v_cndmask_b32_e32 v28, 3, v28, vcc
	v_cmp_eq_u32_e32 vcc, 0, v7
	v_min_i32_e32 v7, 31, v7
	v_cmp_eq_u64_e64 s[28:29], 0, v[28:29]
	v_lshlrev_b32_e32 v7, 2, v7
	v_and_b32_e32 v7, 0xfc, v7
	v_and_or_b32 v7, v28, 3, v7
	s_and_b64 s[28:29], vcc, s[28:29]
	v_cndmask_b32_e64 v7, v7, 0, s[28:29]
	v_or_b32_e32 v4, v7, v4
	buffer_store_dword v4, off, s[0:3], s33 offset:256 ; 4-byte Folded Spill
.LBB6_1139:                             ;   in Loop: Header=BB6_357 Depth=4
	s_or_b64 exec, exec, s[36:37]
                                        ; implicit-def: $vgpr4
.LBB6_1140:                             ;   in Loop: Header=BB6_357 Depth=4
	s_andn2_saveexec_b64 s[28:29], s[34:35]
	s_cbranch_execz .LBB6_1142
; %bb.1141:                             ;   in Loop: Header=BB6_357 Depth=4
	v_or_b32_e32 v4, 0x7b, v4
	buffer_store_dword v4, off, s[0:3], s33 offset:256 ; 4-byte Folded Spill
.LBB6_1142:                             ;   in Loop: Header=BB6_357 Depth=4
	s_or_b64 exec, exec, s[28:29]
                                        ; implicit-def: $vgpr7
.LBB6_1143:                             ;   in Loop: Header=BB6_357 Depth=4
	s_andn2_saveexec_b64 s[28:29], s[30:31]
	s_cbranch_execz .LBB6_1149
; %bb.1144:                             ;   in Loop: Header=BB6_357 Depth=4
	v_cmp_ne_u64_e32 vcc, 0, v[33:34]
                                        ; implicit-def: $vgpr4
                                        ; kill: killed $vgpr4
	s_and_saveexec_b64 s[30:31], vcc
	s_xor_b64 vcc, exec, s[30:31]
	s_cbranch_execz .LBB6_1146
; %bb.1145:                             ;   in Loop: Header=BB6_357 Depth=4
	v_or_b32_sdwa v4, v7, s83 dst_sel:DWORD dst_unused:UNUSED_PAD src0_sel:BYTE_3 src1_sel:DWORD
	buffer_store_dword v4, off, s[0:3], s33 offset:256 ; 4-byte Folded Spill
                                        ; implicit-def: $vgpr7
.LBB6_1146:                             ;   in Loop: Header=BB6_357 Depth=4
	s_andn2_saveexec_b64 s[30:31], vcc
	s_cbranch_execz .LBB6_1148
; %bb.1147:                             ;   in Loop: Header=BB6_357 Depth=4
	v_cmp_lt_i32_e32 vcc, -1, v7
	v_bfrev_b32_e32 v4, 0.5
	v_mov_b32_e32 v7, 0x7c
	v_cndmask_b32_e32 v4, v4, v7, vcc
	buffer_store_dword v4, off, s[0:3], s33 offset:256 ; 4-byte Folded Spill
.LBB6_1148:                             ;   in Loop: Header=BB6_357 Depth=4
	s_or_b64 exec, exec, s[30:31]
.LBB6_1149:                             ;   in Loop: Header=BB6_357 Depth=4
	s_or_b64 exec, exec, s[28:29]
	v_lshrrev_b32_e32 v7, 16, v25
	v_cmp_ne_u16_sdwa vcc, v7, v34 src0_sel:BYTE_0 src1_sel:DWORD
	v_mov_b32_e32 v4, 0
	v_mov_b32_e32 v28, 0
	s_and_saveexec_b64 s[28:29], vcc
	s_cbranch_execz .LBB6_1157
; %bb.1150:                             ;   in Loop: Header=BB6_357 Depth=4
	v_cmp_ne_u16_sdwa vcc, v7, s44 src0_sel:BYTE_0 src1_sel:DWORD
	v_bfrev_b32_e32 v28, 1
	s_and_saveexec_b64 s[30:31], vcc
	s_cbranch_execz .LBB6_1156
; %bb.1151:                             ;   in Loop: Header=BB6_357 Depth=4
	v_and_b32_e32 v28, 0x7c0000, v25
	v_bfe_u32 v29, v25, 16, 2
	v_cmp_ne_u32_e32 vcc, s9, v28
                                        ; implicit-def: $vgpr28
	s_and_saveexec_b64 s[34:35], vcc
	s_xor_b64 s[34:35], exec, s[34:35]
	s_cbranch_execz .LBB6_1153
; %bb.1152:                             ;   in Loop: Header=BB6_357 Depth=4
	v_ffbh_u32_e32 v30, v29
	v_min_u32_e32 v30, 32, v30
	v_subrev_u32_e32 v32, 29, v30
	s_waitcnt vmcnt(0)
	v_lshlrev_b64 v[35:36], v32, v[7:8]
	v_bfe_u32 v28, v25, 18, 5
	v_sub_u32_e32 v7, 30, v30
	v_and_b32_e32 v30, 3, v35
	v_cmp_eq_u32_e32 vcc, 0, v28
	v_cndmask_b32_e32 v7, v28, v7, vcc
	v_cndmask_b32_e32 v28, v29, v30, vcc
	v_lshlrev_b32_e32 v29, 8, v25
	v_and_b32_e32 v29, 0x80000000, v29
	v_lshl_add_u32 v7, v7, 23, v29
	v_lshl_or_b32 v7, v28, 21, v7
	v_add_u32_e32 v28, 0x38000000, v7
                                        ; implicit-def: $vgpr29
                                        ; implicit-def: $vgpr7
.LBB6_1153:                             ;   in Loop: Header=BB6_357 Depth=4
	s_andn2_saveexec_b64 s[34:35], s[34:35]
; %bb.1154:                             ;   in Loop: Header=BB6_357 Depth=4
	v_mov_b32_e32 v28, -1
	v_cmp_gt_i16_sdwa vcc, sext(v7), v28 src0_sel:BYTE_0 src1_sel:DWORD
	v_mov_b32_e32 v7, 0xff800000
	v_mov_b32_e32 v28, 0x7f800000
	v_cndmask_b32_e32 v7, v7, v28, vcc
	v_cmp_eq_u32_e32 vcc, 0, v29
	v_mov_b32_e32 v28, 0x7f800001
	v_cndmask_b32_e32 v28, v28, v7, vcc
; %bb.1155:                             ;   in Loop: Header=BB6_357 Depth=4
	s_or_b64 exec, exec, s[34:35]
.LBB6_1156:                             ;   in Loop: Header=BB6_357 Depth=4
	s_or_b64 exec, exec, s[30:31]
.LBB6_1157:                             ;   in Loop: Header=BB6_357 Depth=4
	s_or_b64 exec, exec, s[28:29]
	v_lshrrev_b32_e32 v7, 16, v1
	v_cmp_ne_u16_sdwa vcc, v7, v34 src0_sel:BYTE_0 src1_sel:DWORD
	s_and_saveexec_b64 s[28:29], vcc
	s_cbranch_execz .LBB6_1165
; %bb.1158:                             ;   in Loop: Header=BB6_357 Depth=4
	v_cmp_ne_u16_sdwa vcc, v7, s44 src0_sel:BYTE_0 src1_sel:DWORD
	v_bfrev_b32_e32 v4, 1
	s_and_saveexec_b64 s[30:31], vcc
	s_cbranch_execz .LBB6_1164
; %bb.1159:                             ;   in Loop: Header=BB6_357 Depth=4
	v_and_b32_e32 v4, 0x7c0000, v1
	v_bfe_u32 v29, v1, 16, 2
	v_cmp_ne_u32_e32 vcc, s9, v4
                                        ; implicit-def: $vgpr4
	s_and_saveexec_b64 s[34:35], vcc
	s_xor_b64 s[34:35], exec, s[34:35]
	s_cbranch_execz .LBB6_1161
; %bb.1160:                             ;   in Loop: Header=BB6_357 Depth=4
	v_ffbh_u32_e32 v30, v29
	v_min_u32_e32 v30, 32, v30
	v_subrev_u32_e32 v32, 29, v30
	s_waitcnt vmcnt(0)
	v_lshlrev_b64 v[35:36], v32, v[7:8]
	v_bfe_u32 v4, v1, 18, 5
	v_sub_u32_e32 v7, 30, v30
	v_and_b32_e32 v30, 3, v35
	v_cmp_eq_u32_e32 vcc, 0, v4
	v_cndmask_b32_e32 v4, v4, v7, vcc
	v_cndmask_b32_e32 v7, v29, v30, vcc
	v_lshlrev_b32_e32 v29, 8, v1
	v_and_b32_e32 v29, 0x80000000, v29
	v_lshl_add_u32 v4, v4, 23, v29
	v_lshl_or_b32 v4, v7, 21, v4
	v_add_u32_e32 v4, 0x38000000, v4
                                        ; implicit-def: $vgpr29
                                        ; implicit-def: $vgpr7
.LBB6_1161:                             ;   in Loop: Header=BB6_357 Depth=4
	s_andn2_saveexec_b64 s[34:35], s[34:35]
; %bb.1162:                             ;   in Loop: Header=BB6_357 Depth=4
	v_mov_b32_e32 v4, -1
	v_cmp_gt_i16_sdwa vcc, sext(v7), v4 src0_sel:BYTE_0 src1_sel:DWORD
	v_mov_b32_e32 v4, 0xff800000
	v_mov_b32_e32 v7, 0x7f800000
	v_cndmask_b32_e32 v4, v4, v7, vcc
	v_cmp_eq_u32_e32 vcc, 0, v29
	v_mov_b32_e32 v7, 0x7f800001
	v_cndmask_b32_e32 v4, v7, v4, vcc
; %bb.1163:                             ;   in Loop: Header=BB6_357 Depth=4
	s_or_b64 exec, exec, s[34:35]
.LBB6_1164:                             ;   in Loop: Header=BB6_357 Depth=4
	s_or_b64 exec, exec, s[30:31]
.LBB6_1165:                             ;   in Loop: Header=BB6_357 Depth=4
	s_or_b64 exec, exec, s[28:29]
	v_mul_f32_e32 v7, v28, v4
	v_and_b32_e32 v28, 0x7f800000, v7
	v_mov_b32_e32 v29, v34
	v_cmp_ne_u64_e32 vcc, s[76:77], v[28:29]
	v_and_b32_e32 v33, 0x7fffff, v7
                                        ; implicit-def: $vgpr59
	s_and_saveexec_b64 s[28:29], vcc
	s_xor_b64 s[30:31], exec, s[28:29]
	s_cbranch_execz .LBB6_1179
; %bb.1166:                             ;   in Loop: Header=BB6_357 Depth=4
	v_and_b32_e32 v28, 0x7fffffff, v7
	v_mov_b32_e32 v29, v34
	v_cmp_gt_u64_e32 vcc, s[78:79], v[28:29]
	v_and_b32_sdwa v4, v7, s44 dst_sel:DWORD dst_unused:UNUSED_PAD src0_sel:BYTE_3 src1_sel:DWORD
                                        ; implicit-def: $vgpr59
	s_and_saveexec_b64 s[28:29], vcc
	s_xor_b64 s[34:35], exec, s[28:29]
	s_cbranch_execz .LBB6_1176
; %bb.1167:                             ;   in Loop: Header=BB6_357 Depth=4
	v_mov_b32_e32 v59, 0
	v_cmp_ne_u32_e32 vcc, 0, v7
	s_and_saveexec_b64 s[36:37], vcc
	s_cbranch_execz .LBB6_1175
; %bb.1168:                             ;   in Loop: Header=BB6_357 Depth=4
	v_bfe_u32 v7, v7, 23, 8
	v_cmp_gt_u32_e64 s[28:29], s45, v7
	v_sub_u32_e32 v28, 0x71, v7
	v_cmp_eq_u32_e32 vcc, 0, v7
	v_cndmask_b32_e64 v28, 0, v28, s[28:29]
	v_mov_b32_e32 v30, 0x70
	v_cndmask_b32_e32 v35, v28, v30, vcc
	v_add_u32_e32 v30, 21, v35
	v_or_b32_e32 v29, 0x800000, v33
	v_lshlrev_b64 v[36:37], v30, -1
	v_cndmask_b32_e32 v28, v29, v33, vcc
	v_mov_b32_e32 v29, v34
	v_add_u32_e32 v30, 20, v35
	v_bfi_b32 v36, v36, 0, v28
	v_lshlrev_b64 v[38:39], v30, 1
	v_lshrrev_b64 v[28:29], v35, v[28:29]
	v_bfi_b32 v37, v37, 0, 0
	v_cmp_eq_u64_e64 s[28:29], v[36:37], v[38:39]
	v_mov_b32_e32 v30, v29
	v_mov_b32_e32 v29, v28
	s_and_saveexec_b64 s[38:39], s[28:29]
; %bb.1169:                             ;   in Loop: Header=BB6_357 Depth=4
	v_bfe_u32 v29, v28, 21, 1
	v_add_co_u32_e64 v29, s[28:29], v28, v29
	v_add_co_u32_e64 v29, s[28:29], -1, v29
; %bb.1170:                             ;   in Loop: Header=BB6_357 Depth=4
	s_or_b64 exec, exec, s[38:39]
	v_add_u32_e32 v7, 0xffffff81, v7
	v_mov_b32_e32 v30, 0xffffff82
	v_cndmask_b32_e32 v7, v7, v30, vcc
	v_lshrrev_b32_e32 v30, 23, v28
	v_add3_u32 v35, v35, v7, v30
	v_add_u32_e32 v30, 14, v35
	v_and_b32_e32 v7, 0x1fffff, v29
	v_add_u32_e32 v33, v7, v28
	v_cmp_ne_u32_e32 vcc, 0, v30
                                        ; implicit-def: $vgpr28_vgpr29
                                        ; implicit-def: $vgpr7
	s_and_saveexec_b64 s[28:29], vcc
	s_xor_b64 s[28:29], exec, s[28:29]
; %bb.1171:                             ;   in Loop: Header=BB6_357 Depth=4
	v_cmp_lt_u64_e32 vcc, s[88:89], v[33:34]
	v_add_u32_e32 v7, 15, v35
	v_cndmask_b32_e64 v28, 0, 1, vcc
	v_lshrrev_b64 v[28:29], v28, v[33:34]
	v_cndmask_b32_e32 v7, v30, v7, vcc
; %bb.1172:                             ;   in Loop: Header=BB6_357 Depth=4
	s_andn2_saveexec_b64 s[28:29], s[28:29]
; %bb.1173:                             ;   in Loop: Header=BB6_357 Depth=4
	v_mov_b32_e32 v28, v33
	v_mov_b32_e32 v29, v34
	v_bfe_u32 v7, v33, 23, 1
; %bb.1174:                             ;   in Loop: Header=BB6_357 Depth=4
	s_or_b64 exec, exec, s[28:29]
	v_lshrrev_b64 v[28:29], 21, v[28:29]
	v_cmp_gt_i32_e32 vcc, 32, v7
	v_cndmask_b32_e32 v29, 0, v29, vcc
	v_cndmask_b32_e32 v28, 3, v28, vcc
	v_cmp_eq_u32_e32 vcc, 0, v7
	v_min_i32_e32 v7, 31, v7
	v_cmp_eq_u64_e64 s[28:29], 0, v[28:29]
	v_lshlrev_b32_e32 v7, 2, v7
	v_and_b32_e32 v7, 0xfc, v7
	v_and_or_b32 v7, v28, 3, v7
	s_and_b64 s[28:29], vcc, s[28:29]
	v_cndmask_b32_e64 v7, v7, 0, s[28:29]
	v_or_b32_e32 v59, v7, v4
.LBB6_1175:                             ;   in Loop: Header=BB6_357 Depth=4
	s_or_b64 exec, exec, s[36:37]
                                        ; implicit-def: $vgpr4
.LBB6_1176:                             ;   in Loop: Header=BB6_357 Depth=4
	s_andn2_saveexec_b64 s[28:29], s[34:35]
; %bb.1177:                             ;   in Loop: Header=BB6_357 Depth=4
	v_or_b32_e32 v59, 0x7b, v4
; %bb.1178:                             ;   in Loop: Header=BB6_357 Depth=4
	s_or_b64 exec, exec, s[28:29]
                                        ; implicit-def: $vgpr7
.LBB6_1179:                             ;   in Loop: Header=BB6_357 Depth=4
	s_andn2_saveexec_b64 s[28:29], s[30:31]
	s_cbranch_execz .LBB6_1185
; %bb.1180:                             ;   in Loop: Header=BB6_357 Depth=4
	v_cmp_ne_u64_e32 vcc, 0, v[33:34]
                                        ; implicit-def: $vgpr59
	s_and_saveexec_b64 s[30:31], vcc
	s_xor_b64 vcc, exec, s[30:31]
; %bb.1181:                             ;   in Loop: Header=BB6_357 Depth=4
	v_or_b32_sdwa v59, v7, s83 dst_sel:DWORD dst_unused:UNUSED_PAD src0_sel:BYTE_3 src1_sel:DWORD
                                        ; implicit-def: $vgpr7
; %bb.1182:                             ;   in Loop: Header=BB6_357 Depth=4
	s_andn2_saveexec_b64 s[30:31], vcc
; %bb.1183:                             ;   in Loop: Header=BB6_357 Depth=4
	v_cmp_lt_i32_e32 vcc, -1, v7
	v_bfrev_b32_e32 v4, 0.5
	v_mov_b32_e32 v7, 0x7c
	v_cndmask_b32_e32 v59, v4, v7, vcc
; %bb.1184:                             ;   in Loop: Header=BB6_357 Depth=4
	s_or_b64 exec, exec, s[30:31]
.LBB6_1185:                             ;   in Loop: Header=BB6_357 Depth=4
	s_or_b64 exec, exec, s[28:29]
	v_cmp_lt_u64_e32 vcc, s[56:57], v[24:25]
	v_mov_b32_e32 v4, 0
	v_mov_b32_e32 v29, 0
	s_and_saveexec_b64 s[28:29], vcc
	s_cbranch_execz .LBB6_1193
; %bb.1186:                             ;   in Loop: Header=BB6_357 Depth=4
	v_lshrrev_b32_e32 v7, 24, v25
	v_cmp_ne_u32_e32 vcc, s44, v7
	v_bfrev_b32_e32 v29, 1
	s_and_saveexec_b64 s[30:31], vcc
	s_cbranch_execz .LBB6_1192
; %bb.1187:                             ;   in Loop: Header=BB6_357 Depth=4
	v_and_b32_e32 v28, 0x7c000000, v25
	v_bfe_u32 v30, v25, 24, 2
	v_cmp_ne_u32_e32 vcc, s8, v28
                                        ; implicit-def: $vgpr29
	s_and_saveexec_b64 s[34:35], vcc
	s_xor_b64 s[34:35], exec, s[34:35]
	s_cbranch_execz .LBB6_1189
; %bb.1188:                             ;   in Loop: Header=BB6_357 Depth=4
	v_ffbh_u32_e32 v29, v30
	v_min_u32_e32 v29, 32, v29
	v_subrev_u32_e32 v32, 29, v29
	s_waitcnt vmcnt(0)
	v_lshlrev_b64 v[35:36], v32, v[7:8]
	v_bfe_u32 v28, v25, 26, 5
	v_sub_u32_e32 v7, 30, v29
	v_and_b32_e32 v29, 3, v35
	v_cmp_eq_u32_e32 vcc, 0, v28
	v_cndmask_b32_e32 v7, v28, v7, vcc
	v_cndmask_b32_e32 v28, v30, v29, vcc
	v_and_b32_e32 v29, 0x80000000, v25
	v_lshl_add_u32 v7, v7, 23, v29
	v_lshl_or_b32 v7, v28, 21, v7
	v_add_u32_e32 v29, 0x38000000, v7
                                        ; implicit-def: $vgpr30
.LBB6_1189:                             ;   in Loop: Header=BB6_357 Depth=4
	s_andn2_saveexec_b64 s[34:35], s[34:35]
; %bb.1190:                             ;   in Loop: Header=BB6_357 Depth=4
	v_cmp_lt_i64_e32 vcc, -1, v[24:25]
	v_mov_b32_e32 v7, 0xff800000
	v_mov_b32_e32 v24, 0x7f800000
	v_cndmask_b32_e32 v7, v7, v24, vcc
	v_cmp_eq_u32_e32 vcc, 0, v30
	v_mov_b32_e32 v24, 0x7f800001
	v_cndmask_b32_e32 v29, v24, v7, vcc
; %bb.1191:                             ;   in Loop: Header=BB6_357 Depth=4
	s_or_b64 exec, exec, s[34:35]
.LBB6_1192:                             ;   in Loop: Header=BB6_357 Depth=4
	s_or_b64 exec, exec, s[30:31]
.LBB6_1193:                             ;   in Loop: Header=BB6_357 Depth=4
	s_or_b64 exec, exec, s[28:29]
	v_cmp_lt_u64_e32 vcc, s[56:57], v[0:1]
	s_and_saveexec_b64 s[28:29], vcc
	s_cbranch_execz .LBB6_1201
; %bb.1194:                             ;   in Loop: Header=BB6_357 Depth=4
	v_lshrrev_b32_e32 v7, 24, v1
	v_cmp_ne_u32_e32 vcc, s44, v7
	v_bfrev_b32_e32 v4, 1
	s_and_saveexec_b64 s[30:31], vcc
	s_cbranch_execz .LBB6_1200
; %bb.1195:                             ;   in Loop: Header=BB6_357 Depth=4
	v_and_b32_e32 v4, 0x7c000000, v1
	v_bfe_u32 v24, v1, 24, 2
	v_cmp_ne_u32_e32 vcc, s8, v4
                                        ; implicit-def: $vgpr4
	s_and_saveexec_b64 s[34:35], vcc
	s_xor_b64 s[34:35], exec, s[34:35]
	s_cbranch_execz .LBB6_1197
; %bb.1196:                             ;   in Loop: Header=BB6_357 Depth=4
	v_ffbh_u32_e32 v25, v24
	v_min_u32_e32 v25, 32, v25
	v_subrev_u32_e32 v28, 29, v25
	s_waitcnt vmcnt(0)
	v_lshlrev_b64 v[35:36], v28, v[7:8]
	v_bfe_u32 v4, v1, 26, 5
	v_sub_u32_e32 v7, 30, v25
	v_and_b32_e32 v25, 3, v35
	v_cmp_eq_u32_e32 vcc, 0, v4
	v_cndmask_b32_e32 v4, v4, v7, vcc
	v_cndmask_b32_e32 v7, v24, v25, vcc
	v_and_b32_e32 v24, 0x80000000, v1
	v_lshl_add_u32 v4, v4, 23, v24
	v_lshl_or_b32 v4, v7, 21, v4
	v_add_u32_e32 v4, 0x38000000, v4
                                        ; implicit-def: $vgpr24
.LBB6_1197:                             ;   in Loop: Header=BB6_357 Depth=4
	s_andn2_saveexec_b64 s[34:35], s[34:35]
; %bb.1198:                             ;   in Loop: Header=BB6_357 Depth=4
	v_cmp_lt_i64_e32 vcc, -1, v[0:1]
	v_mov_b32_e32 v0, 0xff800000
	v_mov_b32_e32 v1, 0x7f800000
	v_cndmask_b32_e32 v0, v0, v1, vcc
	v_cmp_eq_u32_e32 vcc, 0, v24
	v_mov_b32_e32 v1, 0x7f800001
	v_cndmask_b32_e32 v4, v1, v0, vcc
; %bb.1199:                             ;   in Loop: Header=BB6_357 Depth=4
	s_or_b64 exec, exec, s[34:35]
.LBB6_1200:                             ;   in Loop: Header=BB6_357 Depth=4
	s_or_b64 exec, exec, s[30:31]
.LBB6_1201:                             ;   in Loop: Header=BB6_357 Depth=4
	s_or_b64 exec, exec, s[28:29]
	v_mul_f32_e32 v0, v29, v4
	v_and_b32_e32 v24, 0x7f800000, v0
	v_mov_b32_e32 v25, v34
	v_cmp_ne_u64_e32 vcc, s[76:77], v[24:25]
	v_and_b32_e32 v33, 0x7fffff, v0
                                        ; implicit-def: $vgpr1
                                        ; kill: killed $vgpr1
	s_and_saveexec_b64 s[28:29], vcc
	s_xor_b64 s[30:31], exec, s[28:29]
	s_cbranch_execz .LBB6_1215
; %bb.1202:                             ;   in Loop: Header=BB6_357 Depth=4
	v_and_b32_e32 v24, 0x7fffffff, v0
	v_mov_b32_e32 v25, v34
	v_cmp_gt_u64_e32 vcc, s[78:79], v[24:25]
	v_and_b32_sdwa v4, v0, s44 dst_sel:DWORD dst_unused:UNUSED_PAD src0_sel:BYTE_3 src1_sel:DWORD
                                        ; implicit-def: $vgpr1
                                        ; kill: killed $vgpr1
	s_and_saveexec_b64 s[28:29], vcc
	s_xor_b64 s[34:35], exec, s[28:29]
	s_cbranch_execz .LBB6_1212
; %bb.1203:                             ;   in Loop: Header=BB6_357 Depth=4
	v_mov_b32_e32 v1, 0
	v_cmp_ne_u32_e32 vcc, 0, v0
	buffer_store_dword v1, off, s[0:3], s33 offset:264 ; 4-byte Folded Spill
	s_and_saveexec_b64 s[36:37], vcc
	s_cbranch_execz .LBB6_1211
; %bb.1204:                             ;   in Loop: Header=BB6_357 Depth=4
	v_bfe_u32 v7, v0, 23, 8
	v_cmp_gt_u32_e64 s[28:29], s45, v7
	v_sub_u32_e32 v0, 0x71, v7
	v_cmp_eq_u32_e32 vcc, 0, v7
	v_cndmask_b32_e64 v0, 0, v0, s[28:29]
	v_mov_b32_e32 v24, 0x70
	v_cndmask_b32_e32 v29, v0, v24, vcc
	v_add_u32_e32 v24, 21, v29
	v_or_b32_e32 v1, 0x800000, v33
	v_lshlrev_b64 v[24:25], v24, -1
	v_cndmask_b32_e32 v0, v1, v33, vcc
	v_mov_b32_e32 v1, v34
	v_add_u32_e32 v28, 20, v29
	v_bfi_b32 v24, v24, 0, v0
	v_lshlrev_b64 v[35:36], v28, 1
	v_lshrrev_b64 v[0:1], v29, v[0:1]
	v_bfi_b32 v25, v25, 0, 0
	v_cmp_eq_u64_e64 s[28:29], v[24:25], v[35:36]
	v_mov_b32_e32 v25, v1
	v_mov_b32_e32 v24, v0
	s_and_saveexec_b64 s[38:39], s[28:29]
; %bb.1205:                             ;   in Loop: Header=BB6_357 Depth=4
	v_bfe_u32 v1, v0, 21, 1
	v_add_co_u32_e64 v1, s[28:29], v0, v1
	v_add_co_u32_e64 v24, s[28:29], -1, v1
; %bb.1206:                             ;   in Loop: Header=BB6_357 Depth=4
	s_or_b64 exec, exec, s[38:39]
	v_add_u32_e32 v1, 0xffffff81, v7
	v_mov_b32_e32 v7, 0xffffff82
	v_cndmask_b32_e32 v1, v1, v7, vcc
	v_lshrrev_b32_e32 v7, 23, v0
	v_add3_u32 v29, v29, v1, v7
	v_add_u32_e32 v25, 14, v29
	v_and_b32_e32 v1, 0x1fffff, v24
	v_add_u32_e32 v33, v1, v0
	v_cmp_ne_u32_e32 vcc, 0, v25
                                        ; implicit-def: $vgpr0_vgpr1
                                        ; implicit-def: $vgpr7
	s_and_saveexec_b64 s[28:29], vcc
	s_xor_b64 s[28:29], exec, s[28:29]
; %bb.1207:                             ;   in Loop: Header=BB6_357 Depth=4
	v_cmp_lt_u64_e32 vcc, s[88:89], v[33:34]
	v_add_u32_e32 v0, 15, v29
	v_cndmask_b32_e32 v7, v25, v0, vcc
	v_cndmask_b32_e64 v0, 0, 1, vcc
	v_lshrrev_b64 v[0:1], v0, v[33:34]
; %bb.1208:                             ;   in Loop: Header=BB6_357 Depth=4
	s_andn2_saveexec_b64 s[28:29], s[28:29]
; %bb.1209:                             ;   in Loop: Header=BB6_357 Depth=4
	v_mov_b32_e32 v0, v33
	v_mov_b32_e32 v1, v34
	v_bfe_u32 v7, v33, 23, 1
; %bb.1210:                             ;   in Loop: Header=BB6_357 Depth=4
	s_or_b64 exec, exec, s[28:29]
	v_lshrrev_b64 v[0:1], 21, v[0:1]
	v_cmp_gt_i32_e32 vcc, 32, v7
	v_cndmask_b32_e32 v1, 0, v1, vcc
	v_cndmask_b32_e32 v0, 3, v0, vcc
	v_cmp_eq_u64_e64 s[28:29], 0, v[0:1]
	v_min_i32_e32 v1, 31, v7
	v_lshlrev_b32_e32 v1, 2, v1
	v_cmp_eq_u32_e32 vcc, 0, v7
	v_and_b32_e32 v1, 0xfc, v1
	v_and_or_b32 v0, v0, 3, v1
	s_and_b64 s[28:29], vcc, s[28:29]
	v_cndmask_b32_e64 v0, v0, 0, s[28:29]
	v_or_b32_e32 v0, v0, v4
	buffer_store_dword v0, off, s[0:3], s33 offset:264 ; 4-byte Folded Spill
.LBB6_1211:                             ;   in Loop: Header=BB6_357 Depth=4
	s_or_b64 exec, exec, s[36:37]
                                        ; implicit-def: $vgpr4
.LBB6_1212:                             ;   in Loop: Header=BB6_357 Depth=4
	s_andn2_saveexec_b64 s[28:29], s[34:35]
	s_cbranch_execz .LBB6_1214
; %bb.1213:                             ;   in Loop: Header=BB6_357 Depth=4
	v_or_b32_e32 v0, 0x7b, v4
	buffer_store_dword v0, off, s[0:3], s33 offset:264 ; 4-byte Folded Spill
.LBB6_1214:                             ;   in Loop: Header=BB6_357 Depth=4
	s_or_b64 exec, exec, s[28:29]
                                        ; implicit-def: $vgpr0
.LBB6_1215:                             ;   in Loop: Header=BB6_357 Depth=4
	s_andn2_saveexec_b64 s[28:29], s[30:31]
	s_cbranch_execz .LBB6_1221
; %bb.1216:                             ;   in Loop: Header=BB6_357 Depth=4
	v_cmp_ne_u64_e32 vcc, 0, v[33:34]
                                        ; implicit-def: $vgpr1
                                        ; kill: killed $vgpr1
	s_and_saveexec_b64 s[30:31], vcc
	s_xor_b64 vcc, exec, s[30:31]
	s_cbranch_execz .LBB6_1218
; %bb.1217:                             ;   in Loop: Header=BB6_357 Depth=4
	v_or_b32_sdwa v0, v0, s83 dst_sel:DWORD dst_unused:UNUSED_PAD src0_sel:BYTE_3 src1_sel:DWORD
	buffer_store_dword v0, off, s[0:3], s33 offset:264 ; 4-byte Folded Spill
                                        ; implicit-def: $vgpr0
.LBB6_1218:                             ;   in Loop: Header=BB6_357 Depth=4
	s_andn2_saveexec_b64 s[30:31], vcc
	s_cbranch_execz .LBB6_1220
; %bb.1219:                             ;   in Loop: Header=BB6_357 Depth=4
	v_cmp_lt_i32_e32 vcc, -1, v0
	v_bfrev_b32_e32 v0, 0.5
	v_mov_b32_e32 v1, 0x7c
	v_cndmask_b32_e32 v0, v0, v1, vcc
	buffer_store_dword v0, off, s[0:3], s33 offset:264 ; 4-byte Folded Spill
.LBB6_1220:                             ;   in Loop: Header=BB6_357 Depth=4
	s_or_b64 exec, exec, s[30:31]
.LBB6_1221:                             ;   in Loop: Header=BB6_357 Depth=4
	s_or_b64 exec, exec, s[28:29]
	v_cmp_ne_u16_sdwa vcc, v26, v34 src0_sel:BYTE_0 src1_sel:DWORD
	v_mov_b32_e32 v0, 0
	v_mov_b32_e32 v1, 0
	s_and_saveexec_b64 s[28:29], vcc
	s_cbranch_execz .LBB6_1229
; %bb.1222:                             ;   in Loop: Header=BB6_357 Depth=4
	v_cmp_ne_u16_sdwa vcc, sext(v26), s80 src0_sel:BYTE_0 src1_sel:DWORD
	v_bfrev_b32_e32 v1, 1
	s_and_saveexec_b64 s[30:31], vcc
	s_cbranch_execz .LBB6_1228
; %bb.1223:                             ;   in Loop: Header=BB6_357 Depth=4
	v_and_b32_e32 v1, 0x7c, v26
	v_and_b32_e32 v4, 3, v26
	v_cmp_ne_u32_e32 vcc, s81, v1
                                        ; implicit-def: $vgpr1
	s_and_saveexec_b64 s[34:35], vcc
	s_xor_b64 s[34:35], exec, s[34:35]
	s_cbranch_execz .LBB6_1225
; %bb.1224:                             ;   in Loop: Header=BB6_357 Depth=4
	v_ffbh_u32_e32 v7, v4
	v_min_u32_e32 v7, 32, v7
	v_bfe_u32 v1, v26, 2, 5
	v_subrev_u32_e32 v24, 29, v7
	v_lshlrev_b64 v[24:25], v24, v[26:27]
	v_sub_u32_e32 v7, 30, v7
	v_cmp_eq_u32_e32 vcc, 0, v1
	v_cndmask_b32_e32 v1, v1, v7, vcc
	v_lshlrev_b32_e32 v7, 24, v26
	v_and_b32_e32 v24, 3, v24
	v_and_b32_e32 v7, 0x80000000, v7
	v_cndmask_b32_e32 v4, v4, v24, vcc
	v_lshl_add_u32 v1, v1, 23, v7
	v_lshl_or_b32 v1, v4, 21, v1
	v_add_u32_e32 v1, 0x38000000, v1
                                        ; implicit-def: $vgpr4
.LBB6_1225:                             ;   in Loop: Header=BB6_357 Depth=4
	s_andn2_saveexec_b64 s[34:35], s[34:35]
; %bb.1226:                             ;   in Loop: Header=BB6_357 Depth=4
	v_mov_b32_e32 v1, -1
	v_cmp_gt_i16_sdwa vcc, sext(v26), v1 src0_sel:BYTE_0 src1_sel:DWORD
	v_mov_b32_e32 v1, 0xff800000
	v_mov_b32_e32 v7, 0x7f800000
	v_cndmask_b32_e32 v1, v1, v7, vcc
	v_cmp_eq_u32_e32 vcc, 0, v4
	v_mov_b32_e32 v4, 0x7f800001
	v_cndmask_b32_e32 v1, v4, v1, vcc
; %bb.1227:                             ;   in Loop: Header=BB6_357 Depth=4
	s_or_b64 exec, exec, s[34:35]
.LBB6_1228:                             ;   in Loop: Header=BB6_357 Depth=4
	s_or_b64 exec, exec, s[30:31]
.LBB6_1229:                             ;   in Loop: Header=BB6_357 Depth=4
	s_or_b64 exec, exec, s[28:29]
	v_cmp_ne_u16_sdwa vcc, v2, v34 src0_sel:BYTE_0 src1_sel:DWORD
	s_and_saveexec_b64 s[28:29], vcc
	s_cbranch_execz .LBB6_1237
; %bb.1230:                             ;   in Loop: Header=BB6_357 Depth=4
	v_cmp_ne_u16_sdwa vcc, sext(v2), s80 src0_sel:BYTE_0 src1_sel:DWORD
	v_bfrev_b32_e32 v0, 1
	s_and_saveexec_b64 s[30:31], vcc
	s_cbranch_execz .LBB6_1236
; %bb.1231:                             ;   in Loop: Header=BB6_357 Depth=4
	v_and_b32_e32 v0, 0x7c, v2
	v_and_b32_e32 v4, 3, v2
	v_cmp_ne_u32_e32 vcc, s81, v0
                                        ; implicit-def: $vgpr0
	s_and_saveexec_b64 s[34:35], vcc
	s_xor_b64 s[34:35], exec, s[34:35]
	s_cbranch_execz .LBB6_1233
; %bb.1232:                             ;   in Loop: Header=BB6_357 Depth=4
	v_ffbh_u32_e32 v7, v4
	v_min_u32_e32 v7, 32, v7
	v_bfe_u32 v0, v2, 2, 5
	v_subrev_u32_e32 v24, 29, v7
	v_lshlrev_b64 v[24:25], v24, v[2:3]
	v_sub_u32_e32 v7, 30, v7
	v_cmp_eq_u32_e32 vcc, 0, v0
	v_cndmask_b32_e32 v0, v0, v7, vcc
	v_lshlrev_b32_e32 v7, 24, v2
	v_and_b32_e32 v24, 3, v24
	v_and_b32_e32 v7, 0x80000000, v7
	v_cndmask_b32_e32 v4, v4, v24, vcc
	v_lshl_add_u32 v0, v0, 23, v7
	v_lshl_or_b32 v0, v4, 21, v0
	v_add_u32_e32 v0, 0x38000000, v0
                                        ; implicit-def: $vgpr4
.LBB6_1233:                             ;   in Loop: Header=BB6_357 Depth=4
	s_andn2_saveexec_b64 s[34:35], s[34:35]
; %bb.1234:                             ;   in Loop: Header=BB6_357 Depth=4
	v_mov_b32_e32 v0, -1
	v_cmp_gt_i16_sdwa vcc, sext(v2), v0 src0_sel:BYTE_0 src1_sel:DWORD
	v_mov_b32_e32 v0, 0xff800000
	v_mov_b32_e32 v7, 0x7f800000
	v_cndmask_b32_e32 v0, v0, v7, vcc
	v_cmp_eq_u32_e32 vcc, 0, v4
	v_mov_b32_e32 v4, 0x7f800001
	v_cndmask_b32_e32 v0, v4, v0, vcc
; %bb.1235:                             ;   in Loop: Header=BB6_357 Depth=4
	s_or_b64 exec, exec, s[34:35]
.LBB6_1236:                             ;   in Loop: Header=BB6_357 Depth=4
	s_or_b64 exec, exec, s[30:31]
.LBB6_1237:                             ;   in Loop: Header=BB6_357 Depth=4
	s_or_b64 exec, exec, s[28:29]
	v_mul_f32_e32 v0, v1, v0
	v_and_b32_e32 v24, 0x7f800000, v0
	v_mov_b32_e32 v25, v34
	v_cmp_ne_u64_e32 vcc, s[76:77], v[24:25]
	v_and_b32_e32 v33, 0x7fffff, v0
                                        ; implicit-def: $vgpr7
	s_and_saveexec_b64 s[28:29], vcc
	s_xor_b64 s[30:31], exec, s[28:29]
	s_cbranch_execz .LBB6_1251
; %bb.1238:                             ;   in Loop: Header=BB6_357 Depth=4
	v_and_b32_e32 v24, 0x7fffffff, v0
	v_mov_b32_e32 v25, v34
	v_cmp_gt_u64_e32 vcc, s[78:79], v[24:25]
	v_and_b32_sdwa v4, v0, s44 dst_sel:DWORD dst_unused:UNUSED_PAD src0_sel:BYTE_3 src1_sel:DWORD
                                        ; implicit-def: $vgpr7
	s_and_saveexec_b64 s[28:29], vcc
	s_xor_b64 s[34:35], exec, s[28:29]
	s_cbranch_execz .LBB6_1248
; %bb.1239:                             ;   in Loop: Header=BB6_357 Depth=4
	v_mov_b32_e32 v7, 0
	v_cmp_ne_u32_e32 vcc, 0, v0
	s_and_saveexec_b64 s[36:37], vcc
	s_cbranch_execz .LBB6_1247
; %bb.1240:                             ;   in Loop: Header=BB6_357 Depth=4
	v_bfe_u32 v29, v0, 23, 8
	v_cmp_gt_u32_e64 s[28:29], s45, v29
	v_sub_u32_e32 v0, 0x71, v29
	v_cmp_eq_u32_e32 vcc, 0, v29
	v_cndmask_b32_e64 v0, 0, v0, s[28:29]
	v_mov_b32_e32 v7, 0x70
	v_cndmask_b32_e32 v30, v0, v7, vcc
	v_add_u32_e32 v7, 21, v30
	v_or_b32_e32 v1, 0x800000, v33
	v_lshlrev_b64 v[24:25], v7, -1
	v_cndmask_b32_e32 v0, v1, v33, vcc
	v_mov_b32_e32 v1, v34
	v_add_u32_e32 v7, 20, v30
	v_bfi_b32 v24, v24, 0, v0
	v_lshlrev_b64 v[35:36], v7, 1
	v_lshrrev_b64 v[0:1], v30, v[0:1]
	v_bfi_b32 v25, v25, 0, 0
	v_cmp_eq_u64_e64 s[28:29], v[24:25], v[35:36]
	v_mov_b32_e32 v25, v1
	v_mov_b32_e32 v24, v0
	s_and_saveexec_b64 s[38:39], s[28:29]
; %bb.1241:                             ;   in Loop: Header=BB6_357 Depth=4
	v_bfe_u32 v1, v0, 21, 1
	v_add_co_u32_e64 v1, s[28:29], v0, v1
	v_add_co_u32_e64 v24, s[28:29], -1, v1
; %bb.1242:                             ;   in Loop: Header=BB6_357 Depth=4
	s_or_b64 exec, exec, s[38:39]
	v_add_u32_e32 v1, 0xffffff81, v29
	v_mov_b32_e32 v7, 0xffffff82
	v_cndmask_b32_e32 v1, v1, v7, vcc
	v_lshrrev_b32_e32 v7, 23, v0
	v_add3_u32 v29, v30, v1, v7
	v_add_u32_e32 v25, 14, v29
	v_and_b32_e32 v1, 0x1fffff, v24
	v_add_u32_e32 v33, v1, v0
	v_cmp_ne_u32_e32 vcc, 0, v25
                                        ; implicit-def: $vgpr0_vgpr1
                                        ; implicit-def: $vgpr24
	s_and_saveexec_b64 s[28:29], vcc
	s_xor_b64 s[28:29], exec, s[28:29]
; %bb.1243:                             ;   in Loop: Header=BB6_357 Depth=4
	v_cmp_lt_u64_e32 vcc, s[88:89], v[33:34]
	v_add_u32_e32 v0, 15, v29
	v_cndmask_b32_e32 v24, v25, v0, vcc
	v_cndmask_b32_e64 v0, 0, 1, vcc
	v_lshrrev_b64 v[0:1], v0, v[33:34]
; %bb.1244:                             ;   in Loop: Header=BB6_357 Depth=4
	s_andn2_saveexec_b64 s[28:29], s[28:29]
; %bb.1245:                             ;   in Loop: Header=BB6_357 Depth=4
	v_mov_b32_e32 v0, v33
	v_mov_b32_e32 v1, v34
	v_bfe_u32 v24, v33, 23, 1
; %bb.1246:                             ;   in Loop: Header=BB6_357 Depth=4
	s_or_b64 exec, exec, s[28:29]
	v_lshrrev_b64 v[0:1], 21, v[0:1]
	v_cmp_gt_i32_e32 vcc, 32, v24
	v_cndmask_b32_e32 v1, 0, v1, vcc
	v_cndmask_b32_e32 v0, 3, v0, vcc
	v_cmp_eq_u64_e64 s[28:29], 0, v[0:1]
	v_min_i32_e32 v1, 31, v24
	v_lshlrev_b32_e32 v1, 2, v1
	v_cmp_eq_u32_e32 vcc, 0, v24
	v_and_b32_e32 v1, 0xfc, v1
	v_and_or_b32 v0, v0, 3, v1
	s_and_b64 s[28:29], vcc, s[28:29]
	v_cndmask_b32_e64 v0, v0, 0, s[28:29]
	v_or_b32_e32 v7, v0, v4
.LBB6_1247:                             ;   in Loop: Header=BB6_357 Depth=4
	s_or_b64 exec, exec, s[36:37]
                                        ; implicit-def: $vgpr4
.LBB6_1248:                             ;   in Loop: Header=BB6_357 Depth=4
	s_andn2_saveexec_b64 s[28:29], s[34:35]
; %bb.1249:                             ;   in Loop: Header=BB6_357 Depth=4
	v_or_b32_e32 v7, 0x7b, v4
; %bb.1250:                             ;   in Loop: Header=BB6_357 Depth=4
	s_or_b64 exec, exec, s[28:29]
                                        ; implicit-def: $vgpr0
.LBB6_1251:                             ;   in Loop: Header=BB6_357 Depth=4
	s_andn2_saveexec_b64 s[28:29], s[30:31]
	s_cbranch_execz .LBB6_1257
; %bb.1252:                             ;   in Loop: Header=BB6_357 Depth=4
	v_cmp_ne_u64_e32 vcc, 0, v[33:34]
                                        ; implicit-def: $vgpr7
	s_and_saveexec_b64 s[30:31], vcc
	s_xor_b64 vcc, exec, s[30:31]
; %bb.1253:                             ;   in Loop: Header=BB6_357 Depth=4
	v_or_b32_sdwa v7, v0, s83 dst_sel:DWORD dst_unused:UNUSED_PAD src0_sel:BYTE_3 src1_sel:DWORD
                                        ; implicit-def: $vgpr0
; %bb.1254:                             ;   in Loop: Header=BB6_357 Depth=4
	s_andn2_saveexec_b64 s[30:31], vcc
; %bb.1255:                             ;   in Loop: Header=BB6_357 Depth=4
	v_cmp_lt_i32_e32 vcc, -1, v0
	v_bfrev_b32_e32 v0, 0.5
	v_mov_b32_e32 v1, 0x7c
	v_cndmask_b32_e32 v7, v0, v1, vcc
; %bb.1256:                             ;   in Loop: Header=BB6_357 Depth=4
	s_or_b64 exec, exec, s[30:31]
.LBB6_1257:                             ;   in Loop: Header=BB6_357 Depth=4
	s_or_b64 exec, exec, s[28:29]
	v_lshrrev_b16_e32 v0, 8, v26
	v_cmp_ne_u16_e32 vcc, 0, v0
	v_mov_b32_e32 v4, 0
	v_mov_b32_e32 v24, 0
	s_and_saveexec_b64 s[28:29], vcc
	s_cbranch_execz .LBB6_1265
; %bb.1258:                             ;   in Loop: Header=BB6_357 Depth=4
	v_cmp_ne_u16_e32 vcc, s44, v0
	v_bfrev_b32_e32 v24, 1
	s_and_saveexec_b64 s[30:31], vcc
	s_cbranch_execz .LBB6_1264
; %bb.1259:                             ;   in Loop: Header=BB6_357 Depth=4
	v_and_b32_e32 v1, 0x7c, v0
	v_and_b32_e32 v25, 3, v0
	v_cmp_ne_u32_e32 vcc, s81, v1
                                        ; implicit-def: $vgpr24
	s_and_saveexec_b64 s[34:35], vcc
	s_xor_b64 s[34:35], exec, s[34:35]
	s_cbranch_execz .LBB6_1261
; %bb.1260:                             ;   in Loop: Header=BB6_357 Depth=4
	v_ffbh_u32_e32 v28, v25
	v_min_u32_e32 v28, 32, v28
	v_mov_b32_e32 v1, v34
	v_subrev_u32_e32 v29, 29, v28
	v_bfe_u32 v24, v0, 2, 5
	v_lshlrev_b64 v[0:1], v29, v[0:1]
	v_sub_u32_e32 v1, 30, v28
	v_cmp_eq_u32_e32 vcc, 0, v24
	v_cndmask_b32_e32 v1, v24, v1, vcc
	v_lshlrev_b32_e32 v24, 16, v26
	v_and_b32_e32 v0, 3, v0
	v_and_b32_e32 v24, 0x80000000, v24
	v_cndmask_b32_e32 v0, v25, v0, vcc
	v_lshl_add_u32 v1, v1, 23, v24
	v_lshl_or_b32 v0, v0, 21, v1
	v_add_u32_e32 v24, 0x38000000, v0
                                        ; implicit-def: $vgpr25
.LBB6_1261:                             ;   in Loop: Header=BB6_357 Depth=4
	s_andn2_saveexec_b64 s[34:35], s[34:35]
; %bb.1262:                             ;   in Loop: Header=BB6_357 Depth=4
	v_cmp_lt_i16_e32 vcc, -1, v26
	v_mov_b32_e32 v0, 0xff800000
	v_mov_b32_e32 v1, 0x7f800000
	v_cndmask_b32_e32 v0, v0, v1, vcc
	v_cmp_eq_u32_e32 vcc, 0, v25
	v_mov_b32_e32 v1, 0x7f800001
	v_cndmask_b32_e32 v24, v1, v0, vcc
; %bb.1263:                             ;   in Loop: Header=BB6_357 Depth=4
	s_or_b64 exec, exec, s[34:35]
.LBB6_1264:                             ;   in Loop: Header=BB6_357 Depth=4
	s_or_b64 exec, exec, s[30:31]
.LBB6_1265:                             ;   in Loop: Header=BB6_357 Depth=4
	s_or_b64 exec, exec, s[28:29]
	v_lshrrev_b16_e32 v0, 8, v2
	v_cmp_ne_u16_e32 vcc, 0, v0
	s_and_saveexec_b64 s[28:29], vcc
	s_cbranch_execz .LBB6_1273
; %bb.1266:                             ;   in Loop: Header=BB6_357 Depth=4
	v_cmp_ne_u16_e32 vcc, s44, v0
	v_bfrev_b32_e32 v4, 1
	s_and_saveexec_b64 s[30:31], vcc
	s_cbranch_execz .LBB6_1272
; %bb.1267:                             ;   in Loop: Header=BB6_357 Depth=4
	v_and_b32_e32 v1, 0x7c, v0
	v_and_b32_e32 v25, 3, v0
	v_cmp_ne_u32_e32 vcc, s81, v1
                                        ; implicit-def: $vgpr4
	s_and_saveexec_b64 s[34:35], vcc
	s_xor_b64 s[34:35], exec, s[34:35]
	s_cbranch_execz .LBB6_1269
; %bb.1268:                             ;   in Loop: Header=BB6_357 Depth=4
	v_ffbh_u32_e32 v28, v25
	v_min_u32_e32 v28, 32, v28
	v_mov_b32_e32 v1, v34
	v_subrev_u32_e32 v29, 29, v28
	v_bfe_u32 v4, v0, 2, 5
	v_lshlrev_b64 v[0:1], v29, v[0:1]
	v_sub_u32_e32 v1, 30, v28
	v_cmp_eq_u32_e32 vcc, 0, v4
	v_cndmask_b32_e32 v1, v4, v1, vcc
	v_lshlrev_b32_e32 v4, 16, v2
	v_and_b32_e32 v0, 3, v0
	v_and_b32_e32 v4, 0x80000000, v4
	v_cndmask_b32_e32 v0, v25, v0, vcc
	v_lshl_add_u32 v1, v1, 23, v4
	v_lshl_or_b32 v0, v0, 21, v1
	v_add_u32_e32 v4, 0x38000000, v0
                                        ; implicit-def: $vgpr25
.LBB6_1269:                             ;   in Loop: Header=BB6_357 Depth=4
	s_andn2_saveexec_b64 s[34:35], s[34:35]
; %bb.1270:                             ;   in Loop: Header=BB6_357 Depth=4
	v_cmp_lt_i16_e32 vcc, -1, v2
	v_mov_b32_e32 v0, 0xff800000
	v_mov_b32_e32 v1, 0x7f800000
	v_cndmask_b32_e32 v0, v0, v1, vcc
	v_cmp_eq_u32_e32 vcc, 0, v25
	v_mov_b32_e32 v1, 0x7f800001
	v_cndmask_b32_e32 v4, v1, v0, vcc
; %bb.1271:                             ;   in Loop: Header=BB6_357 Depth=4
	s_or_b64 exec, exec, s[34:35]
.LBB6_1272:                             ;   in Loop: Header=BB6_357 Depth=4
	s_or_b64 exec, exec, s[30:31]
.LBB6_1273:                             ;   in Loop: Header=BB6_357 Depth=4
	s_or_b64 exec, exec, s[28:29]
	v_mul_f32_e32 v0, v24, v4
	v_and_b32_e32 v24, 0x7f800000, v0
	v_mov_b32_e32 v25, v34
	v_cmp_ne_u64_e32 vcc, s[76:77], v[24:25]
	v_and_b32_e32 v33, 0x7fffff, v0
                                        ; implicit-def: $vgpr30
	s_and_saveexec_b64 s[28:29], vcc
	s_xor_b64 s[30:31], exec, s[28:29]
	s_cbranch_execz .LBB6_1287
; %bb.1274:                             ;   in Loop: Header=BB6_357 Depth=4
	v_and_b32_e32 v24, 0x7fffffff, v0
	v_mov_b32_e32 v25, v34
	v_cmp_gt_u64_e32 vcc, s[78:79], v[24:25]
	v_and_b32_sdwa v4, v0, s44 dst_sel:DWORD dst_unused:UNUSED_PAD src0_sel:BYTE_3 src1_sel:DWORD
                                        ; implicit-def: $vgpr30
	s_and_saveexec_b64 s[28:29], vcc
	s_xor_b64 s[34:35], exec, s[28:29]
	s_cbranch_execz .LBB6_1284
; %bb.1275:                             ;   in Loop: Header=BB6_357 Depth=4
	v_mov_b32_e32 v30, 0
	v_cmp_ne_u32_e32 vcc, 0, v0
	s_and_saveexec_b64 s[36:37], vcc
	s_cbranch_execz .LBB6_1283
; %bb.1276:                             ;   in Loop: Header=BB6_357 Depth=4
	v_bfe_u32 v30, v0, 23, 8
	v_cmp_gt_u32_e64 s[28:29], s45, v30
	v_sub_u32_e32 v0, 0x71, v30
	v_cmp_eq_u32_e32 vcc, 0, v30
	v_cndmask_b32_e64 v0, 0, v0, s[28:29]
	v_mov_b32_e32 v24, 0x70
	v_cndmask_b32_e32 v35, v0, v24, vcc
	v_add_u32_e32 v24, 21, v35
	v_or_b32_e32 v1, 0x800000, v33
	v_lshlrev_b64 v[24:25], v24, -1
	v_cndmask_b32_e32 v0, v1, v33, vcc
	v_mov_b32_e32 v1, v34
	v_add_u32_e32 v28, 20, v35
	v_bfi_b32 v24, v24, 0, v0
	v_lshlrev_b64 v[36:37], v28, 1
	v_lshrrev_b64 v[0:1], v35, v[0:1]
	v_bfi_b32 v25, v25, 0, 0
	v_cmp_eq_u64_e64 s[28:29], v[24:25], v[36:37]
	v_mov_b32_e32 v25, v1
	v_mov_b32_e32 v24, v0
	s_and_saveexec_b64 s[38:39], s[28:29]
; %bb.1277:                             ;   in Loop: Header=BB6_357 Depth=4
	v_bfe_u32 v1, v0, 21, 1
	v_add_co_u32_e64 v1, s[28:29], v0, v1
	v_add_co_u32_e64 v24, s[28:29], -1, v1
; %bb.1278:                             ;   in Loop: Header=BB6_357 Depth=4
	s_or_b64 exec, exec, s[38:39]
	v_add_u32_e32 v1, 0xffffff81, v30
	v_mov_b32_e32 v25, 0xffffff82
	v_cndmask_b32_e32 v1, v1, v25, vcc
	v_lshrrev_b32_e32 v25, 23, v0
	v_add3_u32 v30, v35, v1, v25
	v_add_u32_e32 v25, 14, v30
	v_and_b32_e32 v1, 0x1fffff, v24
	v_add_u32_e32 v33, v1, v0
	v_cmp_ne_u32_e32 vcc, 0, v25
                                        ; implicit-def: $vgpr0_vgpr1
                                        ; implicit-def: $vgpr24
	s_and_saveexec_b64 s[28:29], vcc
	s_xor_b64 s[28:29], exec, s[28:29]
; %bb.1279:                             ;   in Loop: Header=BB6_357 Depth=4
	v_cmp_lt_u64_e32 vcc, s[88:89], v[33:34]
	v_add_u32_e32 v0, 15, v30
	v_cndmask_b32_e32 v24, v25, v0, vcc
	v_cndmask_b32_e64 v0, 0, 1, vcc
	v_lshrrev_b64 v[0:1], v0, v[33:34]
; %bb.1280:                             ;   in Loop: Header=BB6_357 Depth=4
	s_andn2_saveexec_b64 s[28:29], s[28:29]
; %bb.1281:                             ;   in Loop: Header=BB6_357 Depth=4
	v_mov_b32_e32 v0, v33
	v_mov_b32_e32 v1, v34
	v_bfe_u32 v24, v33, 23, 1
; %bb.1282:                             ;   in Loop: Header=BB6_357 Depth=4
	s_or_b64 exec, exec, s[28:29]
	v_lshrrev_b64 v[0:1], 21, v[0:1]
	v_cmp_gt_i32_e32 vcc, 32, v24
	v_cndmask_b32_e32 v1, 0, v1, vcc
	v_cndmask_b32_e32 v0, 3, v0, vcc
	v_cmp_eq_u64_e64 s[28:29], 0, v[0:1]
	v_min_i32_e32 v1, 31, v24
	v_lshlrev_b32_e32 v1, 2, v1
	v_cmp_eq_u32_e32 vcc, 0, v24
	v_and_b32_e32 v1, 0xfc, v1
	v_and_or_b32 v0, v0, 3, v1
	s_and_b64 s[28:29], vcc, s[28:29]
	v_cndmask_b32_e64 v0, v0, 0, s[28:29]
	v_or_b32_e32 v30, v0, v4
.LBB6_1283:                             ;   in Loop: Header=BB6_357 Depth=4
	s_or_b64 exec, exec, s[36:37]
                                        ; implicit-def: $vgpr4
.LBB6_1284:                             ;   in Loop: Header=BB6_357 Depth=4
	s_andn2_saveexec_b64 s[28:29], s[34:35]
; %bb.1285:                             ;   in Loop: Header=BB6_357 Depth=4
	v_or_b32_e32 v30, 0x7b, v4
; %bb.1286:                             ;   in Loop: Header=BB6_357 Depth=4
	s_or_b64 exec, exec, s[28:29]
                                        ; implicit-def: $vgpr0
.LBB6_1287:                             ;   in Loop: Header=BB6_357 Depth=4
	s_andn2_saveexec_b64 s[28:29], s[30:31]
	s_cbranch_execz .LBB6_1293
; %bb.1288:                             ;   in Loop: Header=BB6_357 Depth=4
	v_cmp_ne_u64_e32 vcc, 0, v[33:34]
                                        ; implicit-def: $vgpr30
	s_and_saveexec_b64 s[30:31], vcc
	s_xor_b64 vcc, exec, s[30:31]
; %bb.1289:                             ;   in Loop: Header=BB6_357 Depth=4
	v_or_b32_sdwa v30, v0, s83 dst_sel:DWORD dst_unused:UNUSED_PAD src0_sel:BYTE_3 src1_sel:DWORD
                                        ; implicit-def: $vgpr0
; %bb.1290:                             ;   in Loop: Header=BB6_357 Depth=4
	s_andn2_saveexec_b64 s[30:31], vcc
; %bb.1291:                             ;   in Loop: Header=BB6_357 Depth=4
	v_cmp_lt_i32_e32 vcc, -1, v0
	v_bfrev_b32_e32 v0, 0.5
	v_mov_b32_e32 v1, 0x7c
	v_cndmask_b32_e32 v30, v0, v1, vcc
; %bb.1292:                             ;   in Loop: Header=BB6_357 Depth=4
	s_or_b64 exec, exec, s[30:31]
.LBB6_1293:                             ;   in Loop: Header=BB6_357 Depth=4
	s_or_b64 exec, exec, s[28:29]
	v_lshrrev_b32_e32 v0, 16, v26
	v_cmp_ne_u16_sdwa vcc, v0, v34 src0_sel:BYTE_0 src1_sel:DWORD
	v_mov_b32_e32 v1, 0
	v_mov_b32_e32 v4, 0
	s_and_saveexec_b64 s[28:29], vcc
	s_cbranch_execz .LBB6_1301
; %bb.1294:                             ;   in Loop: Header=BB6_357 Depth=4
	v_cmp_ne_u16_sdwa vcc, v0, s44 src0_sel:BYTE_0 src1_sel:DWORD
	v_bfrev_b32_e32 v4, 1
	s_and_saveexec_b64 s[30:31], vcc
	s_cbranch_execz .LBB6_1300
; %bb.1295:                             ;   in Loop: Header=BB6_357 Depth=4
	v_and_b32_e32 v4, 0x7c0000, v26
	v_bfe_u32 v24, v26, 16, 2
	v_cmp_ne_u32_e32 vcc, s9, v4
                                        ; implicit-def: $vgpr4
	s_and_saveexec_b64 s[34:35], vcc
	s_xor_b64 s[34:35], exec, s[34:35]
	s_cbranch_execz .LBB6_1297
; %bb.1296:                             ;   in Loop: Header=BB6_357 Depth=4
	v_ffbh_u32_e32 v25, v24
	v_min_u32_e32 v25, 32, v25
	v_subrev_u32_e32 v28, 29, v25
	v_lshlrev_b64 v[35:36], v28, v[0:1]
	v_bfe_u32 v4, v26, 18, 5
	v_sub_u32_e32 v0, 30, v25
	v_and_b32_e32 v25, 3, v35
	v_cmp_eq_u32_e32 vcc, 0, v4
	v_cndmask_b32_e32 v0, v4, v0, vcc
	v_cndmask_b32_e32 v4, v24, v25, vcc
	v_lshlrev_b32_e32 v24, 8, v26
	v_and_b32_e32 v24, 0x80000000, v24
	v_lshl_add_u32 v0, v0, 23, v24
	v_lshl_or_b32 v0, v4, 21, v0
	v_add_u32_e32 v4, 0x38000000, v0
                                        ; implicit-def: $vgpr24
                                        ; implicit-def: $vgpr0
.LBB6_1297:                             ;   in Loop: Header=BB6_357 Depth=4
	s_andn2_saveexec_b64 s[34:35], s[34:35]
; %bb.1298:                             ;   in Loop: Header=BB6_357 Depth=4
	v_mov_b32_e32 v4, -1
	v_cmp_gt_i16_sdwa vcc, sext(v0), v4 src0_sel:BYTE_0 src1_sel:DWORD
	v_mov_b32_e32 v0, 0xff800000
	v_mov_b32_e32 v4, 0x7f800000
	v_cndmask_b32_e32 v0, v0, v4, vcc
	v_cmp_eq_u32_e32 vcc, 0, v24
	v_mov_b32_e32 v4, 0x7f800001
	v_cndmask_b32_e32 v4, v4, v0, vcc
; %bb.1299:                             ;   in Loop: Header=BB6_357 Depth=4
	s_or_b64 exec, exec, s[34:35]
.LBB6_1300:                             ;   in Loop: Header=BB6_357 Depth=4
	s_or_b64 exec, exec, s[30:31]
.LBB6_1301:                             ;   in Loop: Header=BB6_357 Depth=4
	s_or_b64 exec, exec, s[28:29]
	v_lshrrev_b32_e32 v0, 16, v2
	v_cmp_ne_u16_sdwa vcc, v0, v34 src0_sel:BYTE_0 src1_sel:DWORD
	s_and_saveexec_b64 s[28:29], vcc
	s_cbranch_execz .LBB6_1309
; %bb.1302:                             ;   in Loop: Header=BB6_357 Depth=4
	v_cmp_ne_u16_sdwa vcc, v0, s44 src0_sel:BYTE_0 src1_sel:DWORD
	v_bfrev_b32_e32 v1, 1
	s_and_saveexec_b64 s[30:31], vcc
	s_cbranch_execz .LBB6_1308
; %bb.1303:                             ;   in Loop: Header=BB6_357 Depth=4
	v_and_b32_e32 v1, 0x7c0000, v2
	v_bfe_u32 v24, v2, 16, 2
	v_cmp_ne_u32_e32 vcc, s9, v1
                                        ; implicit-def: $vgpr1
	s_and_saveexec_b64 s[34:35], vcc
	s_xor_b64 s[34:35], exec, s[34:35]
	s_cbranch_execz .LBB6_1305
; %bb.1304:                             ;   in Loop: Header=BB6_357 Depth=4
	v_ffbh_u32_e32 v1, v24
	v_min_u32_e32 v28, 32, v1
	v_subrev_u32_e32 v1, 29, v28
	v_lshlrev_b64 v[0:1], v1, v[0:1]
	v_bfe_u32 v25, v2, 18, 5
	v_and_b32_e32 v0, 3, v0
	v_cmp_eq_u32_e32 vcc, 0, v25
	v_sub_u32_e32 v1, 30, v28
	v_cndmask_b32_e32 v0, v24, v0, vcc
	v_lshlrev_b32_e32 v24, 8, v2
	v_cndmask_b32_e32 v1, v25, v1, vcc
	v_and_b32_e32 v24, 0x80000000, v24
	v_lshl_add_u32 v1, v1, 23, v24
	v_lshl_or_b32 v0, v0, 21, v1
	v_add_u32_e32 v1, 0x38000000, v0
                                        ; implicit-def: $vgpr24
                                        ; implicit-def: $vgpr0
.LBB6_1305:                             ;   in Loop: Header=BB6_357 Depth=4
	s_andn2_saveexec_b64 s[34:35], s[34:35]
; %bb.1306:                             ;   in Loop: Header=BB6_357 Depth=4
	v_mov_b32_e32 v1, -1
	v_cmp_gt_i16_sdwa vcc, sext(v0), v1 src0_sel:BYTE_0 src1_sel:DWORD
	v_mov_b32_e32 v0, 0xff800000
	v_mov_b32_e32 v1, 0x7f800000
	v_cndmask_b32_e32 v0, v0, v1, vcc
	v_cmp_eq_u32_e32 vcc, 0, v24
	v_mov_b32_e32 v1, 0x7f800001
	v_cndmask_b32_e32 v1, v1, v0, vcc
; %bb.1307:                             ;   in Loop: Header=BB6_357 Depth=4
	s_or_b64 exec, exec, s[34:35]
.LBB6_1308:                             ;   in Loop: Header=BB6_357 Depth=4
	s_or_b64 exec, exec, s[30:31]
.LBB6_1309:                             ;   in Loop: Header=BB6_357 Depth=4
	s_or_b64 exec, exec, s[28:29]
	v_mul_f32_e32 v0, v4, v1
	v_and_b32_e32 v24, 0x7f800000, v0
	v_mov_b32_e32 v25, v34
	v_cmp_ne_u64_e32 vcc, s[76:77], v[24:25]
	v_and_b32_e32 v33, 0x7fffff, v0
                                        ; implicit-def: $vgpr60
	s_and_saveexec_b64 s[28:29], vcc
	s_xor_b64 s[30:31], exec, s[28:29]
	s_cbranch_execz .LBB6_1323
; %bb.1310:                             ;   in Loop: Header=BB6_357 Depth=4
	v_and_b32_e32 v24, 0x7fffffff, v0
	v_mov_b32_e32 v25, v34
	v_cmp_gt_u64_e32 vcc, s[78:79], v[24:25]
	v_and_b32_sdwa v4, v0, s44 dst_sel:DWORD dst_unused:UNUSED_PAD src0_sel:BYTE_3 src1_sel:DWORD
                                        ; implicit-def: $vgpr60
	s_and_saveexec_b64 s[28:29], vcc
	s_xor_b64 s[34:35], exec, s[28:29]
	s_cbranch_execz .LBB6_1320
; %bb.1311:                             ;   in Loop: Header=BB6_357 Depth=4
	v_mov_b32_e32 v60, 0
	v_cmp_ne_u32_e32 vcc, 0, v0
	s_and_saveexec_b64 s[36:37], vcc
	s_cbranch_execz .LBB6_1319
; %bb.1312:                             ;   in Loop: Header=BB6_357 Depth=4
	v_bfe_u32 v35, v0, 23, 8
	v_cmp_gt_u32_e64 s[28:29], s45, v35
	v_sub_u32_e32 v0, 0x71, v35
	v_cmp_eq_u32_e32 vcc, 0, v35
	v_cndmask_b32_e64 v0, 0, v0, s[28:29]
	v_mov_b32_e32 v24, 0x70
	v_cndmask_b32_e32 v36, v0, v24, vcc
	v_add_u32_e32 v24, 21, v36
	v_or_b32_e32 v1, 0x800000, v33
	v_lshlrev_b64 v[24:25], v24, -1
	v_cndmask_b32_e32 v0, v1, v33, vcc
	v_mov_b32_e32 v1, v34
	v_add_u32_e32 v28, 20, v36
	v_bfi_b32 v24, v24, 0, v0
	v_lshlrev_b64 v[37:38], v28, 1
	v_lshrrev_b64 v[0:1], v36, v[0:1]
	v_bfi_b32 v25, v25, 0, 0
	v_cmp_eq_u64_e64 s[28:29], v[24:25], v[37:38]
	v_mov_b32_e32 v25, v1
	v_mov_b32_e32 v24, v0
	s_and_saveexec_b64 s[38:39], s[28:29]
; %bb.1313:                             ;   in Loop: Header=BB6_357 Depth=4
	v_bfe_u32 v1, v0, 21, 1
	v_add_co_u32_e64 v1, s[28:29], v0, v1
	v_add_co_u32_e64 v24, s[28:29], -1, v1
; %bb.1314:                             ;   in Loop: Header=BB6_357 Depth=4
	s_or_b64 exec, exec, s[38:39]
	v_add_u32_e32 v1, 0xffffff81, v35
	v_mov_b32_e32 v25, 0xffffff82
	v_cndmask_b32_e32 v1, v1, v25, vcc
	v_lshrrev_b32_e32 v25, 23, v0
	v_add3_u32 v35, v36, v1, v25
	v_add_u32_e32 v25, 14, v35
	v_and_b32_e32 v1, 0x1fffff, v24
	v_add_u32_e32 v33, v1, v0
	v_cmp_ne_u32_e32 vcc, 0, v25
                                        ; implicit-def: $vgpr0_vgpr1
                                        ; implicit-def: $vgpr24
	s_and_saveexec_b64 s[28:29], vcc
	s_xor_b64 s[28:29], exec, s[28:29]
; %bb.1315:                             ;   in Loop: Header=BB6_357 Depth=4
	v_cmp_lt_u64_e32 vcc, s[88:89], v[33:34]
	v_add_u32_e32 v0, 15, v35
	v_cndmask_b32_e32 v24, v25, v0, vcc
	v_cndmask_b32_e64 v0, 0, 1, vcc
	v_lshrrev_b64 v[0:1], v0, v[33:34]
; %bb.1316:                             ;   in Loop: Header=BB6_357 Depth=4
	s_andn2_saveexec_b64 s[28:29], s[28:29]
; %bb.1317:                             ;   in Loop: Header=BB6_357 Depth=4
	v_mov_b32_e32 v0, v33
	v_mov_b32_e32 v1, v34
	v_bfe_u32 v24, v33, 23, 1
; %bb.1318:                             ;   in Loop: Header=BB6_357 Depth=4
	s_or_b64 exec, exec, s[28:29]
	v_lshrrev_b64 v[0:1], 21, v[0:1]
	v_cmp_gt_i32_e32 vcc, 32, v24
	v_cndmask_b32_e32 v1, 0, v1, vcc
	v_cndmask_b32_e32 v0, 3, v0, vcc
	v_cmp_eq_u64_e64 s[28:29], 0, v[0:1]
	v_min_i32_e32 v1, 31, v24
	v_lshlrev_b32_e32 v1, 2, v1
	v_cmp_eq_u32_e32 vcc, 0, v24
	v_and_b32_e32 v1, 0xfc, v1
	v_and_or_b32 v0, v0, 3, v1
	s_and_b64 s[28:29], vcc, s[28:29]
	v_cndmask_b32_e64 v0, v0, 0, s[28:29]
	v_or_b32_e32 v60, v0, v4
.LBB6_1319:                             ;   in Loop: Header=BB6_357 Depth=4
	s_or_b64 exec, exec, s[36:37]
                                        ; implicit-def: $vgpr4
.LBB6_1320:                             ;   in Loop: Header=BB6_357 Depth=4
	s_andn2_saveexec_b64 s[28:29], s[34:35]
; %bb.1321:                             ;   in Loop: Header=BB6_357 Depth=4
	v_or_b32_e32 v60, 0x7b, v4
; %bb.1322:                             ;   in Loop: Header=BB6_357 Depth=4
	s_or_b64 exec, exec, s[28:29]
                                        ; implicit-def: $vgpr0
.LBB6_1323:                             ;   in Loop: Header=BB6_357 Depth=4
	s_andn2_saveexec_b64 s[28:29], s[30:31]
	s_cbranch_execz .LBB6_1329
; %bb.1324:                             ;   in Loop: Header=BB6_357 Depth=4
	v_cmp_ne_u64_e32 vcc, 0, v[33:34]
                                        ; implicit-def: $vgpr60
	s_and_saveexec_b64 s[30:31], vcc
	s_xor_b64 vcc, exec, s[30:31]
; %bb.1325:                             ;   in Loop: Header=BB6_357 Depth=4
	v_or_b32_sdwa v60, v0, s83 dst_sel:DWORD dst_unused:UNUSED_PAD src0_sel:BYTE_3 src1_sel:DWORD
                                        ; implicit-def: $vgpr0
; %bb.1326:                             ;   in Loop: Header=BB6_357 Depth=4
	s_andn2_saveexec_b64 s[30:31], vcc
; %bb.1327:                             ;   in Loop: Header=BB6_357 Depth=4
	v_cmp_lt_i32_e32 vcc, -1, v0
	v_bfrev_b32_e32 v0, 0.5
	v_mov_b32_e32 v1, 0x7c
	v_cndmask_b32_e32 v60, v0, v1, vcc
; %bb.1328:                             ;   in Loop: Header=BB6_357 Depth=4
	s_or_b64 exec, exec, s[30:31]
.LBB6_1329:                             ;   in Loop: Header=BB6_357 Depth=4
	s_or_b64 exec, exec, s[28:29]
	v_cmp_lt_u32_e32 vcc, s57, v26
	v_mov_b32_e32 v1, 0
	v_mov_b32_e32 v4, 0
	s_and_saveexec_b64 s[28:29], vcc
	s_cbranch_execz .LBB6_1337
; %bb.1330:                             ;   in Loop: Header=BB6_357 Depth=4
	v_lshrrev_b32_e32 v0, 24, v26
	v_cmp_ne_u32_e32 vcc, s44, v0
	v_bfrev_b32_e32 v4, 1
	s_and_saveexec_b64 s[30:31], vcc
	s_cbranch_execz .LBB6_1336
; %bb.1331:                             ;   in Loop: Header=BB6_357 Depth=4
	v_and_b32_e32 v4, 0x7c000000, v26
	v_bfe_u32 v24, v26, 24, 2
	v_cmp_ne_u32_e32 vcc, s8, v4
                                        ; implicit-def: $vgpr4
	s_and_saveexec_b64 s[34:35], vcc
	s_xor_b64 s[34:35], exec, s[34:35]
	s_cbranch_execz .LBB6_1333
; %bb.1332:                             ;   in Loop: Header=BB6_357 Depth=4
	v_ffbh_u32_e32 v25, v24
	v_min_u32_e32 v25, 32, v25
	v_subrev_u32_e32 v28, 29, v25
	v_lshlrev_b64 v[35:36], v28, v[0:1]
	v_bfe_u32 v4, v26, 26, 5
	v_sub_u32_e32 v0, 30, v25
	v_and_b32_e32 v25, 3, v35
	v_cmp_eq_u32_e32 vcc, 0, v4
	v_cndmask_b32_e32 v0, v4, v0, vcc
	v_cndmask_b32_e32 v4, v24, v25, vcc
	v_and_b32_e32 v24, 0x80000000, v26
	v_lshl_add_u32 v0, v0, 23, v24
	v_lshl_or_b32 v0, v4, 21, v0
	v_add_u32_e32 v4, 0x38000000, v0
                                        ; implicit-def: $vgpr24
.LBB6_1333:                             ;   in Loop: Header=BB6_357 Depth=4
	s_andn2_saveexec_b64 s[34:35], s[34:35]
; %bb.1334:                             ;   in Loop: Header=BB6_357 Depth=4
	v_cmp_lt_i32_e32 vcc, -1, v26
	v_mov_b32_e32 v0, 0xff800000
	v_mov_b32_e32 v4, 0x7f800000
	v_cndmask_b32_e32 v0, v0, v4, vcc
	v_cmp_eq_u32_e32 vcc, 0, v24
	v_mov_b32_e32 v4, 0x7f800001
	v_cndmask_b32_e32 v4, v4, v0, vcc
; %bb.1335:                             ;   in Loop: Header=BB6_357 Depth=4
	s_or_b64 exec, exec, s[34:35]
.LBB6_1336:                             ;   in Loop: Header=BB6_357 Depth=4
	s_or_b64 exec, exec, s[30:31]
.LBB6_1337:                             ;   in Loop: Header=BB6_357 Depth=4
	s_or_b64 exec, exec, s[28:29]
	v_cmp_lt_u32_e32 vcc, s57, v2
	s_and_saveexec_b64 s[28:29], vcc
	s_cbranch_execz .LBB6_1345
; %bb.1338:                             ;   in Loop: Header=BB6_357 Depth=4
	v_lshrrev_b32_e32 v0, 24, v2
	v_cmp_ne_u32_e32 vcc, s44, v0
	v_bfrev_b32_e32 v1, 1
	s_and_saveexec_b64 s[30:31], vcc
	s_cbranch_execz .LBB6_1344
; %bb.1339:                             ;   in Loop: Header=BB6_357 Depth=4
	v_and_b32_e32 v1, 0x7c000000, v2
	v_bfe_u32 v24, v2, 24, 2
	v_cmp_ne_u32_e32 vcc, s8, v1
                                        ; implicit-def: $vgpr1
	s_and_saveexec_b64 s[34:35], vcc
	s_xor_b64 s[34:35], exec, s[34:35]
	s_cbranch_execz .LBB6_1341
; %bb.1340:                             ;   in Loop: Header=BB6_357 Depth=4
	v_ffbh_u32_e32 v1, v24
	v_min_u32_e32 v28, 32, v1
	v_subrev_u32_e32 v1, 29, v28
	v_lshlrev_b64 v[0:1], v1, v[0:1]
	v_bfe_u32 v25, v2, 26, 5
	v_sub_u32_e32 v1, 30, v28
	v_and_b32_e32 v0, 3, v0
	v_cmp_eq_u32_e32 vcc, 0, v25
	v_cndmask_b32_e32 v1, v25, v1, vcc
	v_cndmask_b32_e32 v0, v24, v0, vcc
	v_and_b32_e32 v24, 0x80000000, v2
	v_lshl_add_u32 v1, v1, 23, v24
	v_lshl_or_b32 v0, v0, 21, v1
	v_add_u32_e32 v1, 0x38000000, v0
                                        ; implicit-def: $vgpr24
.LBB6_1341:                             ;   in Loop: Header=BB6_357 Depth=4
	s_andn2_saveexec_b64 s[34:35], s[34:35]
; %bb.1342:                             ;   in Loop: Header=BB6_357 Depth=4
	v_cmp_lt_i32_e32 vcc, -1, v2
	v_mov_b32_e32 v0, 0xff800000
	v_mov_b32_e32 v1, 0x7f800000
	v_cndmask_b32_e32 v0, v0, v1, vcc
	v_cmp_eq_u32_e32 vcc, 0, v24
	v_mov_b32_e32 v1, 0x7f800001
	v_cndmask_b32_e32 v1, v1, v0, vcc
; %bb.1343:                             ;   in Loop: Header=BB6_357 Depth=4
	s_or_b64 exec, exec, s[34:35]
.LBB6_1344:                             ;   in Loop: Header=BB6_357 Depth=4
	s_or_b64 exec, exec, s[30:31]
.LBB6_1345:                             ;   in Loop: Header=BB6_357 Depth=4
	s_or_b64 exec, exec, s[28:29]
	v_mul_f32_e32 v0, v4, v1
	v_and_b32_e32 v24, 0x7f800000, v0
	v_mov_b32_e32 v25, v34
	v_cmp_ne_u64_e32 vcc, s[76:77], v[24:25]
	v_and_b32_e32 v33, 0x7fffff, v0
                                        ; implicit-def: $vgpr61
	s_and_saveexec_b64 s[28:29], vcc
	s_xor_b64 s[30:31], exec, s[28:29]
	s_cbranch_execz .LBB6_1359
; %bb.1346:                             ;   in Loop: Header=BB6_357 Depth=4
	v_and_b32_e32 v24, 0x7fffffff, v0
	v_mov_b32_e32 v25, v34
	v_cmp_gt_u64_e32 vcc, s[78:79], v[24:25]
	v_and_b32_sdwa v4, v0, s44 dst_sel:DWORD dst_unused:UNUSED_PAD src0_sel:BYTE_3 src1_sel:DWORD
                                        ; implicit-def: $vgpr61
	s_and_saveexec_b64 s[28:29], vcc
	s_xor_b64 s[34:35], exec, s[28:29]
	s_cbranch_execz .LBB6_1356
; %bb.1347:                             ;   in Loop: Header=BB6_357 Depth=4
	v_mov_b32_e32 v61, 0
	v_cmp_ne_u32_e32 vcc, 0, v0
	s_and_saveexec_b64 s[36:37], vcc
	s_cbranch_execz .LBB6_1355
; %bb.1348:                             ;   in Loop: Header=BB6_357 Depth=4
	v_bfe_u32 v35, v0, 23, 8
	v_cmp_gt_u32_e64 s[28:29], s45, v35
	v_sub_u32_e32 v0, 0x71, v35
	v_cmp_eq_u32_e32 vcc, 0, v35
	v_cndmask_b32_e64 v0, 0, v0, s[28:29]
	v_mov_b32_e32 v24, 0x70
	v_cndmask_b32_e32 v36, v0, v24, vcc
	v_add_u32_e32 v24, 21, v36
	v_or_b32_e32 v1, 0x800000, v33
	v_lshlrev_b64 v[24:25], v24, -1
	v_cndmask_b32_e32 v0, v1, v33, vcc
	v_mov_b32_e32 v1, v34
	v_add_u32_e32 v28, 20, v36
	v_bfi_b32 v24, v24, 0, v0
	v_lshlrev_b64 v[37:38], v28, 1
	v_lshrrev_b64 v[0:1], v36, v[0:1]
	v_bfi_b32 v25, v25, 0, 0
	v_cmp_eq_u64_e64 s[28:29], v[24:25], v[37:38]
	v_mov_b32_e32 v25, v1
	v_mov_b32_e32 v24, v0
	s_and_saveexec_b64 s[38:39], s[28:29]
; %bb.1349:                             ;   in Loop: Header=BB6_357 Depth=4
	v_bfe_u32 v1, v0, 21, 1
	v_add_co_u32_e64 v1, s[28:29], v0, v1
	v_add_co_u32_e64 v24, s[28:29], -1, v1
; %bb.1350:                             ;   in Loop: Header=BB6_357 Depth=4
	s_or_b64 exec, exec, s[38:39]
	v_add_u32_e32 v1, 0xffffff81, v35
	v_mov_b32_e32 v25, 0xffffff82
	v_cndmask_b32_e32 v1, v1, v25, vcc
	v_lshrrev_b32_e32 v25, 23, v0
	v_add3_u32 v35, v36, v1, v25
	v_add_u32_e32 v25, 14, v35
	v_and_b32_e32 v1, 0x1fffff, v24
	v_add_u32_e32 v33, v1, v0
	v_cmp_ne_u32_e32 vcc, 0, v25
                                        ; implicit-def: $vgpr0_vgpr1
                                        ; implicit-def: $vgpr24
	s_and_saveexec_b64 s[28:29], vcc
	s_xor_b64 s[28:29], exec, s[28:29]
; %bb.1351:                             ;   in Loop: Header=BB6_357 Depth=4
	v_cmp_lt_u64_e32 vcc, s[88:89], v[33:34]
	v_add_u32_e32 v0, 15, v35
	v_cndmask_b32_e32 v24, v25, v0, vcc
	v_cndmask_b32_e64 v0, 0, 1, vcc
	v_lshrrev_b64 v[0:1], v0, v[33:34]
; %bb.1352:                             ;   in Loop: Header=BB6_357 Depth=4
	s_andn2_saveexec_b64 s[28:29], s[28:29]
; %bb.1353:                             ;   in Loop: Header=BB6_357 Depth=4
	v_mov_b32_e32 v0, v33
	v_mov_b32_e32 v1, v34
	v_bfe_u32 v24, v33, 23, 1
; %bb.1354:                             ;   in Loop: Header=BB6_357 Depth=4
	s_or_b64 exec, exec, s[28:29]
	v_lshrrev_b64 v[0:1], 21, v[0:1]
	v_cmp_gt_i32_e32 vcc, 32, v24
	v_cndmask_b32_e32 v1, 0, v1, vcc
	v_cndmask_b32_e32 v0, 3, v0, vcc
	v_cmp_eq_u64_e64 s[28:29], 0, v[0:1]
	v_min_i32_e32 v1, 31, v24
	v_lshlrev_b32_e32 v1, 2, v1
	v_cmp_eq_u32_e32 vcc, 0, v24
	v_and_b32_e32 v1, 0xfc, v1
	v_and_or_b32 v0, v0, 3, v1
	s_and_b64 s[28:29], vcc, s[28:29]
	v_cndmask_b32_e64 v0, v0, 0, s[28:29]
	v_or_b32_e32 v61, v0, v4
.LBB6_1355:                             ;   in Loop: Header=BB6_357 Depth=4
	s_or_b64 exec, exec, s[36:37]
                                        ; implicit-def: $vgpr4
.LBB6_1356:                             ;   in Loop: Header=BB6_357 Depth=4
	s_andn2_saveexec_b64 s[28:29], s[34:35]
; %bb.1357:                             ;   in Loop: Header=BB6_357 Depth=4
	v_or_b32_e32 v61, 0x7b, v4
; %bb.1358:                             ;   in Loop: Header=BB6_357 Depth=4
	s_or_b64 exec, exec, s[28:29]
                                        ; implicit-def: $vgpr0
.LBB6_1359:                             ;   in Loop: Header=BB6_357 Depth=4
	s_andn2_saveexec_b64 s[28:29], s[30:31]
	s_cbranch_execz .LBB6_1365
; %bb.1360:                             ;   in Loop: Header=BB6_357 Depth=4
	v_cmp_ne_u64_e32 vcc, 0, v[33:34]
                                        ; implicit-def: $vgpr61
	s_and_saveexec_b64 s[30:31], vcc
	s_xor_b64 vcc, exec, s[30:31]
; %bb.1361:                             ;   in Loop: Header=BB6_357 Depth=4
	v_or_b32_sdwa v61, v0, s83 dst_sel:DWORD dst_unused:UNUSED_PAD src0_sel:BYTE_3 src1_sel:DWORD
                                        ; implicit-def: $vgpr0
; %bb.1362:                             ;   in Loop: Header=BB6_357 Depth=4
	s_andn2_saveexec_b64 s[30:31], vcc
; %bb.1363:                             ;   in Loop: Header=BB6_357 Depth=4
	v_cmp_lt_i32_e32 vcc, -1, v0
	v_bfrev_b32_e32 v0, 0.5
	v_mov_b32_e32 v1, 0x7c
	v_cndmask_b32_e32 v61, v0, v1, vcc
; %bb.1364:                             ;   in Loop: Header=BB6_357 Depth=4
	s_or_b64 exec, exec, s[30:31]
.LBB6_1365:                             ;   in Loop: Header=BB6_357 Depth=4
	s_or_b64 exec, exec, s[28:29]
	v_mov_b32_e32 v33, v27
	v_cmp_ne_u16_sdwa vcc, v27, v34 src0_sel:BYTE_0 src1_sel:DWORD
	v_mov_b32_e32 v1, 0
	v_mov_b32_e32 v0, 0
	s_and_saveexec_b64 s[28:29], vcc
	s_cbranch_execz .LBB6_1373
; %bb.1366:                             ;   in Loop: Header=BB6_357 Depth=4
	v_cmp_ne_u16_sdwa vcc, v27, s44 src0_sel:BYTE_0 src1_sel:DWORD
	v_bfrev_b32_e32 v0, 1
	s_and_saveexec_b64 s[30:31], vcc
	s_cbranch_execz .LBB6_1372
; %bb.1367:                             ;   in Loop: Header=BB6_357 Depth=4
	v_and_b32_e32 v0, 0x7c, v27
	v_and_b32_e32 v4, 3, v27
	v_cmp_ne_u32_e32 vcc, s81, v0
                                        ; implicit-def: $vgpr0
	s_and_saveexec_b64 s[34:35], vcc
	s_xor_b64 s[34:35], exec, s[34:35]
	s_cbranch_execz .LBB6_1369
; %bb.1368:                             ;   in Loop: Header=BB6_357 Depth=4
	v_ffbh_u32_e32 v24, v4
	v_min_u32_e32 v28, 32, v24
	v_subrev_u32_e32 v24, 29, v28
	v_lshlrev_b64 v[24:25], v24, v[33:34]
	v_bfe_u32 v0, v27, 2, 5
	v_and_b32_e32 v24, 3, v24
	v_cmp_eq_u32_e32 vcc, 0, v0
	v_sub_u32_e32 v25, 30, v28
	v_cndmask_b32_e32 v4, v4, v24, vcc
	v_lshlrev_b32_e32 v24, 24, v27
	v_cndmask_b32_e32 v0, v0, v25, vcc
	v_and_b32_e32 v24, 0x80000000, v24
	v_lshl_add_u32 v0, v0, 23, v24
	v_lshl_or_b32 v0, v4, 21, v0
	v_add_u32_e32 v0, 0x38000000, v0
                                        ; implicit-def: $vgpr4
.LBB6_1369:                             ;   in Loop: Header=BB6_357 Depth=4
	s_andn2_saveexec_b64 s[34:35], s[34:35]
; %bb.1370:                             ;   in Loop: Header=BB6_357 Depth=4
	v_mov_b32_e32 v0, -1
	v_cmp_gt_i16_sdwa vcc, sext(v27), v0 src0_sel:BYTE_0 src1_sel:DWORD
	v_mov_b32_e32 v0, 0xff800000
	v_mov_b32_e32 v24, 0x7f800000
	v_cndmask_b32_e32 v0, v0, v24, vcc
	v_cmp_eq_u32_e32 vcc, 0, v4
	v_mov_b32_e32 v4, 0x7f800001
	v_cndmask_b32_e32 v0, v4, v0, vcc
; %bb.1371:                             ;   in Loop: Header=BB6_357 Depth=4
	s_or_b64 exec, exec, s[34:35]
.LBB6_1372:                             ;   in Loop: Header=BB6_357 Depth=4
	s_or_b64 exec, exec, s[30:31]
.LBB6_1373:                             ;   in Loop: Header=BB6_357 Depth=4
	s_or_b64 exec, exec, s[28:29]
	v_cmp_ne_u16_sdwa vcc, v3, v34 src0_sel:BYTE_0 src1_sel:DWORD
	s_and_saveexec_b64 s[28:29], vcc
	s_cbranch_execz .LBB6_1381
; %bb.1374:                             ;   in Loop: Header=BB6_357 Depth=4
	v_cmp_ne_u16_sdwa vcc, v3, s44 src0_sel:BYTE_0 src1_sel:DWORD
	v_bfrev_b32_e32 v1, 1
	s_and_saveexec_b64 s[30:31], vcc
	s_cbranch_execz .LBB6_1380
; %bb.1375:                             ;   in Loop: Header=BB6_357 Depth=4
	v_and_b32_e32 v1, 0x7c, v3
	v_and_b32_e32 v4, 3, v3
	v_cmp_ne_u32_e32 vcc, s81, v1
                                        ; implicit-def: $vgpr1
	s_and_saveexec_b64 s[34:35], vcc
	s_xor_b64 s[34:35], exec, s[34:35]
	s_cbranch_execz .LBB6_1377
; %bb.1376:                             ;   in Loop: Header=BB6_357 Depth=4
	v_ffbh_u32_e32 v28, v4
	v_min_u32_e32 v28, 32, v28
	v_mov_b32_e32 v24, v3
	v_mov_b32_e32 v25, v34
	v_subrev_u32_e32 v29, 29, v28
	v_lshlrev_b64 v[24:25], v29, v[24:25]
	v_bfe_u32 v1, v3, 2, 5
	v_and_b32_e32 v24, 3, v24
	v_cmp_eq_u32_e32 vcc, 0, v1
	v_sub_u32_e32 v25, 30, v28
	v_cndmask_b32_e32 v4, v4, v24, vcc
	v_lshlrev_b32_e32 v24, 24, v3
	v_cndmask_b32_e32 v1, v1, v25, vcc
	v_and_b32_e32 v24, 0x80000000, v24
	v_lshl_add_u32 v1, v1, 23, v24
	v_lshl_or_b32 v1, v4, 21, v1
	v_add_u32_e32 v1, 0x38000000, v1
                                        ; implicit-def: $vgpr4
.LBB6_1377:                             ;   in Loop: Header=BB6_357 Depth=4
	s_andn2_saveexec_b64 s[34:35], s[34:35]
; %bb.1378:                             ;   in Loop: Header=BB6_357 Depth=4
	v_mov_b32_e32 v1, -1
	v_cmp_gt_i16_sdwa vcc, sext(v3), v1 src0_sel:BYTE_0 src1_sel:DWORD
	v_mov_b32_e32 v1, 0xff800000
	v_mov_b32_e32 v24, 0x7f800000
	v_cndmask_b32_e32 v1, v1, v24, vcc
	v_cmp_eq_u32_e32 vcc, 0, v4
	v_mov_b32_e32 v4, 0x7f800001
	v_cndmask_b32_e32 v1, v4, v1, vcc
; %bb.1379:                             ;   in Loop: Header=BB6_357 Depth=4
	s_or_b64 exec, exec, s[34:35]
.LBB6_1380:                             ;   in Loop: Header=BB6_357 Depth=4
	s_or_b64 exec, exec, s[30:31]
.LBB6_1381:                             ;   in Loop: Header=BB6_357 Depth=4
	s_or_b64 exec, exec, s[28:29]
	v_mul_f32_e32 v24, v0, v1
	v_and_b32_e32 v35, 0x7f800000, v24
	v_mov_b32_e32 v36, v34
	v_cmp_ne_u64_e32 vcc, s[76:77], v[35:36]
	v_and_b32_e32 v0, 0x7fffff, v24
	v_mov_b32_e32 v1, v34
                                        ; implicit-def: $vgpr4
	s_and_saveexec_b64 s[28:29], vcc
	s_xor_b64 s[30:31], exec, s[28:29]
	s_cbranch_execz .LBB6_1395
; %bb.1382:                             ;   in Loop: Header=BB6_357 Depth=4
	v_and_b32_e32 v35, 0x7fffffff, v24
	v_mov_b32_e32 v36, v34
	v_cmp_gt_u64_e32 vcc, s[78:79], v[35:36]
	v_and_b32_sdwa v35, v24, s44 dst_sel:DWORD dst_unused:UNUSED_PAD src0_sel:BYTE_3 src1_sel:DWORD
                                        ; implicit-def: $vgpr4
	s_and_saveexec_b64 s[28:29], vcc
	s_xor_b64 s[34:35], exec, s[28:29]
	s_cbranch_execz .LBB6_1392
; %bb.1383:                             ;   in Loop: Header=BB6_357 Depth=4
	v_mov_b32_e32 v4, 0
	v_cmp_ne_u32_e32 vcc, 0, v24
	s_and_saveexec_b64 s[36:37], vcc
	s_cbranch_execz .LBB6_1391
; %bb.1384:                             ;   in Loop: Header=BB6_357 Depth=4
	v_bfe_u32 v4, v24, 23, 8
	v_cmp_gt_u32_e64 s[28:29], s45, v4
	v_sub_u32_e32 v24, 0x71, v4
	v_cmp_eq_u32_e32 vcc, 0, v4
	v_cndmask_b32_e64 v24, 0, v24, s[28:29]
	v_mov_b32_e32 v28, 0x70
	v_cndmask_b32_e32 v36, v24, v28, vcc
	v_or_b32_e32 v25, 0x800000, v0
	v_add_u32_e32 v24, 21, v36
	v_cndmask_b32_e32 v0, v25, v0, vcc
	v_lshlrev_b64 v[24:25], v24, -1
	v_add_u32_e32 v28, 20, v36
	v_bfi_b32 v24, v24, 0, v0
	v_lshlrev_b64 v[37:38], v28, 1
	v_lshrrev_b64 v[0:1], v36, v[0:1]
	v_bfi_b32 v25, v25, 0, 0
	v_cmp_eq_u64_e64 s[28:29], v[24:25], v[37:38]
	v_mov_b32_e32 v25, v1
	v_mov_b32_e32 v24, v0
	s_and_saveexec_b64 s[38:39], s[28:29]
; %bb.1385:                             ;   in Loop: Header=BB6_357 Depth=4
	v_bfe_u32 v1, v0, 21, 1
	v_add_co_u32_e64 v1, s[28:29], v0, v1
	v_add_co_u32_e64 v24, s[28:29], -1, v1
; %bb.1386:                             ;   in Loop: Header=BB6_357 Depth=4
	s_or_b64 exec, exec, s[38:39]
	v_add_u32_e32 v1, 0xffffff81, v4
	v_mov_b32_e32 v4, 0xffffff82
	v_cndmask_b32_e32 v1, v1, v4, vcc
	v_lshrrev_b32_e32 v4, 23, v0
	v_add3_u32 v36, v36, v1, v4
	v_add_u32_e32 v25, 14, v36
	v_and_b32_e32 v1, 0x1fffff, v24
	v_add_u32_e32 v0, v1, v0
	v_mov_b32_e32 v1, v34
	v_cmp_ne_u32_e32 vcc, 0, v25
                                        ; implicit-def: $vgpr4
	s_and_saveexec_b64 s[28:29], vcc
	s_xor_b64 s[28:29], exec, s[28:29]
; %bb.1387:                             ;   in Loop: Header=BB6_357 Depth=4
	v_cmp_lt_u64_e32 vcc, s[88:89], v[0:1]
	v_add_u32_e32 v4, 15, v36
	v_cndmask_b32_e64 v24, 0, 1, vcc
	v_lshrrev_b64 v[0:1], v24, v[0:1]
	v_cndmask_b32_e32 v4, v25, v4, vcc
; %bb.1388:                             ;   in Loop: Header=BB6_357 Depth=4
	s_andn2_saveexec_b64 s[28:29], s[28:29]
; %bb.1389:                             ;   in Loop: Header=BB6_357 Depth=4
	v_bfe_u32 v4, v0, 23, 1
; %bb.1390:                             ;   in Loop: Header=BB6_357 Depth=4
	s_or_b64 exec, exec, s[28:29]
	v_lshrrev_b64 v[0:1], 21, v[0:1]
	v_cmp_gt_i32_e32 vcc, 32, v4
	v_cndmask_b32_e32 v1, 0, v1, vcc
	v_cndmask_b32_e32 v0, 3, v0, vcc
	v_cmp_eq_u64_e64 s[28:29], 0, v[0:1]
	v_min_i32_e32 v1, 31, v4
	v_lshlrev_b32_e32 v1, 2, v1
	v_cmp_eq_u32_e32 vcc, 0, v4
	v_and_b32_e32 v1, 0xfc, v1
	v_and_or_b32 v0, v0, 3, v1
	s_and_b64 s[28:29], vcc, s[28:29]
	v_cndmask_b32_e64 v0, v0, 0, s[28:29]
	v_or_b32_e32 v4, v0, v35
.LBB6_1391:                             ;   in Loop: Header=BB6_357 Depth=4
	s_or_b64 exec, exec, s[36:37]
                                        ; implicit-def: $vgpr35
.LBB6_1392:                             ;   in Loop: Header=BB6_357 Depth=4
	s_andn2_saveexec_b64 s[28:29], s[34:35]
; %bb.1393:                             ;   in Loop: Header=BB6_357 Depth=4
	v_or_b32_e32 v4, 0x7b, v35
; %bb.1394:                             ;   in Loop: Header=BB6_357 Depth=4
	s_or_b64 exec, exec, s[28:29]
                                        ; implicit-def: $vgpr24
                                        ; implicit-def: $vgpr0_vgpr1
.LBB6_1395:                             ;   in Loop: Header=BB6_357 Depth=4
	s_andn2_saveexec_b64 s[28:29], s[30:31]
	s_cbranch_execz .LBB6_1401
; %bb.1396:                             ;   in Loop: Header=BB6_357 Depth=4
	v_cmp_ne_u64_e32 vcc, 0, v[0:1]
                                        ; implicit-def: $vgpr4
	s_and_saveexec_b64 s[30:31], vcc
	s_xor_b64 vcc, exec, s[30:31]
; %bb.1397:                             ;   in Loop: Header=BB6_357 Depth=4
	v_or_b32_sdwa v4, v24, s83 dst_sel:DWORD dst_unused:UNUSED_PAD src0_sel:BYTE_3 src1_sel:DWORD
                                        ; implicit-def: $vgpr24
; %bb.1398:                             ;   in Loop: Header=BB6_357 Depth=4
	s_andn2_saveexec_b64 s[30:31], vcc
; %bb.1399:                             ;   in Loop: Header=BB6_357 Depth=4
	v_cmp_lt_i32_e32 vcc, -1, v24
	v_bfrev_b32_e32 v0, 0.5
	v_mov_b32_e32 v1, 0x7c
	v_cndmask_b32_e32 v4, v0, v1, vcc
; %bb.1400:                             ;   in Loop: Header=BB6_357 Depth=4
	s_or_b64 exec, exec, s[30:31]
.LBB6_1401:                             ;   in Loop: Header=BB6_357 Depth=4
	s_or_b64 exec, exec, s[28:29]
	v_lshrrev_b16_e32 v0, 8, v33
	v_cmp_ne_u16_e32 vcc, 0, v0
	v_mov_b32_e32 v24, 0
	v_mov_b32_e32 v25, 0
	s_and_saveexec_b64 s[28:29], vcc
	s_cbranch_execz .LBB6_1409
; %bb.1402:                             ;   in Loop: Header=BB6_357 Depth=4
	v_cmp_ne_u16_e32 vcc, s44, v0
	v_bfrev_b32_e32 v25, 1
	s_and_saveexec_b64 s[30:31], vcc
	s_cbranch_execz .LBB6_1408
; %bb.1403:                             ;   in Loop: Header=BB6_357 Depth=4
	v_and_b32_e32 v1, 0x7c, v0
	v_and_b32_e32 v35, 3, v0
	v_cmp_ne_u32_e32 vcc, s81, v1
                                        ; implicit-def: $vgpr25
	s_and_saveexec_b64 s[34:35], vcc
	s_xor_b64 s[34:35], exec, s[34:35]
	s_cbranch_execz .LBB6_1405
; %bb.1404:                             ;   in Loop: Header=BB6_357 Depth=4
	v_ffbh_u32_e32 v28, v35
	v_min_u32_e32 v28, 32, v28
	v_mov_b32_e32 v1, v34
	v_subrev_u32_e32 v29, 29, v28
	v_bfe_u32 v25, v0, 2, 5
	v_lshlrev_b64 v[0:1], v29, v[0:1]
	v_sub_u32_e32 v1, 30, v28
	v_cmp_eq_u32_e32 vcc, 0, v25
	v_cndmask_b32_e32 v1, v25, v1, vcc
	v_lshlrev_b32_e32 v25, 16, v33
	v_and_b32_e32 v0, 3, v0
	v_and_b32_e32 v25, 0x80000000, v25
	v_cndmask_b32_e32 v0, v35, v0, vcc
	v_lshl_add_u32 v1, v1, 23, v25
	v_lshl_or_b32 v0, v0, 21, v1
	v_add_u32_e32 v25, 0x38000000, v0
                                        ; implicit-def: $vgpr35
.LBB6_1405:                             ;   in Loop: Header=BB6_357 Depth=4
	s_andn2_saveexec_b64 s[34:35], s[34:35]
; %bb.1406:                             ;   in Loop: Header=BB6_357 Depth=4
	v_cmp_lt_i16_e32 vcc, -1, v33
	v_mov_b32_e32 v0, 0xff800000
	v_mov_b32_e32 v1, 0x7f800000
	v_cndmask_b32_e32 v0, v0, v1, vcc
	v_cmp_eq_u32_e32 vcc, 0, v35
	v_mov_b32_e32 v1, 0x7f800001
	v_cndmask_b32_e32 v25, v1, v0, vcc
; %bb.1407:                             ;   in Loop: Header=BB6_357 Depth=4
	s_or_b64 exec, exec, s[34:35]
.LBB6_1408:                             ;   in Loop: Header=BB6_357 Depth=4
	s_or_b64 exec, exec, s[30:31]
.LBB6_1409:                             ;   in Loop: Header=BB6_357 Depth=4
	s_or_b64 exec, exec, s[28:29]
	v_lshrrev_b16_e32 v0, 8, v3
	v_cmp_ne_u16_e32 vcc, 0, v0
	s_and_saveexec_b64 s[28:29], vcc
	s_cbranch_execz .LBB6_1417
; %bb.1410:                             ;   in Loop: Header=BB6_357 Depth=4
	v_cmp_ne_u16_e32 vcc, s44, v0
	v_bfrev_b32_e32 v24, 1
	s_and_saveexec_b64 s[30:31], vcc
	s_cbranch_execz .LBB6_1416
; %bb.1411:                             ;   in Loop: Header=BB6_357 Depth=4
	v_and_b32_e32 v1, 0x7c, v0
	v_and_b32_e32 v33, 3, v0
	v_cmp_ne_u32_e32 vcc, s81, v1
                                        ; implicit-def: $vgpr24
	s_and_saveexec_b64 s[34:35], vcc
	s_xor_b64 s[34:35], exec, s[34:35]
	s_cbranch_execz .LBB6_1413
; %bb.1412:                             ;   in Loop: Header=BB6_357 Depth=4
	v_ffbh_u32_e32 v28, v33
	v_min_u32_e32 v28, 32, v28
	v_mov_b32_e32 v1, v34
	v_subrev_u32_e32 v29, 29, v28
	v_bfe_u32 v24, v0, 2, 5
	v_lshlrev_b64 v[0:1], v29, v[0:1]
	v_sub_u32_e32 v1, 30, v28
	v_cmp_eq_u32_e32 vcc, 0, v24
	v_cndmask_b32_e32 v1, v24, v1, vcc
	v_lshlrev_b32_e32 v24, 16, v3
	v_and_b32_e32 v0, 3, v0
	v_and_b32_e32 v24, 0x80000000, v24
	v_cndmask_b32_e32 v0, v33, v0, vcc
	v_lshl_add_u32 v1, v1, 23, v24
	v_lshl_or_b32 v0, v0, 21, v1
	v_add_u32_e32 v24, 0x38000000, v0
                                        ; implicit-def: $vgpr33
.LBB6_1413:                             ;   in Loop: Header=BB6_357 Depth=4
	s_andn2_saveexec_b64 s[34:35], s[34:35]
; %bb.1414:                             ;   in Loop: Header=BB6_357 Depth=4
	v_cmp_lt_i16_e32 vcc, -1, v3
	v_mov_b32_e32 v0, 0xff800000
	v_mov_b32_e32 v1, 0x7f800000
	v_cndmask_b32_e32 v0, v0, v1, vcc
	v_cmp_eq_u32_e32 vcc, 0, v33
	v_mov_b32_e32 v1, 0x7f800001
	v_cndmask_b32_e32 v24, v1, v0, vcc
; %bb.1415:                             ;   in Loop: Header=BB6_357 Depth=4
	s_or_b64 exec, exec, s[34:35]
.LBB6_1416:                             ;   in Loop: Header=BB6_357 Depth=4
	s_or_b64 exec, exec, s[30:31]
.LBB6_1417:                             ;   in Loop: Header=BB6_357 Depth=4
	s_or_b64 exec, exec, s[28:29]
	v_mul_f32_e32 v0, v25, v24
	v_and_b32_e32 v24, 0x7f800000, v0
	v_mov_b32_e32 v25, v34
	v_cmp_ne_u64_e32 vcc, s[76:77], v[24:25]
	v_and_b32_e32 v33, 0x7fffff, v0
                                        ; implicit-def: $vgpr35
	s_and_saveexec_b64 s[28:29], vcc
	s_xor_b64 s[30:31], exec, s[28:29]
	s_cbranch_execz .LBB6_1431
; %bb.1418:                             ;   in Loop: Header=BB6_357 Depth=4
	v_and_b32_e32 v24, 0x7fffffff, v0
	v_mov_b32_e32 v25, v34
	v_cmp_gt_u64_e32 vcc, s[78:79], v[24:25]
	v_and_b32_sdwa v36, v0, s44 dst_sel:DWORD dst_unused:UNUSED_PAD src0_sel:BYTE_3 src1_sel:DWORD
                                        ; implicit-def: $vgpr35
	s_and_saveexec_b64 s[28:29], vcc
	s_xor_b64 s[34:35], exec, s[28:29]
	s_cbranch_execz .LBB6_1428
; %bb.1419:                             ;   in Loop: Header=BB6_357 Depth=4
	v_mov_b32_e32 v35, 0
	v_cmp_ne_u32_e32 vcc, 0, v0
	s_and_saveexec_b64 s[36:37], vcc
	s_cbranch_execz .LBB6_1427
; %bb.1420:                             ;   in Loop: Header=BB6_357 Depth=4
	v_bfe_u32 v35, v0, 23, 8
	v_cmp_gt_u32_e64 s[28:29], s45, v35
	v_sub_u32_e32 v0, 0x71, v35
	v_cmp_eq_u32_e32 vcc, 0, v35
	v_cndmask_b32_e64 v0, 0, v0, s[28:29]
	v_mov_b32_e32 v24, 0x70
	v_cndmask_b32_e32 v37, v0, v24, vcc
	v_add_u32_e32 v24, 21, v37
	v_or_b32_e32 v1, 0x800000, v33
	v_lshlrev_b64 v[24:25], v24, -1
	v_cndmask_b32_e32 v0, v1, v33, vcc
	v_mov_b32_e32 v1, v34
	v_add_u32_e32 v28, 20, v37
	v_bfi_b32 v24, v24, 0, v0
	v_lshlrev_b64 v[38:39], v28, 1
	v_lshrrev_b64 v[0:1], v37, v[0:1]
	v_bfi_b32 v25, v25, 0, 0
	v_cmp_eq_u64_e64 s[28:29], v[24:25], v[38:39]
	v_mov_b32_e32 v25, v1
	v_mov_b32_e32 v24, v0
	s_and_saveexec_b64 s[38:39], s[28:29]
; %bb.1421:                             ;   in Loop: Header=BB6_357 Depth=4
	v_bfe_u32 v1, v0, 21, 1
	v_add_co_u32_e64 v1, s[28:29], v0, v1
	v_add_co_u32_e64 v24, s[28:29], -1, v1
; %bb.1422:                             ;   in Loop: Header=BB6_357 Depth=4
	s_or_b64 exec, exec, s[38:39]
	v_add_u32_e32 v1, 0xffffff81, v35
	v_mov_b32_e32 v25, 0xffffff82
	v_cndmask_b32_e32 v1, v1, v25, vcc
	v_lshrrev_b32_e32 v25, 23, v0
	v_add3_u32 v35, v37, v1, v25
	v_add_u32_e32 v25, 14, v35
	v_and_b32_e32 v1, 0x1fffff, v24
	v_add_u32_e32 v33, v1, v0
	v_cmp_ne_u32_e32 vcc, 0, v25
                                        ; implicit-def: $vgpr0_vgpr1
                                        ; implicit-def: $vgpr24
	s_and_saveexec_b64 s[28:29], vcc
	s_xor_b64 s[28:29], exec, s[28:29]
; %bb.1423:                             ;   in Loop: Header=BB6_357 Depth=4
	v_cmp_lt_u64_e32 vcc, s[88:89], v[33:34]
	v_add_u32_e32 v0, 15, v35
	v_cndmask_b32_e32 v24, v25, v0, vcc
	v_cndmask_b32_e64 v0, 0, 1, vcc
	v_lshrrev_b64 v[0:1], v0, v[33:34]
; %bb.1424:                             ;   in Loop: Header=BB6_357 Depth=4
	s_andn2_saveexec_b64 s[28:29], s[28:29]
; %bb.1425:                             ;   in Loop: Header=BB6_357 Depth=4
	v_mov_b32_e32 v0, v33
	v_mov_b32_e32 v1, v34
	v_bfe_u32 v24, v33, 23, 1
; %bb.1426:                             ;   in Loop: Header=BB6_357 Depth=4
	s_or_b64 exec, exec, s[28:29]
	v_lshrrev_b64 v[0:1], 21, v[0:1]
	v_cmp_gt_i32_e32 vcc, 32, v24
	v_cndmask_b32_e32 v1, 0, v1, vcc
	v_cndmask_b32_e32 v0, 3, v0, vcc
	v_cmp_eq_u64_e64 s[28:29], 0, v[0:1]
	v_min_i32_e32 v1, 31, v24
	v_lshlrev_b32_e32 v1, 2, v1
	v_cmp_eq_u32_e32 vcc, 0, v24
	v_and_b32_e32 v1, 0xfc, v1
	v_and_or_b32 v0, v0, 3, v1
	s_and_b64 s[28:29], vcc, s[28:29]
	v_cndmask_b32_e64 v0, v0, 0, s[28:29]
	v_or_b32_e32 v35, v0, v36
.LBB6_1427:                             ;   in Loop: Header=BB6_357 Depth=4
	s_or_b64 exec, exec, s[36:37]
                                        ; implicit-def: $vgpr36
.LBB6_1428:                             ;   in Loop: Header=BB6_357 Depth=4
	s_andn2_saveexec_b64 s[28:29], s[34:35]
; %bb.1429:                             ;   in Loop: Header=BB6_357 Depth=4
	v_or_b32_e32 v35, 0x7b, v36
; %bb.1430:                             ;   in Loop: Header=BB6_357 Depth=4
	s_or_b64 exec, exec, s[28:29]
                                        ; implicit-def: $vgpr0
.LBB6_1431:                             ;   in Loop: Header=BB6_357 Depth=4
	s_andn2_saveexec_b64 s[28:29], s[30:31]
	s_cbranch_execz .LBB6_1437
; %bb.1432:                             ;   in Loop: Header=BB6_357 Depth=4
	v_cmp_ne_u64_e32 vcc, 0, v[33:34]
                                        ; implicit-def: $vgpr35
	s_and_saveexec_b64 s[30:31], vcc
	s_xor_b64 vcc, exec, s[30:31]
; %bb.1433:                             ;   in Loop: Header=BB6_357 Depth=4
	v_or_b32_sdwa v35, v0, s83 dst_sel:DWORD dst_unused:UNUSED_PAD src0_sel:BYTE_3 src1_sel:DWORD
                                        ; implicit-def: $vgpr0
; %bb.1434:                             ;   in Loop: Header=BB6_357 Depth=4
	s_andn2_saveexec_b64 s[30:31], vcc
; %bb.1435:                             ;   in Loop: Header=BB6_357 Depth=4
	v_cmp_lt_i32_e32 vcc, -1, v0
	v_bfrev_b32_e32 v0, 0.5
	v_mov_b32_e32 v1, 0x7c
	v_cndmask_b32_e32 v35, v0, v1, vcc
; %bb.1436:                             ;   in Loop: Header=BB6_357 Depth=4
	s_or_b64 exec, exec, s[30:31]
.LBB6_1437:                             ;   in Loop: Header=BB6_357 Depth=4
	s_or_b64 exec, exec, s[28:29]
	v_lshrrev_b32_e32 v0, 16, v27
	v_cmp_ne_u16_sdwa vcc, v0, v34 src0_sel:BYTE_0 src1_sel:DWORD
	v_mov_b32_e32 v1, 0
	v_mov_b32_e32 v24, 0
	s_and_saveexec_b64 s[28:29], vcc
	s_cbranch_execz .LBB6_1445
; %bb.1438:                             ;   in Loop: Header=BB6_357 Depth=4
	v_cmp_ne_u16_sdwa vcc, v0, s44 src0_sel:BYTE_0 src1_sel:DWORD
	v_bfrev_b32_e32 v24, 1
	s_and_saveexec_b64 s[30:31], vcc
	s_cbranch_execz .LBB6_1444
; %bb.1439:                             ;   in Loop: Header=BB6_357 Depth=4
	v_and_b32_e32 v24, 0x7c0000, v27
	v_bfe_u32 v25, v27, 16, 2
	v_cmp_ne_u32_e32 vcc, s9, v24
                                        ; implicit-def: $vgpr24
	s_and_saveexec_b64 s[34:35], vcc
	s_xor_b64 s[34:35], exec, s[34:35]
	s_cbranch_execz .LBB6_1441
; %bb.1440:                             ;   in Loop: Header=BB6_357 Depth=4
	v_ffbh_u32_e32 v28, v25
	v_min_u32_e32 v28, 32, v28
	v_subrev_u32_e32 v29, 29, v28
	v_lshlrev_b64 v[36:37], v29, v[0:1]
	v_bfe_u32 v24, v27, 18, 5
	v_sub_u32_e32 v0, 30, v28
	v_and_b32_e32 v28, 3, v36
	v_cmp_eq_u32_e32 vcc, 0, v24
	v_cndmask_b32_e32 v0, v24, v0, vcc
	v_cndmask_b32_e32 v24, v25, v28, vcc
	v_lshlrev_b32_e32 v25, 8, v27
	v_and_b32_e32 v25, 0x80000000, v25
	v_lshl_add_u32 v0, v0, 23, v25
	v_lshl_or_b32 v0, v24, 21, v0
	v_add_u32_e32 v24, 0x38000000, v0
                                        ; implicit-def: $vgpr25
                                        ; implicit-def: $vgpr0
.LBB6_1441:                             ;   in Loop: Header=BB6_357 Depth=4
	s_andn2_saveexec_b64 s[34:35], s[34:35]
; %bb.1442:                             ;   in Loop: Header=BB6_357 Depth=4
	v_mov_b32_e32 v24, -1
	v_cmp_gt_i16_sdwa vcc, sext(v0), v24 src0_sel:BYTE_0 src1_sel:DWORD
	v_mov_b32_e32 v0, 0xff800000
	v_mov_b32_e32 v24, 0x7f800000
	v_cndmask_b32_e32 v0, v0, v24, vcc
	v_cmp_eq_u32_e32 vcc, 0, v25
	v_mov_b32_e32 v24, 0x7f800001
	v_cndmask_b32_e32 v24, v24, v0, vcc
; %bb.1443:                             ;   in Loop: Header=BB6_357 Depth=4
	s_or_b64 exec, exec, s[34:35]
.LBB6_1444:                             ;   in Loop: Header=BB6_357 Depth=4
	s_or_b64 exec, exec, s[30:31]
.LBB6_1445:                             ;   in Loop: Header=BB6_357 Depth=4
	s_or_b64 exec, exec, s[28:29]
	v_lshrrev_b32_e32 v0, 16, v3
	v_cmp_ne_u16_sdwa vcc, v0, v34 src0_sel:BYTE_0 src1_sel:DWORD
	s_and_saveexec_b64 s[28:29], vcc
	s_cbranch_execz .LBB6_1453
; %bb.1446:                             ;   in Loop: Header=BB6_357 Depth=4
	v_cmp_ne_u16_sdwa vcc, v0, s44 src0_sel:BYTE_0 src1_sel:DWORD
	v_bfrev_b32_e32 v1, 1
	s_and_saveexec_b64 s[30:31], vcc
	s_cbranch_execz .LBB6_1452
; %bb.1447:                             ;   in Loop: Header=BB6_357 Depth=4
	v_and_b32_e32 v1, 0x7c0000, v3
	v_bfe_u32 v25, v3, 16, 2
	v_cmp_ne_u32_e32 vcc, s9, v1
                                        ; implicit-def: $vgpr1
	s_and_saveexec_b64 s[34:35], vcc
	s_xor_b64 s[34:35], exec, s[34:35]
	s_cbranch_execz .LBB6_1449
; %bb.1448:                             ;   in Loop: Header=BB6_357 Depth=4
	v_ffbh_u32_e32 v1, v25
	v_min_u32_e32 v29, 32, v1
	v_subrev_u32_e32 v1, 29, v29
	v_lshlrev_b64 v[0:1], v1, v[0:1]
	v_bfe_u32 v28, v3, 18, 5
	v_and_b32_e32 v0, 3, v0
	v_cmp_eq_u32_e32 vcc, 0, v28
	v_sub_u32_e32 v1, 30, v29
	v_cndmask_b32_e32 v0, v25, v0, vcc
	v_lshlrev_b32_e32 v25, 8, v3
	v_cndmask_b32_e32 v1, v28, v1, vcc
	v_and_b32_e32 v25, 0x80000000, v25
	v_lshl_add_u32 v1, v1, 23, v25
	v_lshl_or_b32 v0, v0, 21, v1
	v_add_u32_e32 v1, 0x38000000, v0
                                        ; implicit-def: $vgpr25
                                        ; implicit-def: $vgpr0
.LBB6_1449:                             ;   in Loop: Header=BB6_357 Depth=4
	s_andn2_saveexec_b64 s[34:35], s[34:35]
; %bb.1450:                             ;   in Loop: Header=BB6_357 Depth=4
	v_mov_b32_e32 v1, -1
	v_cmp_gt_i16_sdwa vcc, sext(v0), v1 src0_sel:BYTE_0 src1_sel:DWORD
	v_mov_b32_e32 v0, 0xff800000
	v_mov_b32_e32 v1, 0x7f800000
	v_cndmask_b32_e32 v0, v0, v1, vcc
	v_cmp_eq_u32_e32 vcc, 0, v25
	v_mov_b32_e32 v1, 0x7f800001
	v_cndmask_b32_e32 v1, v1, v0, vcc
; %bb.1451:                             ;   in Loop: Header=BB6_357 Depth=4
	s_or_b64 exec, exec, s[34:35]
.LBB6_1452:                             ;   in Loop: Header=BB6_357 Depth=4
	s_or_b64 exec, exec, s[30:31]
.LBB6_1453:                             ;   in Loop: Header=BB6_357 Depth=4
	s_or_b64 exec, exec, s[28:29]
	v_mul_f32_e32 v0, v24, v1
	v_and_b32_e32 v24, 0x7f800000, v0
	v_mov_b32_e32 v25, v34
	v_cmp_ne_u64_e32 vcc, s[76:77], v[24:25]
	v_and_b32_e32 v33, 0x7fffff, v0
                                        ; implicit-def: $vgpr24
	s_and_saveexec_b64 s[28:29], vcc
	s_xor_b64 s[30:31], exec, s[28:29]
	s_cbranch_execz .LBB6_1467
; %bb.1454:                             ;   in Loop: Header=BB6_357 Depth=4
	v_and_b32_e32 v24, 0x7fffffff, v0
	v_mov_b32_e32 v25, v34
	v_cmp_gt_u64_e32 vcc, s[78:79], v[24:25]
	v_and_b32_sdwa v36, v0, s44 dst_sel:DWORD dst_unused:UNUSED_PAD src0_sel:BYTE_3 src1_sel:DWORD
                                        ; implicit-def: $vgpr24
	s_and_saveexec_b64 s[28:29], vcc
	s_xor_b64 s[34:35], exec, s[28:29]
	s_cbranch_execz .LBB6_1464
; %bb.1455:                             ;   in Loop: Header=BB6_357 Depth=4
	v_mov_b32_e32 v24, 0
	v_cmp_ne_u32_e32 vcc, 0, v0
	s_and_saveexec_b64 s[36:37], vcc
	s_cbranch_execz .LBB6_1463
; %bb.1456:                             ;   in Loop: Header=BB6_357 Depth=4
	v_bfe_u32 v37, v0, 23, 8
	v_cmp_gt_u32_e64 s[28:29], s45, v37
	v_sub_u32_e32 v0, 0x71, v37
	v_cmp_eq_u32_e32 vcc, 0, v37
	v_cndmask_b32_e64 v0, 0, v0, s[28:29]
	v_mov_b32_e32 v24, 0x70
	v_cndmask_b32_e32 v38, v0, v24, vcc
	v_add_u32_e32 v24, 21, v38
	v_or_b32_e32 v1, 0x800000, v33
	v_lshlrev_b64 v[24:25], v24, -1
	v_cndmask_b32_e32 v0, v1, v33, vcc
	v_mov_b32_e32 v1, v34
	v_add_u32_e32 v28, 20, v38
	v_bfi_b32 v24, v24, 0, v0
	v_lshlrev_b64 v[48:49], v28, 1
	v_lshrrev_b64 v[0:1], v38, v[0:1]
	v_bfi_b32 v25, v25, 0, 0
	v_cmp_eq_u64_e64 s[28:29], v[24:25], v[48:49]
	v_mov_b32_e32 v25, v1
	v_mov_b32_e32 v24, v0
	s_and_saveexec_b64 s[38:39], s[28:29]
; %bb.1457:                             ;   in Loop: Header=BB6_357 Depth=4
	v_bfe_u32 v1, v0, 21, 1
	v_add_co_u32_e64 v1, s[28:29], v0, v1
	v_add_co_u32_e64 v24, s[28:29], -1, v1
; %bb.1458:                             ;   in Loop: Header=BB6_357 Depth=4
	s_or_b64 exec, exec, s[38:39]
	v_add_u32_e32 v1, 0xffffff81, v37
	v_mov_b32_e32 v25, 0xffffff82
	v_cndmask_b32_e32 v1, v1, v25, vcc
	v_lshrrev_b32_e32 v25, 23, v0
	v_add3_u32 v37, v38, v1, v25
	v_add_u32_e32 v25, 14, v37
	v_and_b32_e32 v1, 0x1fffff, v24
	v_add_u32_e32 v33, v1, v0
	v_cmp_ne_u32_e32 vcc, 0, v25
                                        ; implicit-def: $vgpr0_vgpr1
                                        ; implicit-def: $vgpr24
	s_and_saveexec_b64 s[28:29], vcc
	s_xor_b64 s[28:29], exec, s[28:29]
; %bb.1459:                             ;   in Loop: Header=BB6_357 Depth=4
	v_cmp_lt_u64_e32 vcc, s[88:89], v[33:34]
	v_add_u32_e32 v0, 15, v37
	v_cndmask_b32_e32 v24, v25, v0, vcc
	v_cndmask_b32_e64 v0, 0, 1, vcc
	v_lshrrev_b64 v[0:1], v0, v[33:34]
; %bb.1460:                             ;   in Loop: Header=BB6_357 Depth=4
	s_andn2_saveexec_b64 s[28:29], s[28:29]
; %bb.1461:                             ;   in Loop: Header=BB6_357 Depth=4
	v_mov_b32_e32 v0, v33
	v_mov_b32_e32 v1, v34
	v_bfe_u32 v24, v33, 23, 1
; %bb.1462:                             ;   in Loop: Header=BB6_357 Depth=4
	s_or_b64 exec, exec, s[28:29]
	v_lshrrev_b64 v[0:1], 21, v[0:1]
	v_cmp_gt_i32_e32 vcc, 32, v24
	v_cndmask_b32_e32 v1, 0, v1, vcc
	v_cndmask_b32_e32 v0, 3, v0, vcc
	v_cmp_eq_u64_e64 s[28:29], 0, v[0:1]
	v_min_i32_e32 v1, 31, v24
	v_lshlrev_b32_e32 v1, 2, v1
	v_cmp_eq_u32_e32 vcc, 0, v24
	v_and_b32_e32 v1, 0xfc, v1
	v_and_or_b32 v0, v0, 3, v1
	s_and_b64 s[28:29], vcc, s[28:29]
	v_cndmask_b32_e64 v0, v0, 0, s[28:29]
	v_or_b32_e32 v24, v0, v36
.LBB6_1463:                             ;   in Loop: Header=BB6_357 Depth=4
	s_or_b64 exec, exec, s[36:37]
                                        ; implicit-def: $vgpr36
.LBB6_1464:                             ;   in Loop: Header=BB6_357 Depth=4
	s_andn2_saveexec_b64 s[28:29], s[34:35]
; %bb.1465:                             ;   in Loop: Header=BB6_357 Depth=4
	v_or_b32_e32 v24, 0x7b, v36
; %bb.1466:                             ;   in Loop: Header=BB6_357 Depth=4
	s_or_b64 exec, exec, s[28:29]
                                        ; implicit-def: $vgpr0
.LBB6_1467:                             ;   in Loop: Header=BB6_357 Depth=4
	s_andn2_saveexec_b64 s[28:29], s[30:31]
	s_cbranch_execz .LBB6_1473
; %bb.1468:                             ;   in Loop: Header=BB6_357 Depth=4
	v_cmp_ne_u64_e32 vcc, 0, v[33:34]
                                        ; implicit-def: $vgpr24
	s_and_saveexec_b64 s[30:31], vcc
	s_xor_b64 vcc, exec, s[30:31]
; %bb.1469:                             ;   in Loop: Header=BB6_357 Depth=4
	v_or_b32_sdwa v24, v0, s83 dst_sel:DWORD dst_unused:UNUSED_PAD src0_sel:BYTE_3 src1_sel:DWORD
                                        ; implicit-def: $vgpr0
; %bb.1470:                             ;   in Loop: Header=BB6_357 Depth=4
	s_andn2_saveexec_b64 s[30:31], vcc
; %bb.1471:                             ;   in Loop: Header=BB6_357 Depth=4
	v_cmp_lt_i32_e32 vcc, -1, v0
	v_bfrev_b32_e32 v0, 0.5
	v_mov_b32_e32 v1, 0x7c
	v_cndmask_b32_e32 v24, v0, v1, vcc
; %bb.1472:                             ;   in Loop: Header=BB6_357 Depth=4
	s_or_b64 exec, exec, s[30:31]
.LBB6_1473:                             ;   in Loop: Header=BB6_357 Depth=4
	s_or_b64 exec, exec, s[28:29]
	v_cmp_lt_u64_e32 vcc, s[56:57], v[26:27]
	v_mov_b32_e32 v1, 0
	v_mov_b32_e32 v25, 0
	s_and_saveexec_b64 s[28:29], vcc
	s_cbranch_execz .LBB6_1481
; %bb.1474:                             ;   in Loop: Header=BB6_357 Depth=4
	v_lshrrev_b32_e32 v0, 24, v27
	v_cmp_ne_u32_e32 vcc, s44, v0
	v_bfrev_b32_e32 v25, 1
	s_and_saveexec_b64 s[30:31], vcc
	s_cbranch_execz .LBB6_1480
; %bb.1475:                             ;   in Loop: Header=BB6_357 Depth=4
	v_and_b32_e32 v25, 0x7c000000, v27
	v_bfe_u32 v33, v27, 24, 2
	v_cmp_ne_u32_e32 vcc, s8, v25
                                        ; implicit-def: $vgpr25
	s_and_saveexec_b64 s[34:35], vcc
	s_xor_b64 s[34:35], exec, s[34:35]
	s_cbranch_execz .LBB6_1477
; %bb.1476:                             ;   in Loop: Header=BB6_357 Depth=4
	v_ffbh_u32_e32 v25, v33
	v_min_u32_e32 v29, 32, v25
	v_subrev_u32_e32 v25, 29, v29
	v_bfe_u32 v28, v27, 26, 5
	v_lshlrev_b64 v[25:26], v25, v[0:1]
	v_sub_u32_e32 v0, 30, v29
	v_cmp_eq_u32_e32 vcc, 0, v28
	v_and_b32_e32 v25, 3, v25
	v_cndmask_b32_e32 v0, v28, v0, vcc
	v_and_b32_e32 v26, 0x80000000, v27
	v_cndmask_b32_e32 v25, v33, v25, vcc
	v_lshl_add_u32 v0, v0, 23, v26
	v_lshl_or_b32 v0, v25, 21, v0
	v_add_u32_e32 v25, 0x38000000, v0
                                        ; implicit-def: $vgpr33
                                        ; implicit-def: $vgpr26_vgpr27
.LBB6_1477:                             ;   in Loop: Header=BB6_357 Depth=4
	s_andn2_saveexec_b64 s[34:35], s[34:35]
; %bb.1478:                             ;   in Loop: Header=BB6_357 Depth=4
	v_cmp_lt_i64_e32 vcc, -1, v[26:27]
	v_mov_b32_e32 v0, 0xff800000
	v_mov_b32_e32 v25, 0x7f800000
	v_cndmask_b32_e32 v0, v0, v25, vcc
	v_cmp_eq_u32_e32 vcc, 0, v33
	v_mov_b32_e32 v25, 0x7f800001
	v_cndmask_b32_e32 v25, v25, v0, vcc
; %bb.1479:                             ;   in Loop: Header=BB6_357 Depth=4
	s_or_b64 exec, exec, s[34:35]
.LBB6_1480:                             ;   in Loop: Header=BB6_357 Depth=4
	s_or_b64 exec, exec, s[30:31]
.LBB6_1481:                             ;   in Loop: Header=BB6_357 Depth=4
	s_or_b64 exec, exec, s[28:29]
	v_cmp_lt_u64_e32 vcc, s[56:57], v[2:3]
	s_and_saveexec_b64 s[28:29], vcc
	s_cbranch_execz .LBB6_1489
; %bb.1482:                             ;   in Loop: Header=BB6_357 Depth=4
	v_lshrrev_b32_e32 v0, 24, v3
	v_cmp_ne_u32_e32 vcc, s44, v0
	v_bfrev_b32_e32 v1, 1
	s_and_saveexec_b64 s[30:31], vcc
	s_cbranch_execz .LBB6_1488
; %bb.1483:                             ;   in Loop: Header=BB6_357 Depth=4
	v_and_b32_e32 v1, 0x7c000000, v3
	v_bfe_u32 v26, v3, 24, 2
	v_cmp_ne_u32_e32 vcc, s8, v1
                                        ; implicit-def: $vgpr1
	s_and_saveexec_b64 s[34:35], vcc
	s_xor_b64 s[34:35], exec, s[34:35]
	s_cbranch_execz .LBB6_1485
; %bb.1484:                             ;   in Loop: Header=BB6_357 Depth=4
	v_ffbh_u32_e32 v1, v26
	v_min_u32_e32 v27, 32, v1
	v_subrev_u32_e32 v1, 29, v27
	v_bfe_u32 v2, v3, 26, 5
	v_lshlrev_b64 v[0:1], v1, v[0:1]
	v_sub_u32_e32 v1, 30, v27
	v_cmp_eq_u32_e32 vcc, 0, v2
	v_and_b32_e32 v0, 3, v0
	v_cndmask_b32_e32 v1, v2, v1, vcc
	v_and_b32_e32 v2, 0x80000000, v3
	v_cndmask_b32_e32 v0, v26, v0, vcc
	v_lshl_add_u32 v1, v1, 23, v2
	v_lshl_or_b32 v0, v0, 21, v1
	v_add_u32_e32 v1, 0x38000000, v0
                                        ; implicit-def: $vgpr26
                                        ; implicit-def: $vgpr2_vgpr3
.LBB6_1485:                             ;   in Loop: Header=BB6_357 Depth=4
	s_andn2_saveexec_b64 s[34:35], s[34:35]
; %bb.1486:                             ;   in Loop: Header=BB6_357 Depth=4
	v_cmp_lt_i64_e32 vcc, -1, v[2:3]
	v_mov_b32_e32 v0, 0xff800000
	v_mov_b32_e32 v1, 0x7f800000
	v_cndmask_b32_e32 v0, v0, v1, vcc
	v_cmp_eq_u32_e32 vcc, 0, v26
	v_mov_b32_e32 v1, 0x7f800001
	v_cndmask_b32_e32 v1, v1, v0, vcc
; %bb.1487:                             ;   in Loop: Header=BB6_357 Depth=4
	s_or_b64 exec, exec, s[34:35]
.LBB6_1488:                             ;   in Loop: Header=BB6_357 Depth=4
	s_or_b64 exec, exec, s[30:31]
.LBB6_1489:                             ;   in Loop: Header=BB6_357 Depth=4
	s_or_b64 exec, exec, s[28:29]
	v_mul_f32_e32 v0, v25, v1
	v_and_b32_e32 v1, 0x7f800000, v0
	v_mov_b32_e32 v2, v34
	v_cmp_ne_u64_e32 vcc, s[76:77], v[1:2]
	v_and_b32_e32 v33, 0x7fffff, v0
                                        ; implicit-def: $vgpr3
	s_and_saveexec_b64 s[28:29], vcc
	s_xor_b64 s[30:31], exec, s[28:29]
	s_cbranch_execz .LBB6_1503
; %bb.1490:                             ;   in Loop: Header=BB6_357 Depth=4
	v_and_b32_e32 v1, 0x7fffffff, v0
	v_mov_b32_e32 v2, v34
	v_cmp_gt_u64_e32 vcc, s[78:79], v[1:2]
	v_and_b32_sdwa v25, v0, s44 dst_sel:DWORD dst_unused:UNUSED_PAD src0_sel:BYTE_3 src1_sel:DWORD
                                        ; implicit-def: $vgpr3
	s_and_saveexec_b64 s[28:29], vcc
	s_xor_b64 s[34:35], exec, s[28:29]
	s_cbranch_execz .LBB6_1500
; %bb.1491:                             ;   in Loop: Header=BB6_357 Depth=4
	v_mov_b32_e32 v3, 0
	v_cmp_ne_u32_e32 vcc, 0, v0
	s_and_saveexec_b64 s[36:37], vcc
	s_cbranch_execz .LBB6_1499
; %bb.1492:                             ;   in Loop: Header=BB6_357 Depth=4
	v_bfe_u32 v3, v0, 23, 8
	v_cmp_gt_u32_e64 s[28:29], s45, v3
	v_sub_u32_e32 v0, 0x71, v3
	v_cmp_eq_u32_e32 vcc, 0, v3
	v_cndmask_b32_e64 v0, 0, v0, s[28:29]
	v_mov_b32_e32 v2, 0x70
	v_cndmask_b32_e32 v26, v0, v2, vcc
	v_add_u32_e32 v2, 21, v26
	v_or_b32_e32 v1, 0x800000, v33
	v_lshlrev_b64 v[36:37], v2, -1
	v_cndmask_b32_e32 v0, v1, v33, vcc
	v_mov_b32_e32 v1, v34
	v_add_u32_e32 v2, 20, v26
	v_bfi_b32 v36, v36, 0, v0
	v_lshlrev_b64 v[38:39], v2, 1
	v_lshrrev_b64 v[0:1], v26, v[0:1]
	v_bfi_b32 v37, v37, 0, 0
	v_cmp_eq_u64_e64 s[28:29], v[36:37], v[38:39]
	v_mov_b32_e32 v2, v1
	v_mov_b32_e32 v1, v0
	s_and_saveexec_b64 s[38:39], s[28:29]
; %bb.1493:                             ;   in Loop: Header=BB6_357 Depth=4
	v_bfe_u32 v1, v0, 21, 1
	v_add_co_u32_e64 v1, s[28:29], v0, v1
	v_add_co_u32_e64 v1, s[28:29], -1, v1
; %bb.1494:                             ;   in Loop: Header=BB6_357 Depth=4
	s_or_b64 exec, exec, s[38:39]
	v_add_u32_e32 v2, 0xffffff81, v3
	v_mov_b32_e32 v3, 0xffffff82
	v_cndmask_b32_e32 v2, v2, v3, vcc
	v_lshrrev_b32_e32 v3, 23, v0
	v_add3_u32 v26, v26, v2, v3
	v_add_u32_e32 v3, 14, v26
	v_and_b32_e32 v1, 0x1fffff, v1
	v_add_u32_e32 v33, v1, v0
	v_cmp_ne_u32_e32 vcc, 0, v3
                                        ; implicit-def: $vgpr0_vgpr1
                                        ; implicit-def: $vgpr2
	s_and_saveexec_b64 s[28:29], vcc
	s_xor_b64 s[28:29], exec, s[28:29]
; %bb.1495:                             ;   in Loop: Header=BB6_357 Depth=4
	v_cmp_lt_u64_e32 vcc, s[88:89], v[33:34]
	v_add_u32_e32 v0, 15, v26
	v_cndmask_b32_e32 v2, v3, v0, vcc
	v_cndmask_b32_e64 v0, 0, 1, vcc
	v_lshrrev_b64 v[0:1], v0, v[33:34]
; %bb.1496:                             ;   in Loop: Header=BB6_357 Depth=4
	s_andn2_saveexec_b64 s[28:29], s[28:29]
; %bb.1497:                             ;   in Loop: Header=BB6_357 Depth=4
	v_mov_b32_e32 v0, v33
	v_mov_b32_e32 v1, v34
	v_bfe_u32 v2, v33, 23, 1
; %bb.1498:                             ;   in Loop: Header=BB6_357 Depth=4
	s_or_b64 exec, exec, s[28:29]
	v_lshrrev_b64 v[0:1], 21, v[0:1]
	v_cmp_gt_i32_e32 vcc, 32, v2
	v_cndmask_b32_e32 v1, 0, v1, vcc
	v_cndmask_b32_e32 v0, 3, v0, vcc
	v_cmp_eq_u64_e64 s[28:29], 0, v[0:1]
	v_min_i32_e32 v1, 31, v2
	v_lshlrev_b32_e32 v1, 2, v1
	v_cmp_eq_u32_e32 vcc, 0, v2
	v_and_b32_e32 v1, 0xfc, v1
	v_and_or_b32 v0, v0, 3, v1
	s_and_b64 s[28:29], vcc, s[28:29]
	v_cndmask_b32_e64 v0, v0, 0, s[28:29]
	v_or_b32_e32 v3, v0, v25
.LBB6_1499:                             ;   in Loop: Header=BB6_357 Depth=4
	s_or_b64 exec, exec, s[36:37]
                                        ; implicit-def: $vgpr25
.LBB6_1500:                             ;   in Loop: Header=BB6_357 Depth=4
	s_andn2_saveexec_b64 s[28:29], s[34:35]
; %bb.1501:                             ;   in Loop: Header=BB6_357 Depth=4
	v_or_b32_e32 v3, 0x7b, v25
; %bb.1502:                             ;   in Loop: Header=BB6_357 Depth=4
	s_or_b64 exec, exec, s[28:29]
                                        ; implicit-def: $vgpr0
.LBB6_1503:                             ;   in Loop: Header=BB6_357 Depth=4
	s_andn2_saveexec_b64 s[28:29], s[30:31]
	s_cbranch_execz .LBB6_1509
; %bb.1504:                             ;   in Loop: Header=BB6_357 Depth=4
	v_cmp_ne_u64_e32 vcc, 0, v[33:34]
                                        ; implicit-def: $vgpr3
	s_and_saveexec_b64 s[30:31], vcc
	s_xor_b64 vcc, exec, s[30:31]
; %bb.1505:                             ;   in Loop: Header=BB6_357 Depth=4
	v_or_b32_sdwa v3, v0, s83 dst_sel:DWORD dst_unused:UNUSED_PAD src0_sel:BYTE_3 src1_sel:DWORD
                                        ; implicit-def: $vgpr0
; %bb.1506:                             ;   in Loop: Header=BB6_357 Depth=4
	s_andn2_saveexec_b64 s[30:31], vcc
; %bb.1507:                             ;   in Loop: Header=BB6_357 Depth=4
	v_cmp_lt_i32_e32 vcc, -1, v0
	v_bfrev_b32_e32 v0, 0.5
	v_mov_b32_e32 v1, 0x7c
	v_cndmask_b32_e32 v3, v0, v1, vcc
; %bb.1508:                             ;   in Loop: Header=BB6_357 Depth=4
	s_or_b64 exec, exec, s[30:31]
.LBB6_1509:                             ;   in Loop: Header=BB6_357 Depth=4
	s_or_b64 exec, exec, s[28:29]
	v_cmp_ne_u16_sdwa vcc, v20, v34 src0_sel:BYTE_0 src1_sel:DWORD
	v_mov_b32_e32 v0, 0
	v_mov_b32_e32 v1, 0
	s_and_saveexec_b64 s[28:29], vcc
	s_cbranch_execz .LBB6_1517
; %bb.1510:                             ;   in Loop: Header=BB6_357 Depth=4
	v_cmp_ne_u16_sdwa vcc, sext(v20), s80 src0_sel:BYTE_0 src1_sel:DWORD
	v_bfrev_b32_e32 v1, 1
	s_and_saveexec_b64 s[30:31], vcc
	s_cbranch_execz .LBB6_1516
; %bb.1511:                             ;   in Loop: Header=BB6_357 Depth=4
	v_and_b32_e32 v1, 0x7c, v20
	v_and_b32_e32 v2, 3, v20
	v_cmp_ne_u32_e32 vcc, s81, v1
                                        ; implicit-def: $vgpr1
	s_and_saveexec_b64 s[34:35], vcc
	s_xor_b64 s[34:35], exec, s[34:35]
	s_cbranch_execz .LBB6_1513
; %bb.1512:                             ;   in Loop: Header=BB6_357 Depth=4
	v_ffbh_u32_e32 v25, v2
	v_min_u32_e32 v27, 32, v25
	v_subrev_u32_e32 v25, 29, v27
	v_lshlrev_b64 v[25:26], v25, v[20:21]
	v_bfe_u32 v1, v20, 2, 5
	v_and_b32_e32 v25, 3, v25
	v_cmp_eq_u32_e32 vcc, 0, v1
	v_sub_u32_e32 v26, 30, v27
	v_cndmask_b32_e32 v2, v2, v25, vcc
	v_lshlrev_b32_e32 v25, 24, v20
	v_cndmask_b32_e32 v1, v1, v26, vcc
	v_and_b32_e32 v25, 0x80000000, v25
	v_lshl_add_u32 v1, v1, 23, v25
	v_lshl_or_b32 v1, v2, 21, v1
	v_add_u32_e32 v1, 0x38000000, v1
                                        ; implicit-def: $vgpr2
.LBB6_1513:                             ;   in Loop: Header=BB6_357 Depth=4
	s_andn2_saveexec_b64 s[34:35], s[34:35]
; %bb.1514:                             ;   in Loop: Header=BB6_357 Depth=4
	v_mov_b32_e32 v1, -1
	v_cmp_gt_i16_sdwa vcc, sext(v20), v1 src0_sel:BYTE_0 src1_sel:DWORD
	v_mov_b32_e32 v1, 0xff800000
	v_mov_b32_e32 v25, 0x7f800000
	v_cndmask_b32_e32 v1, v1, v25, vcc
	v_cmp_eq_u32_e32 vcc, 0, v2
	v_mov_b32_e32 v2, 0x7f800001
	v_cndmask_b32_e32 v1, v2, v1, vcc
; %bb.1515:                             ;   in Loop: Header=BB6_357 Depth=4
	s_or_b64 exec, exec, s[34:35]
.LBB6_1516:                             ;   in Loop: Header=BB6_357 Depth=4
	s_or_b64 exec, exec, s[30:31]
.LBB6_1517:                             ;   in Loop: Header=BB6_357 Depth=4
	s_or_b64 exec, exec, s[28:29]
	s_waitcnt vmcnt(1)
	v_cmp_ne_u16_sdwa vcc, v16, v34 src0_sel:BYTE_0 src1_sel:DWORD
	s_and_saveexec_b64 s[28:29], vcc
	s_cbranch_execz .LBB6_1525
; %bb.1518:                             ;   in Loop: Header=BB6_357 Depth=4
	v_cmp_ne_u16_sdwa vcc, sext(v16), s80 src0_sel:BYTE_0 src1_sel:DWORD
	v_bfrev_b32_e32 v0, 1
	s_and_saveexec_b64 s[30:31], vcc
	s_cbranch_execz .LBB6_1524
; %bb.1519:                             ;   in Loop: Header=BB6_357 Depth=4
	v_and_b32_e32 v0, 0x7c, v16
	v_and_b32_e32 v2, 3, v16
	v_cmp_ne_u32_e32 vcc, s81, v0
                                        ; implicit-def: $vgpr0
	s_and_saveexec_b64 s[34:35], vcc
	s_xor_b64 s[34:35], exec, s[34:35]
	s_cbranch_execz .LBB6_1521
; %bb.1520:                             ;   in Loop: Header=BB6_357 Depth=4
	v_ffbh_u32_e32 v25, v2
	v_min_u32_e32 v27, 32, v25
	v_subrev_u32_e32 v25, 29, v27
	v_lshlrev_b64 v[25:26], v25, v[16:17]
	v_bfe_u32 v0, v16, 2, 5
	v_and_b32_e32 v25, 3, v25
	v_cmp_eq_u32_e32 vcc, 0, v0
	v_sub_u32_e32 v26, 30, v27
	v_cndmask_b32_e32 v2, v2, v25, vcc
	v_lshlrev_b32_e32 v25, 24, v16
	v_cndmask_b32_e32 v0, v0, v26, vcc
	v_and_b32_e32 v25, 0x80000000, v25
	v_lshl_add_u32 v0, v0, 23, v25
	v_lshl_or_b32 v0, v2, 21, v0
	v_add_u32_e32 v0, 0x38000000, v0
                                        ; implicit-def: $vgpr2
.LBB6_1521:                             ;   in Loop: Header=BB6_357 Depth=4
	s_andn2_saveexec_b64 s[34:35], s[34:35]
; %bb.1522:                             ;   in Loop: Header=BB6_357 Depth=4
	v_mov_b32_e32 v0, -1
	v_cmp_gt_i16_sdwa vcc, sext(v16), v0 src0_sel:BYTE_0 src1_sel:DWORD
	v_mov_b32_e32 v0, 0xff800000
	v_mov_b32_e32 v25, 0x7f800000
	v_cndmask_b32_e32 v0, v0, v25, vcc
	v_cmp_eq_u32_e32 vcc, 0, v2
	v_mov_b32_e32 v2, 0x7f800001
	v_cndmask_b32_e32 v0, v2, v0, vcc
; %bb.1523:                             ;   in Loop: Header=BB6_357 Depth=4
	s_or_b64 exec, exec, s[34:35]
.LBB6_1524:                             ;   in Loop: Header=BB6_357 Depth=4
	s_or_b64 exec, exec, s[30:31]
.LBB6_1525:                             ;   in Loop: Header=BB6_357 Depth=4
	s_or_b64 exec, exec, s[28:29]
	v_mul_f32_e32 v0, v1, v0
	v_and_b32_e32 v1, 0x7f800000, v0
	v_mov_b32_e32 v2, v34
	v_cmp_ne_u64_e32 vcc, s[76:77], v[1:2]
	v_and_b32_e32 v33, 0x7fffff, v0
                                        ; implicit-def: $vgpr25
	s_and_saveexec_b64 s[28:29], vcc
	s_xor_b64 s[30:31], exec, s[28:29]
	s_cbranch_execz .LBB6_1539
; %bb.1526:                             ;   in Loop: Header=BB6_357 Depth=4
	v_and_b32_e32 v1, 0x7fffffff, v0
	v_mov_b32_e32 v2, v34
	v_cmp_gt_u64_e32 vcc, s[78:79], v[1:2]
	v_and_b32_sdwa v26, v0, s44 dst_sel:DWORD dst_unused:UNUSED_PAD src0_sel:BYTE_3 src1_sel:DWORD
                                        ; implicit-def: $vgpr25
	s_and_saveexec_b64 s[28:29], vcc
	s_xor_b64 s[34:35], exec, s[28:29]
	s_cbranch_execz .LBB6_1536
; %bb.1527:                             ;   in Loop: Header=BB6_357 Depth=4
	v_mov_b32_e32 v25, 0
	v_cmp_ne_u32_e32 vcc, 0, v0
	s_and_saveexec_b64 s[36:37], vcc
	s_cbranch_execz .LBB6_1535
; %bb.1528:                             ;   in Loop: Header=BB6_357 Depth=4
	v_bfe_u32 v25, v0, 23, 8
	v_cmp_gt_u32_e64 s[28:29], s45, v25
	v_sub_u32_e32 v0, 0x71, v25
	v_cmp_eq_u32_e32 vcc, 0, v25
	v_cndmask_b32_e64 v0, 0, v0, s[28:29]
	v_mov_b32_e32 v2, 0x70
	v_cndmask_b32_e32 v27, v0, v2, vcc
	v_add_u32_e32 v2, 21, v27
	v_or_b32_e32 v1, 0x800000, v33
	v_lshlrev_b64 v[36:37], v2, -1
	v_cndmask_b32_e32 v0, v1, v33, vcc
	v_mov_b32_e32 v1, v34
	v_add_u32_e32 v2, 20, v27
	v_bfi_b32 v36, v36, 0, v0
	v_lshlrev_b64 v[38:39], v2, 1
	v_lshrrev_b64 v[0:1], v27, v[0:1]
	v_bfi_b32 v37, v37, 0, 0
	v_cmp_eq_u64_e64 s[28:29], v[36:37], v[38:39]
	v_mov_b32_e32 v2, v1
	v_mov_b32_e32 v1, v0
	s_and_saveexec_b64 s[38:39], s[28:29]
; %bb.1529:                             ;   in Loop: Header=BB6_357 Depth=4
	v_bfe_u32 v1, v0, 21, 1
	v_add_co_u32_e64 v1, s[28:29], v0, v1
	v_add_co_u32_e64 v1, s[28:29], -1, v1
; %bb.1530:                             ;   in Loop: Header=BB6_357 Depth=4
	s_or_b64 exec, exec, s[38:39]
	v_add_u32_e32 v2, 0xffffff81, v25
	v_mov_b32_e32 v25, 0xffffff82
	v_cndmask_b32_e32 v2, v2, v25, vcc
	v_lshrrev_b32_e32 v25, 23, v0
	v_add3_u32 v27, v27, v2, v25
	v_add_u32_e32 v25, 14, v27
	v_and_b32_e32 v1, 0x1fffff, v1
	v_add_u32_e32 v33, v1, v0
	v_cmp_ne_u32_e32 vcc, 0, v25
                                        ; implicit-def: $vgpr0_vgpr1
                                        ; implicit-def: $vgpr2
	s_and_saveexec_b64 s[28:29], vcc
	s_xor_b64 s[28:29], exec, s[28:29]
; %bb.1531:                             ;   in Loop: Header=BB6_357 Depth=4
	v_cmp_lt_u64_e32 vcc, s[88:89], v[33:34]
	v_add_u32_e32 v0, 15, v27
	v_cndmask_b32_e32 v2, v25, v0, vcc
	v_cndmask_b32_e64 v0, 0, 1, vcc
	v_lshrrev_b64 v[0:1], v0, v[33:34]
; %bb.1532:                             ;   in Loop: Header=BB6_357 Depth=4
	s_andn2_saveexec_b64 s[28:29], s[28:29]
; %bb.1533:                             ;   in Loop: Header=BB6_357 Depth=4
	v_mov_b32_e32 v0, v33
	v_mov_b32_e32 v1, v34
	v_bfe_u32 v2, v33, 23, 1
; %bb.1534:                             ;   in Loop: Header=BB6_357 Depth=4
	s_or_b64 exec, exec, s[28:29]
	v_lshrrev_b64 v[0:1], 21, v[0:1]
	v_cmp_gt_i32_e32 vcc, 32, v2
	v_cndmask_b32_e32 v1, 0, v1, vcc
	v_cndmask_b32_e32 v0, 3, v0, vcc
	v_cmp_eq_u64_e64 s[28:29], 0, v[0:1]
	v_min_i32_e32 v1, 31, v2
	v_lshlrev_b32_e32 v1, 2, v1
	v_cmp_eq_u32_e32 vcc, 0, v2
	v_and_b32_e32 v1, 0xfc, v1
	v_and_or_b32 v0, v0, 3, v1
	s_and_b64 s[28:29], vcc, s[28:29]
	v_cndmask_b32_e64 v0, v0, 0, s[28:29]
	v_or_b32_e32 v25, v0, v26
.LBB6_1535:                             ;   in Loop: Header=BB6_357 Depth=4
	s_or_b64 exec, exec, s[36:37]
                                        ; implicit-def: $vgpr26
.LBB6_1536:                             ;   in Loop: Header=BB6_357 Depth=4
	s_andn2_saveexec_b64 s[28:29], s[34:35]
; %bb.1537:                             ;   in Loop: Header=BB6_357 Depth=4
	v_or_b32_e32 v25, 0x7b, v26
; %bb.1538:                             ;   in Loop: Header=BB6_357 Depth=4
	s_or_b64 exec, exec, s[28:29]
                                        ; implicit-def: $vgpr0
.LBB6_1539:                             ;   in Loop: Header=BB6_357 Depth=4
	s_andn2_saveexec_b64 s[28:29], s[30:31]
	s_cbranch_execz .LBB6_1545
; %bb.1540:                             ;   in Loop: Header=BB6_357 Depth=4
	v_cmp_ne_u64_e32 vcc, 0, v[33:34]
                                        ; implicit-def: $vgpr25
	s_and_saveexec_b64 s[30:31], vcc
	s_xor_b64 vcc, exec, s[30:31]
; %bb.1541:                             ;   in Loop: Header=BB6_357 Depth=4
	v_or_b32_sdwa v25, v0, s83 dst_sel:DWORD dst_unused:UNUSED_PAD src0_sel:BYTE_3 src1_sel:DWORD
                                        ; implicit-def: $vgpr0
; %bb.1542:                             ;   in Loop: Header=BB6_357 Depth=4
	s_andn2_saveexec_b64 s[30:31], vcc
; %bb.1543:                             ;   in Loop: Header=BB6_357 Depth=4
	v_cmp_lt_i32_e32 vcc, -1, v0
	v_bfrev_b32_e32 v0, 0.5
	v_mov_b32_e32 v1, 0x7c
	v_cndmask_b32_e32 v25, v0, v1, vcc
; %bb.1544:                             ;   in Loop: Header=BB6_357 Depth=4
	s_or_b64 exec, exec, s[30:31]
.LBB6_1545:                             ;   in Loop: Header=BB6_357 Depth=4
	s_or_b64 exec, exec, s[28:29]
	v_lshrrev_b16_e32 v0, 8, v20
	v_cmp_ne_u16_e32 vcc, 0, v0
	v_mov_b32_e32 v2, 0
	v_mov_b32_e32 v26, 0
	s_and_saveexec_b64 s[28:29], vcc
	s_cbranch_execz .LBB6_1553
; %bb.1546:                             ;   in Loop: Header=BB6_357 Depth=4
	v_cmp_ne_u16_e32 vcc, s44, v0
	v_bfrev_b32_e32 v26, 1
	s_and_saveexec_b64 s[30:31], vcc
	s_cbranch_execz .LBB6_1552
; %bb.1547:                             ;   in Loop: Header=BB6_357 Depth=4
	v_and_b32_e32 v1, 0x7c, v0
	v_and_b32_e32 v27, 3, v0
	v_cmp_ne_u32_e32 vcc, s81, v1
                                        ; implicit-def: $vgpr26
	s_and_saveexec_b64 s[34:35], vcc
	s_xor_b64 s[34:35], exec, s[34:35]
	s_cbranch_execz .LBB6_1549
; %bb.1548:                             ;   in Loop: Header=BB6_357 Depth=4
	v_ffbh_u32_e32 v28, v27
	v_min_u32_e32 v28, 32, v28
	v_mov_b32_e32 v1, v34
	v_subrev_u32_e32 v29, 29, v28
	v_bfe_u32 v26, v0, 2, 5
	v_lshlrev_b64 v[0:1], v29, v[0:1]
	v_sub_u32_e32 v1, 30, v28
	v_cmp_eq_u32_e32 vcc, 0, v26
	v_cndmask_b32_e32 v1, v26, v1, vcc
	v_lshlrev_b32_e32 v26, 16, v20
	v_and_b32_e32 v0, 3, v0
	v_and_b32_e32 v26, 0x80000000, v26
	v_cndmask_b32_e32 v0, v27, v0, vcc
	v_lshl_add_u32 v1, v1, 23, v26
	v_lshl_or_b32 v0, v0, 21, v1
	v_add_u32_e32 v26, 0x38000000, v0
                                        ; implicit-def: $vgpr27
.LBB6_1549:                             ;   in Loop: Header=BB6_357 Depth=4
	s_andn2_saveexec_b64 s[34:35], s[34:35]
; %bb.1550:                             ;   in Loop: Header=BB6_357 Depth=4
	v_cmp_lt_i16_e32 vcc, -1, v20
	v_mov_b32_e32 v0, 0xff800000
	v_mov_b32_e32 v1, 0x7f800000
	v_cndmask_b32_e32 v0, v0, v1, vcc
	v_cmp_eq_u32_e32 vcc, 0, v27
	v_mov_b32_e32 v1, 0x7f800001
	v_cndmask_b32_e32 v26, v1, v0, vcc
; %bb.1551:                             ;   in Loop: Header=BB6_357 Depth=4
	s_or_b64 exec, exec, s[34:35]
.LBB6_1552:                             ;   in Loop: Header=BB6_357 Depth=4
	s_or_b64 exec, exec, s[30:31]
.LBB6_1553:                             ;   in Loop: Header=BB6_357 Depth=4
	s_or_b64 exec, exec, s[28:29]
	v_lshrrev_b16_e32 v0, 8, v16
	v_cmp_ne_u16_e32 vcc, 0, v0
	s_and_saveexec_b64 s[28:29], vcc
	s_cbranch_execz .LBB6_1561
; %bb.1554:                             ;   in Loop: Header=BB6_357 Depth=4
	v_cmp_ne_u16_e32 vcc, s44, v0
	v_bfrev_b32_e32 v2, 1
	s_and_saveexec_b64 s[30:31], vcc
	s_cbranch_execz .LBB6_1560
; %bb.1555:                             ;   in Loop: Header=BB6_357 Depth=4
	v_and_b32_e32 v1, 0x7c, v0
	v_and_b32_e32 v27, 3, v0
	v_cmp_ne_u32_e32 vcc, s81, v1
                                        ; implicit-def: $vgpr2
	s_and_saveexec_b64 s[34:35], vcc
	s_xor_b64 s[34:35], exec, s[34:35]
	s_cbranch_execz .LBB6_1557
; %bb.1556:                             ;   in Loop: Header=BB6_357 Depth=4
	v_ffbh_u32_e32 v28, v27
	v_min_u32_e32 v28, 32, v28
	v_mov_b32_e32 v1, v34
	v_subrev_u32_e32 v29, 29, v28
	v_bfe_u32 v2, v0, 2, 5
	v_lshlrev_b64 v[0:1], v29, v[0:1]
	v_sub_u32_e32 v1, 30, v28
	v_cmp_eq_u32_e32 vcc, 0, v2
	v_cndmask_b32_e32 v1, v2, v1, vcc
	v_lshlrev_b32_e32 v2, 16, v16
	v_and_b32_e32 v0, 3, v0
	v_and_b32_e32 v2, 0x80000000, v2
	v_cndmask_b32_e32 v0, v27, v0, vcc
	v_lshl_add_u32 v1, v1, 23, v2
	v_lshl_or_b32 v0, v0, 21, v1
	v_add_u32_e32 v2, 0x38000000, v0
                                        ; implicit-def: $vgpr27
.LBB6_1557:                             ;   in Loop: Header=BB6_357 Depth=4
	s_andn2_saveexec_b64 s[34:35], s[34:35]
; %bb.1558:                             ;   in Loop: Header=BB6_357 Depth=4
	v_cmp_lt_i16_e32 vcc, -1, v16
	v_mov_b32_e32 v0, 0xff800000
	v_mov_b32_e32 v1, 0x7f800000
	v_cndmask_b32_e32 v0, v0, v1, vcc
	v_cmp_eq_u32_e32 vcc, 0, v27
	v_mov_b32_e32 v1, 0x7f800001
	v_cndmask_b32_e32 v2, v1, v0, vcc
; %bb.1559:                             ;   in Loop: Header=BB6_357 Depth=4
	s_or_b64 exec, exec, s[34:35]
.LBB6_1560:                             ;   in Loop: Header=BB6_357 Depth=4
	s_or_b64 exec, exec, s[30:31]
.LBB6_1561:                             ;   in Loop: Header=BB6_357 Depth=4
	s_or_b64 exec, exec, s[28:29]
	v_mul_f32_e32 v0, v26, v2
	v_and_b32_e32 v1, 0x7f800000, v0
	v_mov_b32_e32 v2, v34
	v_cmp_ne_u64_e32 vcc, s[76:77], v[1:2]
	v_and_b32_e32 v33, 0x7fffff, v0
                                        ; implicit-def: $vgpr26
	s_and_saveexec_b64 s[28:29], vcc
	s_xor_b64 s[30:31], exec, s[28:29]
	s_cbranch_execz .LBB6_1575
; %bb.1562:                             ;   in Loop: Header=BB6_357 Depth=4
	v_and_b32_e32 v1, 0x7fffffff, v0
	v_mov_b32_e32 v2, v34
	v_cmp_gt_u64_e32 vcc, s[78:79], v[1:2]
	v_and_b32_sdwa v27, v0, s44 dst_sel:DWORD dst_unused:UNUSED_PAD src0_sel:BYTE_3 src1_sel:DWORD
                                        ; implicit-def: $vgpr26
	s_and_saveexec_b64 s[28:29], vcc
	s_xor_b64 s[34:35], exec, s[28:29]
	s_cbranch_execz .LBB6_1572
; %bb.1563:                             ;   in Loop: Header=BB6_357 Depth=4
	v_mov_b32_e32 v26, 0
	v_cmp_ne_u32_e32 vcc, 0, v0
	s_and_saveexec_b64 s[36:37], vcc
	s_cbranch_execz .LBB6_1571
; %bb.1564:                             ;   in Loop: Header=BB6_357 Depth=4
	v_bfe_u32 v26, v0, 23, 8
	v_cmp_gt_u32_e64 s[28:29], s45, v26
	v_sub_u32_e32 v0, 0x71, v26
	v_cmp_eq_u32_e32 vcc, 0, v26
	v_cndmask_b32_e64 v0, 0, v0, s[28:29]
	v_mov_b32_e32 v2, 0x70
	v_cndmask_b32_e32 v36, v0, v2, vcc
	v_add_u32_e32 v2, 21, v36
	v_or_b32_e32 v1, 0x800000, v33
	v_lshlrev_b64 v[37:38], v2, -1
	v_cndmask_b32_e32 v0, v1, v33, vcc
	v_mov_b32_e32 v1, v34
	v_add_u32_e32 v2, 20, v36
	v_bfi_b32 v37, v37, 0, v0
	v_lshlrev_b64 v[48:49], v2, 1
	v_lshrrev_b64 v[0:1], v36, v[0:1]
	v_bfi_b32 v38, v38, 0, 0
	v_cmp_eq_u64_e64 s[28:29], v[37:38], v[48:49]
	v_mov_b32_e32 v2, v1
	v_mov_b32_e32 v1, v0
	s_and_saveexec_b64 s[38:39], s[28:29]
; %bb.1565:                             ;   in Loop: Header=BB6_357 Depth=4
	v_bfe_u32 v1, v0, 21, 1
	v_add_co_u32_e64 v1, s[28:29], v0, v1
	v_add_co_u32_e64 v1, s[28:29], -1, v1
; %bb.1566:                             ;   in Loop: Header=BB6_357 Depth=4
	s_or_b64 exec, exec, s[38:39]
	v_add_u32_e32 v2, 0xffffff81, v26
	v_mov_b32_e32 v26, 0xffffff82
	v_cndmask_b32_e32 v2, v2, v26, vcc
	v_lshrrev_b32_e32 v26, 23, v0
	v_add3_u32 v36, v36, v2, v26
	v_add_u32_e32 v26, 14, v36
	v_and_b32_e32 v1, 0x1fffff, v1
	v_add_u32_e32 v33, v1, v0
	v_cmp_ne_u32_e32 vcc, 0, v26
                                        ; implicit-def: $vgpr0_vgpr1
                                        ; implicit-def: $vgpr2
	s_and_saveexec_b64 s[28:29], vcc
	s_xor_b64 s[28:29], exec, s[28:29]
; %bb.1567:                             ;   in Loop: Header=BB6_357 Depth=4
	v_cmp_lt_u64_e32 vcc, s[88:89], v[33:34]
	v_add_u32_e32 v0, 15, v36
	v_cndmask_b32_e32 v2, v26, v0, vcc
	v_cndmask_b32_e64 v0, 0, 1, vcc
	v_lshrrev_b64 v[0:1], v0, v[33:34]
; %bb.1568:                             ;   in Loop: Header=BB6_357 Depth=4
	s_andn2_saveexec_b64 s[28:29], s[28:29]
; %bb.1569:                             ;   in Loop: Header=BB6_357 Depth=4
	v_mov_b32_e32 v0, v33
	v_mov_b32_e32 v1, v34
	v_bfe_u32 v2, v33, 23, 1
; %bb.1570:                             ;   in Loop: Header=BB6_357 Depth=4
	s_or_b64 exec, exec, s[28:29]
	v_lshrrev_b64 v[0:1], 21, v[0:1]
	v_cmp_gt_i32_e32 vcc, 32, v2
	v_cndmask_b32_e32 v1, 0, v1, vcc
	v_cndmask_b32_e32 v0, 3, v0, vcc
	v_cmp_eq_u64_e64 s[28:29], 0, v[0:1]
	v_min_i32_e32 v1, 31, v2
	v_lshlrev_b32_e32 v1, 2, v1
	v_cmp_eq_u32_e32 vcc, 0, v2
	v_and_b32_e32 v1, 0xfc, v1
	v_and_or_b32 v0, v0, 3, v1
	s_and_b64 s[28:29], vcc, s[28:29]
	v_cndmask_b32_e64 v0, v0, 0, s[28:29]
	v_or_b32_e32 v26, v0, v27
.LBB6_1571:                             ;   in Loop: Header=BB6_357 Depth=4
	s_or_b64 exec, exec, s[36:37]
                                        ; implicit-def: $vgpr27
.LBB6_1572:                             ;   in Loop: Header=BB6_357 Depth=4
	s_andn2_saveexec_b64 s[28:29], s[34:35]
; %bb.1573:                             ;   in Loop: Header=BB6_357 Depth=4
	v_or_b32_e32 v26, 0x7b, v27
; %bb.1574:                             ;   in Loop: Header=BB6_357 Depth=4
	s_or_b64 exec, exec, s[28:29]
                                        ; implicit-def: $vgpr0
.LBB6_1575:                             ;   in Loop: Header=BB6_357 Depth=4
	s_andn2_saveexec_b64 s[28:29], s[30:31]
	s_cbranch_execz .LBB6_1581
; %bb.1576:                             ;   in Loop: Header=BB6_357 Depth=4
	v_cmp_ne_u64_e32 vcc, 0, v[33:34]
                                        ; implicit-def: $vgpr26
	s_and_saveexec_b64 s[30:31], vcc
	s_xor_b64 vcc, exec, s[30:31]
; %bb.1577:                             ;   in Loop: Header=BB6_357 Depth=4
	v_or_b32_sdwa v26, v0, s83 dst_sel:DWORD dst_unused:UNUSED_PAD src0_sel:BYTE_3 src1_sel:DWORD
                                        ; implicit-def: $vgpr0
; %bb.1578:                             ;   in Loop: Header=BB6_357 Depth=4
	s_andn2_saveexec_b64 s[30:31], vcc
; %bb.1579:                             ;   in Loop: Header=BB6_357 Depth=4
	v_cmp_lt_i32_e32 vcc, -1, v0
	v_bfrev_b32_e32 v0, 0.5
	v_mov_b32_e32 v1, 0x7c
	v_cndmask_b32_e32 v26, v0, v1, vcc
; %bb.1580:                             ;   in Loop: Header=BB6_357 Depth=4
	s_or_b64 exec, exec, s[30:31]
.LBB6_1581:                             ;   in Loop: Header=BB6_357 Depth=4
	s_or_b64 exec, exec, s[28:29]
	v_lshrrev_b32_e32 v0, 16, v20
	v_cmp_ne_u16_sdwa vcc, v0, v34 src0_sel:BYTE_0 src1_sel:DWORD
	v_mov_b32_e32 v1, 0
	v_mov_b32_e32 v2, 0
	s_and_saveexec_b64 s[28:29], vcc
	s_cbranch_execz .LBB6_1589
; %bb.1582:                             ;   in Loop: Header=BB6_357 Depth=4
	v_cmp_ne_u16_sdwa vcc, v0, s44 src0_sel:BYTE_0 src1_sel:DWORD
	v_bfrev_b32_e32 v2, 1
	s_and_saveexec_b64 s[30:31], vcc
	s_cbranch_execz .LBB6_1588
; %bb.1583:                             ;   in Loop: Header=BB6_357 Depth=4
	v_and_b32_e32 v2, 0x7c0000, v20
	v_bfe_u32 v27, v20, 16, 2
	v_cmp_ne_u32_e32 vcc, s9, v2
                                        ; implicit-def: $vgpr2
	s_and_saveexec_b64 s[34:35], vcc
	s_xor_b64 s[34:35], exec, s[34:35]
	s_cbranch_execz .LBB6_1585
; %bb.1584:                             ;   in Loop: Header=BB6_357 Depth=4
	v_ffbh_u32_e32 v28, v27
	v_min_u32_e32 v28, 32, v28
	v_subrev_u32_e32 v29, 29, v28
	v_lshlrev_b64 v[36:37], v29, v[0:1]
	v_bfe_u32 v2, v20, 18, 5
	v_sub_u32_e32 v0, 30, v28
	v_and_b32_e32 v28, 3, v36
	v_cmp_eq_u32_e32 vcc, 0, v2
	v_cndmask_b32_e32 v0, v2, v0, vcc
	v_cndmask_b32_e32 v2, v27, v28, vcc
	v_lshlrev_b32_e32 v27, 8, v20
	v_and_b32_e32 v27, 0x80000000, v27
	v_lshl_add_u32 v0, v0, 23, v27
	v_lshl_or_b32 v0, v2, 21, v0
	v_add_u32_e32 v2, 0x38000000, v0
                                        ; implicit-def: $vgpr27
                                        ; implicit-def: $vgpr0
.LBB6_1585:                             ;   in Loop: Header=BB6_357 Depth=4
	s_andn2_saveexec_b64 s[34:35], s[34:35]
; %bb.1586:                             ;   in Loop: Header=BB6_357 Depth=4
	v_mov_b32_e32 v2, -1
	v_cmp_gt_i16_sdwa vcc, sext(v0), v2 src0_sel:BYTE_0 src1_sel:DWORD
	v_mov_b32_e32 v0, 0xff800000
	v_mov_b32_e32 v2, 0x7f800000
	v_cndmask_b32_e32 v0, v0, v2, vcc
	v_cmp_eq_u32_e32 vcc, 0, v27
	v_mov_b32_e32 v2, 0x7f800001
	v_cndmask_b32_e32 v2, v2, v0, vcc
; %bb.1587:                             ;   in Loop: Header=BB6_357 Depth=4
	s_or_b64 exec, exec, s[34:35]
.LBB6_1588:                             ;   in Loop: Header=BB6_357 Depth=4
	s_or_b64 exec, exec, s[30:31]
.LBB6_1589:                             ;   in Loop: Header=BB6_357 Depth=4
	s_or_b64 exec, exec, s[28:29]
	v_lshrrev_b32_e32 v0, 16, v16
	v_cmp_ne_u16_sdwa vcc, v0, v34 src0_sel:BYTE_0 src1_sel:DWORD
	s_and_saveexec_b64 s[28:29], vcc
	s_cbranch_execz .LBB6_1597
; %bb.1590:                             ;   in Loop: Header=BB6_357 Depth=4
	v_cmp_ne_u16_sdwa vcc, v0, s44 src0_sel:BYTE_0 src1_sel:DWORD
	v_bfrev_b32_e32 v1, 1
	s_and_saveexec_b64 s[30:31], vcc
	s_cbranch_execz .LBB6_1596
; %bb.1591:                             ;   in Loop: Header=BB6_357 Depth=4
	v_and_b32_e32 v1, 0x7c0000, v16
	v_bfe_u32 v27, v16, 16, 2
	v_cmp_ne_u32_e32 vcc, s9, v1
                                        ; implicit-def: $vgpr1
	s_and_saveexec_b64 s[34:35], vcc
	s_xor_b64 s[34:35], exec, s[34:35]
	s_cbranch_execz .LBB6_1593
; %bb.1592:                             ;   in Loop: Header=BB6_357 Depth=4
	v_ffbh_u32_e32 v1, v27
	v_min_u32_e32 v29, 32, v1
	v_subrev_u32_e32 v1, 29, v29
	v_lshlrev_b64 v[0:1], v1, v[0:1]
	v_bfe_u32 v28, v16, 18, 5
	v_and_b32_e32 v0, 3, v0
	v_cmp_eq_u32_e32 vcc, 0, v28
	v_sub_u32_e32 v1, 30, v29
	v_cndmask_b32_e32 v0, v27, v0, vcc
	v_lshlrev_b32_e32 v27, 8, v16
	v_cndmask_b32_e32 v1, v28, v1, vcc
	v_and_b32_e32 v27, 0x80000000, v27
	v_lshl_add_u32 v1, v1, 23, v27
	v_lshl_or_b32 v0, v0, 21, v1
	v_add_u32_e32 v1, 0x38000000, v0
                                        ; implicit-def: $vgpr27
                                        ; implicit-def: $vgpr0
.LBB6_1593:                             ;   in Loop: Header=BB6_357 Depth=4
	s_andn2_saveexec_b64 s[34:35], s[34:35]
; %bb.1594:                             ;   in Loop: Header=BB6_357 Depth=4
	v_mov_b32_e32 v1, -1
	v_cmp_gt_i16_sdwa vcc, sext(v0), v1 src0_sel:BYTE_0 src1_sel:DWORD
	v_mov_b32_e32 v0, 0xff800000
	v_mov_b32_e32 v1, 0x7f800000
	v_cndmask_b32_e32 v0, v0, v1, vcc
	v_cmp_eq_u32_e32 vcc, 0, v27
	v_mov_b32_e32 v1, 0x7f800001
	v_cndmask_b32_e32 v1, v1, v0, vcc
; %bb.1595:                             ;   in Loop: Header=BB6_357 Depth=4
	s_or_b64 exec, exec, s[34:35]
.LBB6_1596:                             ;   in Loop: Header=BB6_357 Depth=4
	s_or_b64 exec, exec, s[30:31]
.LBB6_1597:                             ;   in Loop: Header=BB6_357 Depth=4
	s_or_b64 exec, exec, s[28:29]
	v_mul_f32_e32 v0, v2, v1
	v_and_b32_e32 v1, 0x7f800000, v0
	v_mov_b32_e32 v2, v34
	v_cmp_ne_u64_e32 vcc, s[76:77], v[1:2]
	v_and_b32_e32 v33, 0x7fffff, v0
                                        ; implicit-def: $vgpr27
	s_and_saveexec_b64 s[28:29], vcc
	s_xor_b64 s[30:31], exec, s[28:29]
	s_cbranch_execz .LBB6_1611
; %bb.1598:                             ;   in Loop: Header=BB6_357 Depth=4
	v_and_b32_e32 v1, 0x7fffffff, v0
	v_mov_b32_e32 v2, v34
	v_cmp_gt_u64_e32 vcc, s[78:79], v[1:2]
	v_and_b32_sdwa v36, v0, s44 dst_sel:DWORD dst_unused:UNUSED_PAD src0_sel:BYTE_3 src1_sel:DWORD
                                        ; implicit-def: $vgpr27
	s_and_saveexec_b64 s[28:29], vcc
	s_xor_b64 s[34:35], exec, s[28:29]
	s_cbranch_execz .LBB6_1608
; %bb.1599:                             ;   in Loop: Header=BB6_357 Depth=4
	v_mov_b32_e32 v27, 0
	v_cmp_ne_u32_e32 vcc, 0, v0
	s_and_saveexec_b64 s[36:37], vcc
	s_cbranch_execz .LBB6_1607
; %bb.1600:                             ;   in Loop: Header=BB6_357 Depth=4
	v_bfe_u32 v27, v0, 23, 8
	v_cmp_gt_u32_e64 s[28:29], s45, v27
	v_sub_u32_e32 v0, 0x71, v27
	v_cmp_eq_u32_e32 vcc, 0, v27
	v_cndmask_b32_e64 v0, 0, v0, s[28:29]
	v_mov_b32_e32 v2, 0x70
	v_cndmask_b32_e32 v37, v0, v2, vcc
	v_add_u32_e32 v2, 21, v37
	v_or_b32_e32 v1, 0x800000, v33
	v_lshlrev_b64 v[38:39], v2, -1
	v_cndmask_b32_e32 v0, v1, v33, vcc
	v_mov_b32_e32 v1, v34
	v_add_u32_e32 v2, 20, v37
	v_bfi_b32 v38, v38, 0, v0
	v_lshlrev_b64 v[48:49], v2, 1
	v_lshrrev_b64 v[0:1], v37, v[0:1]
	v_bfi_b32 v39, v39, 0, 0
	v_cmp_eq_u64_e64 s[28:29], v[38:39], v[48:49]
	v_mov_b32_e32 v2, v1
	v_mov_b32_e32 v1, v0
	s_and_saveexec_b64 s[38:39], s[28:29]
; %bb.1601:                             ;   in Loop: Header=BB6_357 Depth=4
	v_bfe_u32 v1, v0, 21, 1
	v_add_co_u32_e64 v1, s[28:29], v0, v1
	v_add_co_u32_e64 v1, s[28:29], -1, v1
; %bb.1602:                             ;   in Loop: Header=BB6_357 Depth=4
	s_or_b64 exec, exec, s[38:39]
	v_add_u32_e32 v2, 0xffffff81, v27
	v_mov_b32_e32 v27, 0xffffff82
	v_cndmask_b32_e32 v2, v2, v27, vcc
	v_lshrrev_b32_e32 v27, 23, v0
	v_add3_u32 v37, v37, v2, v27
	v_add_u32_e32 v27, 14, v37
	v_and_b32_e32 v1, 0x1fffff, v1
	v_add_u32_e32 v33, v1, v0
	v_cmp_ne_u32_e32 vcc, 0, v27
                                        ; implicit-def: $vgpr0_vgpr1
                                        ; implicit-def: $vgpr2
	s_and_saveexec_b64 s[28:29], vcc
	s_xor_b64 s[28:29], exec, s[28:29]
; %bb.1603:                             ;   in Loop: Header=BB6_357 Depth=4
	v_cmp_lt_u64_e32 vcc, s[88:89], v[33:34]
	v_add_u32_e32 v0, 15, v37
	v_cndmask_b32_e32 v2, v27, v0, vcc
	v_cndmask_b32_e64 v0, 0, 1, vcc
	v_lshrrev_b64 v[0:1], v0, v[33:34]
; %bb.1604:                             ;   in Loop: Header=BB6_357 Depth=4
	s_andn2_saveexec_b64 s[28:29], s[28:29]
; %bb.1605:                             ;   in Loop: Header=BB6_357 Depth=4
	v_mov_b32_e32 v0, v33
	v_mov_b32_e32 v1, v34
	v_bfe_u32 v2, v33, 23, 1
; %bb.1606:                             ;   in Loop: Header=BB6_357 Depth=4
	s_or_b64 exec, exec, s[28:29]
	v_lshrrev_b64 v[0:1], 21, v[0:1]
	v_cmp_gt_i32_e32 vcc, 32, v2
	v_cndmask_b32_e32 v1, 0, v1, vcc
	v_cndmask_b32_e32 v0, 3, v0, vcc
	v_cmp_eq_u64_e64 s[28:29], 0, v[0:1]
	v_min_i32_e32 v1, 31, v2
	v_lshlrev_b32_e32 v1, 2, v1
	v_cmp_eq_u32_e32 vcc, 0, v2
	v_and_b32_e32 v1, 0xfc, v1
	v_and_or_b32 v0, v0, 3, v1
	s_and_b64 s[28:29], vcc, s[28:29]
	v_cndmask_b32_e64 v0, v0, 0, s[28:29]
	v_or_b32_e32 v27, v0, v36
.LBB6_1607:                             ;   in Loop: Header=BB6_357 Depth=4
	s_or_b64 exec, exec, s[36:37]
                                        ; implicit-def: $vgpr36
.LBB6_1608:                             ;   in Loop: Header=BB6_357 Depth=4
	s_andn2_saveexec_b64 s[28:29], s[34:35]
; %bb.1609:                             ;   in Loop: Header=BB6_357 Depth=4
	v_or_b32_e32 v27, 0x7b, v36
; %bb.1610:                             ;   in Loop: Header=BB6_357 Depth=4
	s_or_b64 exec, exec, s[28:29]
                                        ; implicit-def: $vgpr0
.LBB6_1611:                             ;   in Loop: Header=BB6_357 Depth=4
	s_andn2_saveexec_b64 s[28:29], s[30:31]
	s_cbranch_execz .LBB6_1617
; %bb.1612:                             ;   in Loop: Header=BB6_357 Depth=4
	v_cmp_ne_u64_e32 vcc, 0, v[33:34]
                                        ; implicit-def: $vgpr27
	s_and_saveexec_b64 s[30:31], vcc
	s_xor_b64 vcc, exec, s[30:31]
; %bb.1613:                             ;   in Loop: Header=BB6_357 Depth=4
	v_or_b32_sdwa v27, v0, s83 dst_sel:DWORD dst_unused:UNUSED_PAD src0_sel:BYTE_3 src1_sel:DWORD
                                        ; implicit-def: $vgpr0
; %bb.1614:                             ;   in Loop: Header=BB6_357 Depth=4
	s_andn2_saveexec_b64 s[30:31], vcc
; %bb.1615:                             ;   in Loop: Header=BB6_357 Depth=4
	v_cmp_lt_i32_e32 vcc, -1, v0
	v_bfrev_b32_e32 v0, 0.5
	v_mov_b32_e32 v1, 0x7c
	v_cndmask_b32_e32 v27, v0, v1, vcc
; %bb.1616:                             ;   in Loop: Header=BB6_357 Depth=4
	s_or_b64 exec, exec, s[30:31]
.LBB6_1617:                             ;   in Loop: Header=BB6_357 Depth=4
	s_or_b64 exec, exec, s[28:29]
	v_cmp_lt_u32_e32 vcc, s57, v20
	v_mov_b32_e32 v1, 0
	v_mov_b32_e32 v2, 0
	s_and_saveexec_b64 s[28:29], vcc
	s_cbranch_execz .LBB6_1625
; %bb.1618:                             ;   in Loop: Header=BB6_357 Depth=4
	v_lshrrev_b32_e32 v0, 24, v20
	v_cmp_ne_u32_e32 vcc, s44, v0
	v_bfrev_b32_e32 v2, 1
	s_and_saveexec_b64 s[30:31], vcc
	s_cbranch_execz .LBB6_1624
; %bb.1619:                             ;   in Loop: Header=BB6_357 Depth=4
	v_and_b32_e32 v2, 0x7c000000, v20
	v_bfe_u32 v33, v20, 24, 2
	v_cmp_ne_u32_e32 vcc, s8, v2
                                        ; implicit-def: $vgpr2
	s_and_saveexec_b64 s[34:35], vcc
	s_xor_b64 s[34:35], exec, s[34:35]
	s_cbranch_execz .LBB6_1621
; %bb.1620:                             ;   in Loop: Header=BB6_357 Depth=4
	v_ffbh_u32_e32 v28, v33
	v_min_u32_e32 v28, 32, v28
	v_subrev_u32_e32 v29, 29, v28
	v_lshlrev_b64 v[36:37], v29, v[0:1]
	v_bfe_u32 v2, v20, 26, 5
	v_sub_u32_e32 v0, 30, v28
	v_and_b32_e32 v28, 3, v36
	v_cmp_eq_u32_e32 vcc, 0, v2
	v_cndmask_b32_e32 v0, v2, v0, vcc
	v_cndmask_b32_e32 v2, v33, v28, vcc
	v_and_b32_e32 v28, 0x80000000, v20
	v_lshl_add_u32 v0, v0, 23, v28
	v_lshl_or_b32 v0, v2, 21, v0
	v_add_u32_e32 v2, 0x38000000, v0
                                        ; implicit-def: $vgpr33
.LBB6_1621:                             ;   in Loop: Header=BB6_357 Depth=4
	s_andn2_saveexec_b64 s[34:35], s[34:35]
; %bb.1622:                             ;   in Loop: Header=BB6_357 Depth=4
	v_cmp_lt_i32_e32 vcc, -1, v20
	v_mov_b32_e32 v0, 0xff800000
	v_mov_b32_e32 v2, 0x7f800000
	v_cndmask_b32_e32 v0, v0, v2, vcc
	v_cmp_eq_u32_e32 vcc, 0, v33
	v_mov_b32_e32 v2, 0x7f800001
	v_cndmask_b32_e32 v2, v2, v0, vcc
; %bb.1623:                             ;   in Loop: Header=BB6_357 Depth=4
	s_or_b64 exec, exec, s[34:35]
.LBB6_1624:                             ;   in Loop: Header=BB6_357 Depth=4
	s_or_b64 exec, exec, s[30:31]
.LBB6_1625:                             ;   in Loop: Header=BB6_357 Depth=4
	s_or_b64 exec, exec, s[28:29]
	v_cmp_lt_u32_e32 vcc, s57, v16
	s_and_saveexec_b64 s[28:29], vcc
	s_cbranch_execz .LBB6_1633
; %bb.1626:                             ;   in Loop: Header=BB6_357 Depth=4
	v_lshrrev_b32_e32 v0, 24, v16
	v_cmp_ne_u32_e32 vcc, s44, v0
	v_bfrev_b32_e32 v1, 1
	s_and_saveexec_b64 s[30:31], vcc
	s_cbranch_execz .LBB6_1632
; %bb.1627:                             ;   in Loop: Header=BB6_357 Depth=4
	v_and_b32_e32 v1, 0x7c000000, v16
	v_bfe_u32 v33, v16, 24, 2
	v_cmp_ne_u32_e32 vcc, s8, v1
                                        ; implicit-def: $vgpr1
	s_and_saveexec_b64 s[34:35], vcc
	s_xor_b64 s[34:35], exec, s[34:35]
	s_cbranch_execz .LBB6_1629
; %bb.1628:                             ;   in Loop: Header=BB6_357 Depth=4
	v_ffbh_u32_e32 v1, v33
	v_min_u32_e32 v29, 32, v1
	v_subrev_u32_e32 v1, 29, v29
	v_bfe_u32 v28, v16, 26, 5
	v_lshlrev_b64 v[0:1], v1, v[0:1]
	v_sub_u32_e32 v1, 30, v29
	v_cmp_eq_u32_e32 vcc, 0, v28
	v_and_b32_e32 v0, 3, v0
	v_cndmask_b32_e32 v1, v28, v1, vcc
	v_and_b32_e32 v28, 0x80000000, v16
	v_cndmask_b32_e32 v0, v33, v0, vcc
	v_lshl_add_u32 v1, v1, 23, v28
	v_lshl_or_b32 v0, v0, 21, v1
	v_add_u32_e32 v1, 0x38000000, v0
                                        ; implicit-def: $vgpr33
.LBB6_1629:                             ;   in Loop: Header=BB6_357 Depth=4
	s_andn2_saveexec_b64 s[34:35], s[34:35]
; %bb.1630:                             ;   in Loop: Header=BB6_357 Depth=4
	v_cmp_lt_i32_e32 vcc, -1, v16
	v_mov_b32_e32 v0, 0xff800000
	v_mov_b32_e32 v1, 0x7f800000
	v_cndmask_b32_e32 v0, v0, v1, vcc
	v_cmp_eq_u32_e32 vcc, 0, v33
	v_mov_b32_e32 v1, 0x7f800001
	v_cndmask_b32_e32 v1, v1, v0, vcc
; %bb.1631:                             ;   in Loop: Header=BB6_357 Depth=4
	s_or_b64 exec, exec, s[34:35]
.LBB6_1632:                             ;   in Loop: Header=BB6_357 Depth=4
	s_or_b64 exec, exec, s[30:31]
.LBB6_1633:                             ;   in Loop: Header=BB6_357 Depth=4
	s_or_b64 exec, exec, s[28:29]
	v_mul_f32_e32 v0, v2, v1
	v_and_b32_e32 v1, 0x7f800000, v0
	v_mov_b32_e32 v2, v34
	v_cmp_ne_u64_e32 vcc, s[76:77], v[1:2]
	v_and_b32_e32 v33, 0x7fffff, v0
                                        ; implicit-def: $vgpr54
	s_and_saveexec_b64 s[28:29], vcc
	s_xor_b64 s[30:31], exec, s[28:29]
	s_cbranch_execz .LBB6_1647
; %bb.1634:                             ;   in Loop: Header=BB6_357 Depth=4
	v_and_b32_e32 v1, 0x7fffffff, v0
	v_mov_b32_e32 v2, v34
	v_cmp_gt_u64_e32 vcc, s[78:79], v[1:2]
	v_and_b32_sdwa v36, v0, s44 dst_sel:DWORD dst_unused:UNUSED_PAD src0_sel:BYTE_3 src1_sel:DWORD
                                        ; implicit-def: $vgpr54
	s_and_saveexec_b64 s[28:29], vcc
	s_xor_b64 s[34:35], exec, s[28:29]
	s_cbranch_execz .LBB6_1644
; %bb.1635:                             ;   in Loop: Header=BB6_357 Depth=4
	v_mov_b32_e32 v54, 0
	v_cmp_ne_u32_e32 vcc, 0, v0
	s_and_saveexec_b64 s[36:37], vcc
	s_cbranch_execz .LBB6_1643
; %bb.1636:                             ;   in Loop: Header=BB6_357 Depth=4
	v_bfe_u32 v37, v0, 23, 8
	v_cmp_gt_u32_e64 s[28:29], s45, v37
	v_sub_u32_e32 v0, 0x71, v37
	v_cmp_eq_u32_e32 vcc, 0, v37
	v_cndmask_b32_e64 v0, 0, v0, s[28:29]
	v_mov_b32_e32 v2, 0x70
	v_cndmask_b32_e32 v38, v0, v2, vcc
	v_add_u32_e32 v2, 21, v38
	v_or_b32_e32 v1, 0x800000, v33
	v_lshlrev_b64 v[48:49], v2, -1
	v_cndmask_b32_e32 v0, v1, v33, vcc
	v_mov_b32_e32 v1, v34
	v_add_u32_e32 v2, 20, v38
	v_bfi_b32 v48, v48, 0, v0
	v_lshlrev_b64 v[50:51], v2, 1
	v_lshrrev_b64 v[0:1], v38, v[0:1]
	v_bfi_b32 v49, v49, 0, 0
	v_cmp_eq_u64_e64 s[28:29], v[48:49], v[50:51]
	v_mov_b32_e32 v2, v1
	v_mov_b32_e32 v1, v0
	s_and_saveexec_b64 s[38:39], s[28:29]
; %bb.1637:                             ;   in Loop: Header=BB6_357 Depth=4
	v_bfe_u32 v1, v0, 21, 1
	v_add_co_u32_e64 v1, s[28:29], v0, v1
	v_add_co_u32_e64 v1, s[28:29], -1, v1
; %bb.1638:                             ;   in Loop: Header=BB6_357 Depth=4
	s_or_b64 exec, exec, s[38:39]
	v_add_u32_e32 v2, 0xffffff81, v37
	v_mov_b32_e32 v28, 0xffffff82
	v_cndmask_b32_e32 v2, v2, v28, vcc
	v_lshrrev_b32_e32 v28, 23, v0
	v_add3_u32 v38, v38, v2, v28
	v_add_u32_e32 v37, 14, v38
	v_and_b32_e32 v1, 0x1fffff, v1
	v_add_u32_e32 v33, v1, v0
	v_cmp_ne_u32_e32 vcc, 0, v37
                                        ; implicit-def: $vgpr0_vgpr1
                                        ; implicit-def: $vgpr2
	s_and_saveexec_b64 s[28:29], vcc
	s_xor_b64 s[28:29], exec, s[28:29]
; %bb.1639:                             ;   in Loop: Header=BB6_357 Depth=4
	v_cmp_lt_u64_e32 vcc, s[88:89], v[33:34]
	v_add_u32_e32 v0, 15, v38
	v_cndmask_b32_e32 v2, v37, v0, vcc
	v_cndmask_b32_e64 v0, 0, 1, vcc
	v_lshrrev_b64 v[0:1], v0, v[33:34]
; %bb.1640:                             ;   in Loop: Header=BB6_357 Depth=4
	s_andn2_saveexec_b64 s[28:29], s[28:29]
; %bb.1641:                             ;   in Loop: Header=BB6_357 Depth=4
	v_mov_b32_e32 v0, v33
	v_mov_b32_e32 v1, v34
	v_bfe_u32 v2, v33, 23, 1
; %bb.1642:                             ;   in Loop: Header=BB6_357 Depth=4
	s_or_b64 exec, exec, s[28:29]
	v_lshrrev_b64 v[0:1], 21, v[0:1]
	v_cmp_gt_i32_e32 vcc, 32, v2
	v_cndmask_b32_e32 v1, 0, v1, vcc
	v_cndmask_b32_e32 v0, 3, v0, vcc
	v_cmp_eq_u64_e64 s[28:29], 0, v[0:1]
	v_min_i32_e32 v1, 31, v2
	v_lshlrev_b32_e32 v1, 2, v1
	v_cmp_eq_u32_e32 vcc, 0, v2
	v_and_b32_e32 v1, 0xfc, v1
	v_and_or_b32 v0, v0, 3, v1
	s_and_b64 s[28:29], vcc, s[28:29]
	v_cndmask_b32_e64 v0, v0, 0, s[28:29]
	v_or_b32_e32 v54, v0, v36
.LBB6_1643:                             ;   in Loop: Header=BB6_357 Depth=4
	s_or_b64 exec, exec, s[36:37]
                                        ; implicit-def: $vgpr36
.LBB6_1644:                             ;   in Loop: Header=BB6_357 Depth=4
	s_andn2_saveexec_b64 s[28:29], s[34:35]
; %bb.1645:                             ;   in Loop: Header=BB6_357 Depth=4
	v_or_b32_e32 v54, 0x7b, v36
; %bb.1646:                             ;   in Loop: Header=BB6_357 Depth=4
	s_or_b64 exec, exec, s[28:29]
                                        ; implicit-def: $vgpr0
.LBB6_1647:                             ;   in Loop: Header=BB6_357 Depth=4
	s_andn2_saveexec_b64 s[28:29], s[30:31]
	s_cbranch_execz .LBB6_1653
; %bb.1648:                             ;   in Loop: Header=BB6_357 Depth=4
	v_cmp_ne_u64_e32 vcc, 0, v[33:34]
                                        ; implicit-def: $vgpr54
	s_and_saveexec_b64 s[30:31], vcc
	s_xor_b64 vcc, exec, s[30:31]
; %bb.1649:                             ;   in Loop: Header=BB6_357 Depth=4
	v_or_b32_sdwa v54, v0, s83 dst_sel:DWORD dst_unused:UNUSED_PAD src0_sel:BYTE_3 src1_sel:DWORD
                                        ; implicit-def: $vgpr0
; %bb.1650:                             ;   in Loop: Header=BB6_357 Depth=4
	s_andn2_saveexec_b64 s[30:31], vcc
; %bb.1651:                             ;   in Loop: Header=BB6_357 Depth=4
	v_cmp_lt_i32_e32 vcc, -1, v0
	v_bfrev_b32_e32 v0, 0.5
	v_mov_b32_e32 v1, 0x7c
	v_cndmask_b32_e32 v54, v0, v1, vcc
; %bb.1652:                             ;   in Loop: Header=BB6_357 Depth=4
	s_or_b64 exec, exec, s[30:31]
.LBB6_1653:                             ;   in Loop: Header=BB6_357 Depth=4
	s_or_b64 exec, exec, s[28:29]
	v_mov_b32_e32 v33, v21
	v_cmp_ne_u16_sdwa vcc, v21, v34 src0_sel:BYTE_0 src1_sel:DWORD
	v_mov_b32_e32 v1, 0
	v_mov_b32_e32 v0, 0
	s_and_saveexec_b64 s[28:29], vcc
	s_cbranch_execz .LBB6_1661
; %bb.1654:                             ;   in Loop: Header=BB6_357 Depth=4
	v_cmp_ne_u16_sdwa vcc, v21, s44 src0_sel:BYTE_0 src1_sel:DWORD
	v_bfrev_b32_e32 v0, 1
	s_and_saveexec_b64 s[30:31], vcc
	s_cbranch_execz .LBB6_1660
; %bb.1655:                             ;   in Loop: Header=BB6_357 Depth=4
	v_and_b32_e32 v0, 0x7c, v21
	v_and_b32_e32 v2, 3, v21
	v_cmp_ne_u32_e32 vcc, s81, v0
                                        ; implicit-def: $vgpr0
	s_and_saveexec_b64 s[34:35], vcc
	s_xor_b64 s[34:35], exec, s[34:35]
	s_cbranch_execz .LBB6_1657
; %bb.1656:                             ;   in Loop: Header=BB6_357 Depth=4
	v_ffbh_u32_e32 v28, v2
	v_min_u32_e32 v28, 32, v28
	v_bfe_u32 v0, v21, 2, 5
	v_subrev_u32_e32 v29, 29, v28
	v_lshlrev_b64 v[36:37], v29, v[33:34]
	v_sub_u32_e32 v28, 30, v28
	v_cmp_eq_u32_e32 vcc, 0, v0
	v_cndmask_b32_e32 v0, v0, v28, vcc
	v_lshlrev_b32_e32 v28, 24, v21
	v_and_b32_e32 v29, 3, v36
	v_and_b32_e32 v28, 0x80000000, v28
	v_cndmask_b32_e32 v2, v2, v29, vcc
	v_lshl_add_u32 v0, v0, 23, v28
	v_lshl_or_b32 v0, v2, 21, v0
	v_add_u32_e32 v0, 0x38000000, v0
                                        ; implicit-def: $vgpr2
.LBB6_1657:                             ;   in Loop: Header=BB6_357 Depth=4
	s_andn2_saveexec_b64 s[34:35], s[34:35]
; %bb.1658:                             ;   in Loop: Header=BB6_357 Depth=4
	v_mov_b32_e32 v0, -1
	v_cmp_gt_i16_sdwa vcc, sext(v21), v0 src0_sel:BYTE_0 src1_sel:DWORD
	v_mov_b32_e32 v0, 0xff800000
	v_mov_b32_e32 v28, 0x7f800000
	v_cndmask_b32_e32 v0, v0, v28, vcc
	v_cmp_eq_u32_e32 vcc, 0, v2
	v_mov_b32_e32 v2, 0x7f800001
	v_cndmask_b32_e32 v0, v2, v0, vcc
; %bb.1659:                             ;   in Loop: Header=BB6_357 Depth=4
	s_or_b64 exec, exec, s[34:35]
.LBB6_1660:                             ;   in Loop: Header=BB6_357 Depth=4
	s_or_b64 exec, exec, s[30:31]
.LBB6_1661:                             ;   in Loop: Header=BB6_357 Depth=4
	s_or_b64 exec, exec, s[28:29]
	v_cmp_ne_u16_sdwa vcc, v17, v34 src0_sel:BYTE_0 src1_sel:DWORD
	s_and_saveexec_b64 s[28:29], vcc
	s_cbranch_execz .LBB6_1669
; %bb.1662:                             ;   in Loop: Header=BB6_357 Depth=4
	v_cmp_ne_u16_sdwa vcc, v17, s44 src0_sel:BYTE_0 src1_sel:DWORD
	v_bfrev_b32_e32 v1, 1
	s_and_saveexec_b64 s[30:31], vcc
	s_cbranch_execz .LBB6_1668
; %bb.1663:                             ;   in Loop: Header=BB6_357 Depth=4
	v_and_b32_e32 v1, 0x7c, v17
	v_and_b32_e32 v2, 3, v17
	v_cmp_ne_u32_e32 vcc, s81, v1
                                        ; implicit-def: $vgpr1
	s_and_saveexec_b64 s[34:35], vcc
	s_xor_b64 s[34:35], exec, s[34:35]
	s_cbranch_execz .LBB6_1665
; %bb.1664:                             ;   in Loop: Header=BB6_357 Depth=4
	v_ffbh_u32_e32 v28, v2
	v_min_u32_e32 v28, 32, v28
	v_mov_b32_e32 v36, v17
	v_mov_b32_e32 v37, v34
	v_bfe_u32 v1, v17, 2, 5
	v_subrev_u32_e32 v29, 29, v28
	v_lshlrev_b64 v[36:37], v29, v[36:37]
	v_sub_u32_e32 v28, 30, v28
	v_cmp_eq_u32_e32 vcc, 0, v1
	v_cndmask_b32_e32 v1, v1, v28, vcc
	v_lshlrev_b32_e32 v28, 24, v17
	v_and_b32_e32 v29, 3, v36
	v_and_b32_e32 v28, 0x80000000, v28
	v_cndmask_b32_e32 v2, v2, v29, vcc
	v_lshl_add_u32 v1, v1, 23, v28
	v_lshl_or_b32 v1, v2, 21, v1
	v_add_u32_e32 v1, 0x38000000, v1
                                        ; implicit-def: $vgpr2
.LBB6_1665:                             ;   in Loop: Header=BB6_357 Depth=4
	s_andn2_saveexec_b64 s[34:35], s[34:35]
; %bb.1666:                             ;   in Loop: Header=BB6_357 Depth=4
	v_mov_b32_e32 v1, -1
	v_cmp_gt_i16_sdwa vcc, sext(v17), v1 src0_sel:BYTE_0 src1_sel:DWORD
	v_mov_b32_e32 v1, 0xff800000
	v_mov_b32_e32 v28, 0x7f800000
	v_cndmask_b32_e32 v1, v1, v28, vcc
	v_cmp_eq_u32_e32 vcc, 0, v2
	v_mov_b32_e32 v2, 0x7f800001
	v_cndmask_b32_e32 v1, v2, v1, vcc
; %bb.1667:                             ;   in Loop: Header=BB6_357 Depth=4
	s_or_b64 exec, exec, s[34:35]
.LBB6_1668:                             ;   in Loop: Header=BB6_357 Depth=4
	s_or_b64 exec, exec, s[30:31]
.LBB6_1669:                             ;   in Loop: Header=BB6_357 Depth=4
	s_or_b64 exec, exec, s[28:29]
	v_mul_f32_e32 v2, v0, v1
	v_and_b32_e32 v36, 0x7f800000, v2
	v_mov_b32_e32 v37, v34
	v_cmp_ne_u64_e32 vcc, s[76:77], v[36:37]
	v_and_b32_e32 v0, 0x7fffff, v2
	v_mov_b32_e32 v1, v34
                                        ; implicit-def: $vgpr55
	s_and_saveexec_b64 s[28:29], vcc
	s_xor_b64 s[30:31], exec, s[28:29]
	s_cbranch_execz .LBB6_1683
; %bb.1670:                             ;   in Loop: Header=BB6_357 Depth=4
	v_and_b32_e32 v36, 0x7fffffff, v2
	v_mov_b32_e32 v37, v34
	v_cmp_gt_u64_e32 vcc, s[78:79], v[36:37]
	v_and_b32_sdwa v36, v2, s44 dst_sel:DWORD dst_unused:UNUSED_PAD src0_sel:BYTE_3 src1_sel:DWORD
                                        ; implicit-def: $vgpr55
	s_and_saveexec_b64 s[28:29], vcc
	s_xor_b64 s[34:35], exec, s[28:29]
	s_cbranch_execz .LBB6_1680
; %bb.1671:                             ;   in Loop: Header=BB6_357 Depth=4
	v_mov_b32_e32 v55, 0
	v_cmp_ne_u32_e32 vcc, 0, v2
	s_and_saveexec_b64 s[36:37], vcc
	s_cbranch_execz .LBB6_1679
; %bb.1672:                             ;   in Loop: Header=BB6_357 Depth=4
	v_bfe_u32 v37, v2, 23, 8
	v_cmp_gt_u32_e64 s[28:29], s45, v37
	v_sub_u32_e32 v2, 0x71, v37
	v_cmp_eq_u32_e32 vcc, 0, v37
	v_cndmask_b32_e64 v2, 0, v2, s[28:29]
	v_mov_b32_e32 v29, 0x70
	v_cndmask_b32_e32 v38, v2, v29, vcc
	v_add_u32_e32 v2, 21, v38
	v_or_b32_e32 v28, 0x800000, v0
	v_lshlrev_b64 v[48:49], v2, -1
	v_cndmask_b32_e32 v0, v28, v0, vcc
	v_add_u32_e32 v2, 20, v38
	v_bfi_b32 v48, v48, 0, v0
	v_lshlrev_b64 v[50:51], v2, 1
	v_lshrrev_b64 v[0:1], v38, v[0:1]
	v_bfi_b32 v49, v49, 0, 0
	v_cmp_eq_u64_e64 s[28:29], v[48:49], v[50:51]
	v_mov_b32_e32 v2, v1
	v_mov_b32_e32 v1, v0
	s_and_saveexec_b64 s[38:39], s[28:29]
; %bb.1673:                             ;   in Loop: Header=BB6_357 Depth=4
	v_bfe_u32 v1, v0, 21, 1
	v_add_co_u32_e64 v1, s[28:29], v0, v1
	v_add_co_u32_e64 v1, s[28:29], -1, v1
; %bb.1674:                             ;   in Loop: Header=BB6_357 Depth=4
	s_or_b64 exec, exec, s[38:39]
	v_add_u32_e32 v2, 0xffffff81, v37
	v_mov_b32_e32 v28, 0xffffff82
	v_cndmask_b32_e32 v2, v2, v28, vcc
	v_lshrrev_b32_e32 v28, 23, v0
	v_add3_u32 v38, v38, v2, v28
	v_add_u32_e32 v37, 14, v38
	v_and_b32_e32 v1, 0x1fffff, v1
	v_add_u32_e32 v0, v1, v0
	v_mov_b32_e32 v1, v34
	v_cmp_ne_u32_e32 vcc, 0, v37
                                        ; implicit-def: $vgpr2
	s_and_saveexec_b64 s[28:29], vcc
	s_xor_b64 s[28:29], exec, s[28:29]
; %bb.1675:                             ;   in Loop: Header=BB6_357 Depth=4
	v_cmp_lt_u64_e32 vcc, s[88:89], v[0:1]
	v_add_u32_e32 v2, 15, v38
	v_cndmask_b32_e64 v28, 0, 1, vcc
	v_lshrrev_b64 v[0:1], v28, v[0:1]
	v_cndmask_b32_e32 v2, v37, v2, vcc
; %bb.1676:                             ;   in Loop: Header=BB6_357 Depth=4
	s_andn2_saveexec_b64 s[28:29], s[28:29]
; %bb.1677:                             ;   in Loop: Header=BB6_357 Depth=4
	v_bfe_u32 v2, v0, 23, 1
; %bb.1678:                             ;   in Loop: Header=BB6_357 Depth=4
	s_or_b64 exec, exec, s[28:29]
	v_lshrrev_b64 v[0:1], 21, v[0:1]
	v_cmp_gt_i32_e32 vcc, 32, v2
	v_cndmask_b32_e32 v1, 0, v1, vcc
	v_cndmask_b32_e32 v0, 3, v0, vcc
	v_cmp_eq_u64_e64 s[28:29], 0, v[0:1]
	v_min_i32_e32 v1, 31, v2
	v_lshlrev_b32_e32 v1, 2, v1
	v_cmp_eq_u32_e32 vcc, 0, v2
	v_and_b32_e32 v1, 0xfc, v1
	v_and_or_b32 v0, v0, 3, v1
	s_and_b64 s[28:29], vcc, s[28:29]
	v_cndmask_b32_e64 v0, v0, 0, s[28:29]
	v_or_b32_e32 v55, v0, v36
.LBB6_1679:                             ;   in Loop: Header=BB6_357 Depth=4
	s_or_b64 exec, exec, s[36:37]
                                        ; implicit-def: $vgpr36
.LBB6_1680:                             ;   in Loop: Header=BB6_357 Depth=4
	s_andn2_saveexec_b64 s[28:29], s[34:35]
; %bb.1681:                             ;   in Loop: Header=BB6_357 Depth=4
	v_or_b32_e32 v55, 0x7b, v36
; %bb.1682:                             ;   in Loop: Header=BB6_357 Depth=4
	s_or_b64 exec, exec, s[28:29]
                                        ; implicit-def: $vgpr2
                                        ; implicit-def: $vgpr0_vgpr1
.LBB6_1683:                             ;   in Loop: Header=BB6_357 Depth=4
	s_andn2_saveexec_b64 s[28:29], s[30:31]
	s_cbranch_execz .LBB6_1689
; %bb.1684:                             ;   in Loop: Header=BB6_357 Depth=4
	v_cmp_ne_u64_e32 vcc, 0, v[0:1]
                                        ; implicit-def: $vgpr55
	s_and_saveexec_b64 s[30:31], vcc
	s_xor_b64 vcc, exec, s[30:31]
; %bb.1685:                             ;   in Loop: Header=BB6_357 Depth=4
	v_or_b32_sdwa v55, v2, s83 dst_sel:DWORD dst_unused:UNUSED_PAD src0_sel:BYTE_3 src1_sel:DWORD
                                        ; implicit-def: $vgpr2
; %bb.1686:                             ;   in Loop: Header=BB6_357 Depth=4
	s_andn2_saveexec_b64 s[30:31], vcc
; %bb.1687:                             ;   in Loop: Header=BB6_357 Depth=4
	v_cmp_lt_i32_e32 vcc, -1, v2
	v_bfrev_b32_e32 v0, 0.5
	v_mov_b32_e32 v1, 0x7c
	v_cndmask_b32_e32 v55, v0, v1, vcc
; %bb.1688:                             ;   in Loop: Header=BB6_357 Depth=4
	s_or_b64 exec, exec, s[30:31]
.LBB6_1689:                             ;   in Loop: Header=BB6_357 Depth=4
	s_or_b64 exec, exec, s[28:29]
	v_lshrrev_b16_e32 v0, 8, v33
	v_cmp_ne_u16_e32 vcc, 0, v0
	v_mov_b32_e32 v2, 0
	v_mov_b32_e32 v36, 0
	s_and_saveexec_b64 s[28:29], vcc
	s_cbranch_execz .LBB6_1697
; %bb.1690:                             ;   in Loop: Header=BB6_357 Depth=4
	v_cmp_ne_u16_e32 vcc, s44, v0
	v_bfrev_b32_e32 v36, 1
	s_and_saveexec_b64 s[30:31], vcc
	s_cbranch_execz .LBB6_1696
; %bb.1691:                             ;   in Loop: Header=BB6_357 Depth=4
	v_and_b32_e32 v1, 0x7c, v0
	v_and_b32_e32 v37, 3, v0
	v_cmp_ne_u32_e32 vcc, s81, v1
                                        ; implicit-def: $vgpr36
	s_and_saveexec_b64 s[34:35], vcc
	s_xor_b64 s[34:35], exec, s[34:35]
	s_cbranch_execz .LBB6_1693
; %bb.1692:                             ;   in Loop: Header=BB6_357 Depth=4
	v_ffbh_u32_e32 v29, v37
	v_min_u32_e32 v29, 32, v29
	v_mov_b32_e32 v1, v34
	v_subrev_u32_e32 v32, 29, v29
	v_bfe_u32 v28, v0, 2, 5
	v_lshlrev_b64 v[0:1], v32, v[0:1]
	v_sub_u32_e32 v1, 30, v29
	v_cmp_eq_u32_e32 vcc, 0, v28
	v_cndmask_b32_e32 v1, v28, v1, vcc
	v_lshlrev_b32_e32 v28, 16, v33
	v_and_b32_e32 v0, 3, v0
	v_and_b32_e32 v28, 0x80000000, v28
	v_cndmask_b32_e32 v0, v37, v0, vcc
	v_lshl_add_u32 v1, v1, 23, v28
	v_lshl_or_b32 v0, v0, 21, v1
	v_add_u32_e32 v36, 0x38000000, v0
                                        ; implicit-def: $vgpr37
.LBB6_1693:                             ;   in Loop: Header=BB6_357 Depth=4
	s_andn2_saveexec_b64 s[34:35], s[34:35]
; %bb.1694:                             ;   in Loop: Header=BB6_357 Depth=4
	v_cmp_lt_i16_e32 vcc, -1, v33
	v_mov_b32_e32 v0, 0xff800000
	v_mov_b32_e32 v1, 0x7f800000
	v_cndmask_b32_e32 v0, v0, v1, vcc
	v_cmp_eq_u32_e32 vcc, 0, v37
	v_mov_b32_e32 v1, 0x7f800001
	v_cndmask_b32_e32 v36, v1, v0, vcc
; %bb.1695:                             ;   in Loop: Header=BB6_357 Depth=4
	s_or_b64 exec, exec, s[34:35]
.LBB6_1696:                             ;   in Loop: Header=BB6_357 Depth=4
	s_or_b64 exec, exec, s[30:31]
.LBB6_1697:                             ;   in Loop: Header=BB6_357 Depth=4
	s_or_b64 exec, exec, s[28:29]
	v_lshrrev_b16_e32 v0, 8, v17
	v_cmp_ne_u16_e32 vcc, 0, v0
	s_and_saveexec_b64 s[28:29], vcc
	s_cbranch_execz .LBB6_1705
; %bb.1698:                             ;   in Loop: Header=BB6_357 Depth=4
	v_cmp_ne_u16_e32 vcc, s44, v0
	v_bfrev_b32_e32 v2, 1
	s_and_saveexec_b64 s[30:31], vcc
	s_cbranch_execz .LBB6_1704
; %bb.1699:                             ;   in Loop: Header=BB6_357 Depth=4
	v_and_b32_e32 v1, 0x7c, v0
	v_and_b32_e32 v33, 3, v0
	v_cmp_ne_u32_e32 vcc, s81, v1
                                        ; implicit-def: $vgpr2
	s_and_saveexec_b64 s[34:35], vcc
	s_xor_b64 s[34:35], exec, s[34:35]
	s_cbranch_execz .LBB6_1701
; %bb.1700:                             ;   in Loop: Header=BB6_357 Depth=4
	v_ffbh_u32_e32 v28, v33
	v_min_u32_e32 v28, 32, v28
	v_mov_b32_e32 v1, v34
	v_subrev_u32_e32 v29, 29, v28
	v_bfe_u32 v2, v0, 2, 5
	v_lshlrev_b64 v[0:1], v29, v[0:1]
	v_sub_u32_e32 v1, 30, v28
	v_cmp_eq_u32_e32 vcc, 0, v2
	v_cndmask_b32_e32 v1, v2, v1, vcc
	v_lshlrev_b32_e32 v2, 16, v17
	v_and_b32_e32 v0, 3, v0
	v_and_b32_e32 v2, 0x80000000, v2
	v_cndmask_b32_e32 v0, v33, v0, vcc
	v_lshl_add_u32 v1, v1, 23, v2
	v_lshl_or_b32 v0, v0, 21, v1
	v_add_u32_e32 v2, 0x38000000, v0
                                        ; implicit-def: $vgpr33
.LBB6_1701:                             ;   in Loop: Header=BB6_357 Depth=4
	s_andn2_saveexec_b64 s[34:35], s[34:35]
; %bb.1702:                             ;   in Loop: Header=BB6_357 Depth=4
	v_cmp_lt_i16_e32 vcc, -1, v17
	v_mov_b32_e32 v0, 0xff800000
	v_mov_b32_e32 v1, 0x7f800000
	v_cndmask_b32_e32 v0, v0, v1, vcc
	v_cmp_eq_u32_e32 vcc, 0, v33
	v_mov_b32_e32 v1, 0x7f800001
	v_cndmask_b32_e32 v2, v1, v0, vcc
; %bb.1703:                             ;   in Loop: Header=BB6_357 Depth=4
	s_or_b64 exec, exec, s[34:35]
.LBB6_1704:                             ;   in Loop: Header=BB6_357 Depth=4
	s_or_b64 exec, exec, s[30:31]
.LBB6_1705:                             ;   in Loop: Header=BB6_357 Depth=4
	s_or_b64 exec, exec, s[28:29]
	v_mul_f32_e32 v0, v36, v2
	v_and_b32_e32 v1, 0x7f800000, v0
	v_mov_b32_e32 v2, v34
	v_cmp_ne_u64_e32 vcc, s[76:77], v[1:2]
	v_and_b32_e32 v33, 0x7fffff, v0
                                        ; implicit-def: $vgpr40
	s_and_saveexec_b64 s[28:29], vcc
	s_xor_b64 s[30:31], exec, s[28:29]
	s_cbranch_execz .LBB6_1719
; %bb.1706:                             ;   in Loop: Header=BB6_357 Depth=4
	v_and_b32_e32 v1, 0x7fffffff, v0
	v_mov_b32_e32 v2, v34
	v_cmp_gt_u64_e32 vcc, s[78:79], v[1:2]
	v_and_b32_sdwa v36, v0, s44 dst_sel:DWORD dst_unused:UNUSED_PAD src0_sel:BYTE_3 src1_sel:DWORD
                                        ; implicit-def: $vgpr40
	s_and_saveexec_b64 s[28:29], vcc
	s_xor_b64 s[34:35], exec, s[28:29]
	s_cbranch_execz .LBB6_1716
; %bb.1707:                             ;   in Loop: Header=BB6_357 Depth=4
	v_mov_b32_e32 v40, 0
	v_cmp_ne_u32_e32 vcc, 0, v0
	s_and_saveexec_b64 s[36:37], vcc
	s_cbranch_execz .LBB6_1715
; %bb.1708:                             ;   in Loop: Header=BB6_357 Depth=4
	v_bfe_u32 v37, v0, 23, 8
	v_cmp_gt_u32_e64 s[28:29], s45, v37
	v_sub_u32_e32 v0, 0x71, v37
	v_cmp_eq_u32_e32 vcc, 0, v37
	v_cndmask_b32_e64 v0, 0, v0, s[28:29]
	v_mov_b32_e32 v2, 0x70
	v_cndmask_b32_e32 v38, v0, v2, vcc
	v_add_u32_e32 v2, 21, v38
	v_or_b32_e32 v1, 0x800000, v33
	v_lshlrev_b64 v[48:49], v2, -1
	v_cndmask_b32_e32 v0, v1, v33, vcc
	v_mov_b32_e32 v1, v34
	v_add_u32_e32 v2, 20, v38
	v_bfi_b32 v48, v48, 0, v0
	v_lshlrev_b64 v[50:51], v2, 1
	v_lshrrev_b64 v[0:1], v38, v[0:1]
	v_bfi_b32 v49, v49, 0, 0
	v_cmp_eq_u64_e64 s[28:29], v[48:49], v[50:51]
	v_mov_b32_e32 v2, v1
	v_mov_b32_e32 v1, v0
	s_and_saveexec_b64 s[38:39], s[28:29]
; %bb.1709:                             ;   in Loop: Header=BB6_357 Depth=4
	v_bfe_u32 v1, v0, 21, 1
	v_add_co_u32_e64 v1, s[28:29], v0, v1
	v_add_co_u32_e64 v1, s[28:29], -1, v1
; %bb.1710:                             ;   in Loop: Header=BB6_357 Depth=4
	s_or_b64 exec, exec, s[38:39]
	v_add_u32_e32 v2, 0xffffff81, v37
	v_mov_b32_e32 v28, 0xffffff82
	v_cndmask_b32_e32 v2, v2, v28, vcc
	v_lshrrev_b32_e32 v28, 23, v0
	v_add3_u32 v38, v38, v2, v28
	v_add_u32_e32 v37, 14, v38
	v_and_b32_e32 v1, 0x1fffff, v1
	v_add_u32_e32 v33, v1, v0
	v_cmp_ne_u32_e32 vcc, 0, v37
                                        ; implicit-def: $vgpr0_vgpr1
                                        ; implicit-def: $vgpr2
	s_and_saveexec_b64 s[28:29], vcc
	s_xor_b64 s[28:29], exec, s[28:29]
; %bb.1711:                             ;   in Loop: Header=BB6_357 Depth=4
	v_cmp_lt_u64_e32 vcc, s[88:89], v[33:34]
	v_add_u32_e32 v0, 15, v38
	v_cndmask_b32_e32 v2, v37, v0, vcc
	v_cndmask_b32_e64 v0, 0, 1, vcc
	v_lshrrev_b64 v[0:1], v0, v[33:34]
; %bb.1712:                             ;   in Loop: Header=BB6_357 Depth=4
	s_andn2_saveexec_b64 s[28:29], s[28:29]
; %bb.1713:                             ;   in Loop: Header=BB6_357 Depth=4
	v_mov_b32_e32 v0, v33
	v_mov_b32_e32 v1, v34
	v_bfe_u32 v2, v33, 23, 1
; %bb.1714:                             ;   in Loop: Header=BB6_357 Depth=4
	s_or_b64 exec, exec, s[28:29]
	v_lshrrev_b64 v[0:1], 21, v[0:1]
	v_cmp_gt_i32_e32 vcc, 32, v2
	v_cndmask_b32_e32 v1, 0, v1, vcc
	v_cndmask_b32_e32 v0, 3, v0, vcc
	v_cmp_eq_u64_e64 s[28:29], 0, v[0:1]
	v_min_i32_e32 v1, 31, v2
	v_lshlrev_b32_e32 v1, 2, v1
	v_cmp_eq_u32_e32 vcc, 0, v2
	v_and_b32_e32 v1, 0xfc, v1
	v_and_or_b32 v0, v0, 3, v1
	s_and_b64 s[28:29], vcc, s[28:29]
	v_cndmask_b32_e64 v0, v0, 0, s[28:29]
	v_or_b32_e32 v40, v0, v36
.LBB6_1715:                             ;   in Loop: Header=BB6_357 Depth=4
	s_or_b64 exec, exec, s[36:37]
                                        ; implicit-def: $vgpr36
.LBB6_1716:                             ;   in Loop: Header=BB6_357 Depth=4
	s_andn2_saveexec_b64 s[28:29], s[34:35]
; %bb.1717:                             ;   in Loop: Header=BB6_357 Depth=4
	v_or_b32_e32 v40, 0x7b, v36
; %bb.1718:                             ;   in Loop: Header=BB6_357 Depth=4
	s_or_b64 exec, exec, s[28:29]
                                        ; implicit-def: $vgpr0
.LBB6_1719:                             ;   in Loop: Header=BB6_357 Depth=4
	s_andn2_saveexec_b64 s[28:29], s[30:31]
	s_cbranch_execz .LBB6_1725
; %bb.1720:                             ;   in Loop: Header=BB6_357 Depth=4
	v_cmp_ne_u64_e32 vcc, 0, v[33:34]
                                        ; implicit-def: $vgpr40
	s_and_saveexec_b64 s[30:31], vcc
	s_xor_b64 vcc, exec, s[30:31]
; %bb.1721:                             ;   in Loop: Header=BB6_357 Depth=4
	v_or_b32_sdwa v40, v0, s83 dst_sel:DWORD dst_unused:UNUSED_PAD src0_sel:BYTE_3 src1_sel:DWORD
                                        ; implicit-def: $vgpr0
; %bb.1722:                             ;   in Loop: Header=BB6_357 Depth=4
	s_andn2_saveexec_b64 s[30:31], vcc
; %bb.1723:                             ;   in Loop: Header=BB6_357 Depth=4
	v_cmp_lt_i32_e32 vcc, -1, v0
	v_bfrev_b32_e32 v0, 0.5
	v_mov_b32_e32 v1, 0x7c
	v_cndmask_b32_e32 v40, v0, v1, vcc
; %bb.1724:                             ;   in Loop: Header=BB6_357 Depth=4
	s_or_b64 exec, exec, s[30:31]
.LBB6_1725:                             ;   in Loop: Header=BB6_357 Depth=4
	s_or_b64 exec, exec, s[28:29]
	v_lshrrev_b32_e32 v0, 16, v21
	v_cmp_ne_u16_sdwa vcc, v0, v34 src0_sel:BYTE_0 src1_sel:DWORD
	v_mov_b32_e32 v1, 0
	v_mov_b32_e32 v2, 0
	s_and_saveexec_b64 s[28:29], vcc
	s_cbranch_execz .LBB6_1733
; %bb.1726:                             ;   in Loop: Header=BB6_357 Depth=4
	v_cmp_ne_u16_sdwa vcc, v0, s44 src0_sel:BYTE_0 src1_sel:DWORD
	v_bfrev_b32_e32 v2, 1
	s_and_saveexec_b64 s[30:31], vcc
	s_cbranch_execz .LBB6_1732
; %bb.1727:                             ;   in Loop: Header=BB6_357 Depth=4
	v_and_b32_e32 v2, 0x7c0000, v21
	v_bfe_u32 v33, v21, 16, 2
	v_cmp_ne_u32_e32 vcc, s9, v2
                                        ; implicit-def: $vgpr2
	s_and_saveexec_b64 s[34:35], vcc
	s_xor_b64 s[34:35], exec, s[34:35]
	s_cbranch_execz .LBB6_1729
; %bb.1728:                             ;   in Loop: Header=BB6_357 Depth=4
	v_ffbh_u32_e32 v28, v33
	v_min_u32_e32 v28, 32, v28
	v_subrev_u32_e32 v29, 29, v28
	v_lshlrev_b64 v[36:37], v29, v[0:1]
	v_bfe_u32 v2, v21, 18, 5
	v_sub_u32_e32 v0, 30, v28
	v_and_b32_e32 v28, 3, v36
	v_cmp_eq_u32_e32 vcc, 0, v2
	v_cndmask_b32_e32 v0, v2, v0, vcc
	v_cndmask_b32_e32 v2, v33, v28, vcc
	v_lshlrev_b32_e32 v28, 8, v21
	v_and_b32_e32 v28, 0x80000000, v28
	v_lshl_add_u32 v0, v0, 23, v28
	v_lshl_or_b32 v0, v2, 21, v0
	v_add_u32_e32 v2, 0x38000000, v0
                                        ; implicit-def: $vgpr33
                                        ; implicit-def: $vgpr0
.LBB6_1729:                             ;   in Loop: Header=BB6_357 Depth=4
	s_andn2_saveexec_b64 s[34:35], s[34:35]
; %bb.1730:                             ;   in Loop: Header=BB6_357 Depth=4
	v_mov_b32_e32 v2, -1
	v_cmp_gt_i16_sdwa vcc, sext(v0), v2 src0_sel:BYTE_0 src1_sel:DWORD
	v_mov_b32_e32 v0, 0xff800000
	v_mov_b32_e32 v2, 0x7f800000
	v_cndmask_b32_e32 v0, v0, v2, vcc
	v_cmp_eq_u32_e32 vcc, 0, v33
	v_mov_b32_e32 v2, 0x7f800001
	v_cndmask_b32_e32 v2, v2, v0, vcc
; %bb.1731:                             ;   in Loop: Header=BB6_357 Depth=4
	s_or_b64 exec, exec, s[34:35]
.LBB6_1732:                             ;   in Loop: Header=BB6_357 Depth=4
	s_or_b64 exec, exec, s[30:31]
.LBB6_1733:                             ;   in Loop: Header=BB6_357 Depth=4
	s_or_b64 exec, exec, s[28:29]
	v_lshrrev_b32_e32 v0, 16, v17
	v_cmp_ne_u16_sdwa vcc, v0, v34 src0_sel:BYTE_0 src1_sel:DWORD
	s_and_saveexec_b64 s[28:29], vcc
	s_cbranch_execz .LBB6_1741
; %bb.1734:                             ;   in Loop: Header=BB6_357 Depth=4
	v_cmp_ne_u16_sdwa vcc, v0, s44 src0_sel:BYTE_0 src1_sel:DWORD
	v_bfrev_b32_e32 v1, 1
	s_and_saveexec_b64 s[30:31], vcc
	s_cbranch_execz .LBB6_1740
; %bb.1735:                             ;   in Loop: Header=BB6_357 Depth=4
	v_and_b32_e32 v1, 0x7c0000, v17
	v_bfe_u32 v33, v17, 16, 2
	v_cmp_ne_u32_e32 vcc, s9, v1
                                        ; implicit-def: $vgpr1
	s_and_saveexec_b64 s[34:35], vcc
	s_xor_b64 s[34:35], exec, s[34:35]
	s_cbranch_execz .LBB6_1737
; %bb.1736:                             ;   in Loop: Header=BB6_357 Depth=4
	v_ffbh_u32_e32 v1, v33
	v_min_u32_e32 v29, 32, v1
	v_subrev_u32_e32 v1, 29, v29
	v_bfe_u32 v28, v17, 18, 5
	v_lshlrev_b64 v[0:1], v1, v[0:1]
	v_sub_u32_e32 v1, 30, v29
	v_cmp_eq_u32_e32 vcc, 0, v28
	v_cndmask_b32_e32 v1, v28, v1, vcc
	v_lshlrev_b32_e32 v28, 8, v17
	v_and_b32_e32 v0, 3, v0
	v_and_b32_e32 v28, 0x80000000, v28
	v_cndmask_b32_e32 v0, v33, v0, vcc
	v_lshl_add_u32 v1, v1, 23, v28
	v_lshl_or_b32 v0, v0, 21, v1
	v_add_u32_e32 v1, 0x38000000, v0
                                        ; implicit-def: $vgpr33
                                        ; implicit-def: $vgpr0
.LBB6_1737:                             ;   in Loop: Header=BB6_357 Depth=4
	s_andn2_saveexec_b64 s[34:35], s[34:35]
; %bb.1738:                             ;   in Loop: Header=BB6_357 Depth=4
	v_mov_b32_e32 v1, -1
	v_cmp_gt_i16_sdwa vcc, sext(v0), v1 src0_sel:BYTE_0 src1_sel:DWORD
	v_mov_b32_e32 v0, 0xff800000
	v_mov_b32_e32 v1, 0x7f800000
	v_cndmask_b32_e32 v0, v0, v1, vcc
	v_cmp_eq_u32_e32 vcc, 0, v33
	v_mov_b32_e32 v1, 0x7f800001
	v_cndmask_b32_e32 v1, v1, v0, vcc
; %bb.1739:                             ;   in Loop: Header=BB6_357 Depth=4
	s_or_b64 exec, exec, s[34:35]
.LBB6_1740:                             ;   in Loop: Header=BB6_357 Depth=4
	s_or_b64 exec, exec, s[30:31]
.LBB6_1741:                             ;   in Loop: Header=BB6_357 Depth=4
	s_or_b64 exec, exec, s[28:29]
	v_mul_f32_e32 v0, v2, v1
	v_and_b32_e32 v1, 0x7f800000, v0
	v_mov_b32_e32 v2, v34
	v_cmp_ne_u64_e32 vcc, s[76:77], v[1:2]
	v_and_b32_e32 v33, 0x7fffff, v0
                                        ; implicit-def: $vgpr41
	s_and_saveexec_b64 s[28:29], vcc
	s_xor_b64 s[30:31], exec, s[28:29]
	s_cbranch_execz .LBB6_1755
; %bb.1742:                             ;   in Loop: Header=BB6_357 Depth=4
	v_and_b32_e32 v1, 0x7fffffff, v0
	v_mov_b32_e32 v2, v34
	v_cmp_gt_u64_e32 vcc, s[78:79], v[1:2]
	v_and_b32_sdwa v36, v0, s44 dst_sel:DWORD dst_unused:UNUSED_PAD src0_sel:BYTE_3 src1_sel:DWORD
                                        ; implicit-def: $vgpr41
	s_and_saveexec_b64 s[28:29], vcc
	s_xor_b64 s[34:35], exec, s[28:29]
	s_cbranch_execz .LBB6_1752
; %bb.1743:                             ;   in Loop: Header=BB6_357 Depth=4
	v_mov_b32_e32 v41, 0
	v_cmp_ne_u32_e32 vcc, 0, v0
	s_and_saveexec_b64 s[36:37], vcc
	s_cbranch_execz .LBB6_1751
; %bb.1744:                             ;   in Loop: Header=BB6_357 Depth=4
	v_bfe_u32 v37, v0, 23, 8
	v_cmp_gt_u32_e64 s[28:29], s45, v37
	v_sub_u32_e32 v0, 0x71, v37
	v_cmp_eq_u32_e32 vcc, 0, v37
	v_cndmask_b32_e64 v0, 0, v0, s[28:29]
	v_mov_b32_e32 v2, 0x70
	v_cndmask_b32_e32 v38, v0, v2, vcc
	v_add_u32_e32 v2, 21, v38
	v_or_b32_e32 v1, 0x800000, v33
	v_lshlrev_b64 v[48:49], v2, -1
	v_cndmask_b32_e32 v0, v1, v33, vcc
	v_mov_b32_e32 v1, v34
	v_add_u32_e32 v2, 20, v38
	v_bfi_b32 v48, v48, 0, v0
	v_lshlrev_b64 v[50:51], v2, 1
	v_lshrrev_b64 v[0:1], v38, v[0:1]
	v_bfi_b32 v49, v49, 0, 0
	v_cmp_eq_u64_e64 s[28:29], v[48:49], v[50:51]
	v_mov_b32_e32 v2, v1
	v_mov_b32_e32 v1, v0
	s_and_saveexec_b64 s[38:39], s[28:29]
; %bb.1745:                             ;   in Loop: Header=BB6_357 Depth=4
	v_bfe_u32 v1, v0, 21, 1
	v_add_co_u32_e64 v1, s[28:29], v0, v1
	v_add_co_u32_e64 v1, s[28:29], -1, v1
; %bb.1746:                             ;   in Loop: Header=BB6_357 Depth=4
	s_or_b64 exec, exec, s[38:39]
	v_add_u32_e32 v2, 0xffffff81, v37
	v_mov_b32_e32 v28, 0xffffff82
	v_cndmask_b32_e32 v2, v2, v28, vcc
	v_lshrrev_b32_e32 v28, 23, v0
	v_add3_u32 v38, v38, v2, v28
	v_add_u32_e32 v37, 14, v38
	v_and_b32_e32 v1, 0x1fffff, v1
	v_add_u32_e32 v33, v1, v0
	v_cmp_ne_u32_e32 vcc, 0, v37
                                        ; implicit-def: $vgpr0_vgpr1
                                        ; implicit-def: $vgpr2
	s_and_saveexec_b64 s[28:29], vcc
	s_xor_b64 s[28:29], exec, s[28:29]
; %bb.1747:                             ;   in Loop: Header=BB6_357 Depth=4
	v_cmp_lt_u64_e32 vcc, s[88:89], v[33:34]
	v_add_u32_e32 v0, 15, v38
	v_cndmask_b32_e32 v2, v37, v0, vcc
	v_cndmask_b32_e64 v0, 0, 1, vcc
	v_lshrrev_b64 v[0:1], v0, v[33:34]
; %bb.1748:                             ;   in Loop: Header=BB6_357 Depth=4
	s_andn2_saveexec_b64 s[28:29], s[28:29]
; %bb.1749:                             ;   in Loop: Header=BB6_357 Depth=4
	v_mov_b32_e32 v0, v33
	v_mov_b32_e32 v1, v34
	v_bfe_u32 v2, v33, 23, 1
; %bb.1750:                             ;   in Loop: Header=BB6_357 Depth=4
	s_or_b64 exec, exec, s[28:29]
	v_lshrrev_b64 v[0:1], 21, v[0:1]
	v_cmp_gt_i32_e32 vcc, 32, v2
	v_cndmask_b32_e32 v1, 0, v1, vcc
	v_cndmask_b32_e32 v0, 3, v0, vcc
	v_cmp_eq_u64_e64 s[28:29], 0, v[0:1]
	v_min_i32_e32 v1, 31, v2
	v_lshlrev_b32_e32 v1, 2, v1
	v_cmp_eq_u32_e32 vcc, 0, v2
	v_and_b32_e32 v1, 0xfc, v1
	v_and_or_b32 v0, v0, 3, v1
	s_and_b64 s[28:29], vcc, s[28:29]
	v_cndmask_b32_e64 v0, v0, 0, s[28:29]
	v_or_b32_e32 v41, v0, v36
.LBB6_1751:                             ;   in Loop: Header=BB6_357 Depth=4
	s_or_b64 exec, exec, s[36:37]
                                        ; implicit-def: $vgpr36
.LBB6_1752:                             ;   in Loop: Header=BB6_357 Depth=4
	s_andn2_saveexec_b64 s[28:29], s[34:35]
; %bb.1753:                             ;   in Loop: Header=BB6_357 Depth=4
	v_or_b32_e32 v41, 0x7b, v36
; %bb.1754:                             ;   in Loop: Header=BB6_357 Depth=4
	s_or_b64 exec, exec, s[28:29]
                                        ; implicit-def: $vgpr0
.LBB6_1755:                             ;   in Loop: Header=BB6_357 Depth=4
	s_andn2_saveexec_b64 s[28:29], s[30:31]
	s_cbranch_execz .LBB6_1761
; %bb.1756:                             ;   in Loop: Header=BB6_357 Depth=4
	v_cmp_ne_u64_e32 vcc, 0, v[33:34]
                                        ; implicit-def: $vgpr41
	s_and_saveexec_b64 s[30:31], vcc
	s_xor_b64 vcc, exec, s[30:31]
; %bb.1757:                             ;   in Loop: Header=BB6_357 Depth=4
	v_or_b32_sdwa v41, v0, s83 dst_sel:DWORD dst_unused:UNUSED_PAD src0_sel:BYTE_3 src1_sel:DWORD
                                        ; implicit-def: $vgpr0
; %bb.1758:                             ;   in Loop: Header=BB6_357 Depth=4
	s_andn2_saveexec_b64 s[30:31], vcc
; %bb.1759:                             ;   in Loop: Header=BB6_357 Depth=4
	v_cmp_lt_i32_e32 vcc, -1, v0
	v_bfrev_b32_e32 v0, 0.5
	v_mov_b32_e32 v1, 0x7c
	v_cndmask_b32_e32 v41, v0, v1, vcc
; %bb.1760:                             ;   in Loop: Header=BB6_357 Depth=4
	s_or_b64 exec, exec, s[30:31]
.LBB6_1761:                             ;   in Loop: Header=BB6_357 Depth=4
	s_or_b64 exec, exec, s[28:29]
	v_cmp_lt_u64_e32 vcc, s[56:57], v[20:21]
	v_mov_b32_e32 v1, 0
	v_mov_b32_e32 v2, 0
	s_and_saveexec_b64 s[28:29], vcc
	s_cbranch_execz .LBB6_1769
; %bb.1762:                             ;   in Loop: Header=BB6_357 Depth=4
	v_lshrrev_b32_e32 v0, 24, v21
	v_cmp_ne_u32_e32 vcc, s44, v0
	v_bfrev_b32_e32 v2, 1
	s_and_saveexec_b64 s[30:31], vcc
	s_cbranch_execz .LBB6_1768
; %bb.1763:                             ;   in Loop: Header=BB6_357 Depth=4
	v_and_b32_e32 v2, 0x7c000000, v21
	v_bfe_u32 v33, v21, 24, 2
	v_cmp_ne_u32_e32 vcc, s8, v2
                                        ; implicit-def: $vgpr2
	s_and_saveexec_b64 s[34:35], vcc
	s_xor_b64 s[34:35], exec, s[34:35]
	s_cbranch_execz .LBB6_1765
; %bb.1764:                             ;   in Loop: Header=BB6_357 Depth=4
	v_ffbh_u32_e32 v28, v33
	v_min_u32_e32 v28, 32, v28
	v_subrev_u32_e32 v29, 29, v28
	v_lshlrev_b64 v[36:37], v29, v[0:1]
	v_bfe_u32 v2, v21, 26, 5
	v_sub_u32_e32 v0, 30, v28
	v_and_b32_e32 v28, 3, v36
	v_cmp_eq_u32_e32 vcc, 0, v2
	v_cndmask_b32_e32 v0, v2, v0, vcc
	v_cndmask_b32_e32 v2, v33, v28, vcc
	v_and_b32_e32 v28, 0x80000000, v21
	v_lshl_add_u32 v0, v0, 23, v28
	v_lshl_or_b32 v0, v2, 21, v0
	v_add_u32_e32 v2, 0x38000000, v0
                                        ; implicit-def: $vgpr33
.LBB6_1765:                             ;   in Loop: Header=BB6_357 Depth=4
	s_andn2_saveexec_b64 s[34:35], s[34:35]
; %bb.1766:                             ;   in Loop: Header=BB6_357 Depth=4
	v_cmp_lt_i64_e32 vcc, -1, v[20:21]
	v_mov_b32_e32 v0, 0xff800000
	v_mov_b32_e32 v2, 0x7f800000
	v_cndmask_b32_e32 v0, v0, v2, vcc
	v_cmp_eq_u32_e32 vcc, 0, v33
	v_mov_b32_e32 v2, 0x7f800001
	v_cndmask_b32_e32 v2, v2, v0, vcc
; %bb.1767:                             ;   in Loop: Header=BB6_357 Depth=4
	s_or_b64 exec, exec, s[34:35]
.LBB6_1768:                             ;   in Loop: Header=BB6_357 Depth=4
	s_or_b64 exec, exec, s[30:31]
.LBB6_1769:                             ;   in Loop: Header=BB6_357 Depth=4
	s_or_b64 exec, exec, s[28:29]
	v_cmp_lt_u64_e32 vcc, s[56:57], v[16:17]
	s_and_saveexec_b64 s[28:29], vcc
	s_cbranch_execz .LBB6_1777
; %bb.1770:                             ;   in Loop: Header=BB6_357 Depth=4
	v_lshrrev_b32_e32 v0, 24, v17
	v_cmp_ne_u32_e32 vcc, s44, v0
	v_bfrev_b32_e32 v1, 1
	s_and_saveexec_b64 s[30:31], vcc
	s_cbranch_execz .LBB6_1776
; %bb.1771:                             ;   in Loop: Header=BB6_357 Depth=4
	v_and_b32_e32 v1, 0x7c000000, v17
	v_bfe_u32 v20, v17, 24, 2
	v_cmp_ne_u32_e32 vcc, s8, v1
                                        ; implicit-def: $vgpr1
	s_and_saveexec_b64 s[34:35], vcc
	s_xor_b64 s[34:35], exec, s[34:35]
	s_cbranch_execz .LBB6_1773
; %bb.1772:                             ;   in Loop: Header=BB6_357 Depth=4
	v_ffbh_u32_e32 v1, v20
	v_min_u32_e32 v28, 32, v1
	v_subrev_u32_e32 v1, 29, v28
	v_lshlrev_b64 v[0:1], v1, v[0:1]
	v_bfe_u32 v21, v17, 26, 5
	v_sub_u32_e32 v1, 30, v28
	v_and_b32_e32 v0, 3, v0
	v_cmp_eq_u32_e32 vcc, 0, v21
	v_cndmask_b32_e32 v1, v21, v1, vcc
	v_cndmask_b32_e32 v0, v20, v0, vcc
	v_and_b32_e32 v20, 0x80000000, v17
	v_lshl_add_u32 v1, v1, 23, v20
	v_lshl_or_b32 v0, v0, 21, v1
	v_add_u32_e32 v1, 0x38000000, v0
                                        ; implicit-def: $vgpr20
.LBB6_1773:                             ;   in Loop: Header=BB6_357 Depth=4
	s_andn2_saveexec_b64 s[34:35], s[34:35]
; %bb.1774:                             ;   in Loop: Header=BB6_357 Depth=4
	v_cmp_lt_i64_e32 vcc, -1, v[16:17]
	v_mov_b32_e32 v0, 0xff800000
	v_mov_b32_e32 v1, 0x7f800000
	v_cndmask_b32_e32 v0, v0, v1, vcc
	v_cmp_eq_u32_e32 vcc, 0, v20
	v_mov_b32_e32 v1, 0x7f800001
	v_cndmask_b32_e32 v1, v1, v0, vcc
; %bb.1775:                             ;   in Loop: Header=BB6_357 Depth=4
	s_or_b64 exec, exec, s[34:35]
.LBB6_1776:                             ;   in Loop: Header=BB6_357 Depth=4
	s_or_b64 exec, exec, s[30:31]
.LBB6_1777:                             ;   in Loop: Header=BB6_357 Depth=4
	s_or_b64 exec, exec, s[28:29]
	v_mul_f32_e32 v0, v2, v1
	v_and_b32_e32 v1, 0x7f800000, v0
	v_mov_b32_e32 v2, v34
	v_cmp_ne_u64_e32 vcc, s[76:77], v[1:2]
	v_and_b32_e32 v33, 0x7fffff, v0
                                        ; implicit-def: $vgpr16
	s_and_saveexec_b64 s[28:29], vcc
	s_xor_b64 s[30:31], exec, s[28:29]
	s_cbranch_execz .LBB6_1791
; %bb.1778:                             ;   in Loop: Header=BB6_357 Depth=4
	v_and_b32_e32 v1, 0x7fffffff, v0
	v_mov_b32_e32 v2, v34
	v_cmp_gt_u64_e32 vcc, s[78:79], v[1:2]
	v_and_b32_sdwa v17, v0, s44 dst_sel:DWORD dst_unused:UNUSED_PAD src0_sel:BYTE_3 src1_sel:DWORD
                                        ; implicit-def: $vgpr16
	s_and_saveexec_b64 s[28:29], vcc
	s_xor_b64 s[34:35], exec, s[28:29]
	s_cbranch_execz .LBB6_1788
; %bb.1779:                             ;   in Loop: Header=BB6_357 Depth=4
	v_mov_b32_e32 v16, 0
	v_cmp_ne_u32_e32 vcc, 0, v0
	s_and_saveexec_b64 s[36:37], vcc
	s_cbranch_execz .LBB6_1787
; %bb.1780:                             ;   in Loop: Header=BB6_357 Depth=4
	v_bfe_u32 v16, v0, 23, 8
	v_cmp_gt_u32_e64 s[28:29], s45, v16
	v_sub_u32_e32 v0, 0x71, v16
	v_cmp_eq_u32_e32 vcc, 0, v16
	v_cndmask_b32_e64 v0, 0, v0, s[28:29]
	v_mov_b32_e32 v2, 0x70
	v_cndmask_b32_e32 v20, v0, v2, vcc
	v_add_u32_e32 v2, 21, v20
	v_or_b32_e32 v1, 0x800000, v33
	v_lshlrev_b64 v[36:37], v2, -1
	v_cndmask_b32_e32 v0, v1, v33, vcc
	v_mov_b32_e32 v1, v34
	v_add_u32_e32 v2, 20, v20
	v_bfi_b32 v36, v36, 0, v0
	v_lshlrev_b64 v[38:39], v2, 1
	v_lshrrev_b64 v[0:1], v20, v[0:1]
	v_bfi_b32 v37, v37, 0, 0
	v_cmp_eq_u64_e64 s[28:29], v[36:37], v[38:39]
	v_mov_b32_e32 v2, v1
	v_mov_b32_e32 v1, v0
	s_and_saveexec_b64 s[38:39], s[28:29]
; %bb.1781:                             ;   in Loop: Header=BB6_357 Depth=4
	v_bfe_u32 v1, v0, 21, 1
	v_add_co_u32_e64 v1, s[28:29], v0, v1
	v_add_co_u32_e64 v1, s[28:29], -1, v1
; %bb.1782:                             ;   in Loop: Header=BB6_357 Depth=4
	s_or_b64 exec, exec, s[38:39]
	v_add_u32_e32 v2, 0xffffff81, v16
	v_mov_b32_e32 v16, 0xffffff82
	v_cndmask_b32_e32 v2, v2, v16, vcc
	v_lshrrev_b32_e32 v16, 23, v0
	v_add3_u32 v20, v20, v2, v16
	v_add_u32_e32 v16, 14, v20
	v_and_b32_e32 v1, 0x1fffff, v1
	v_add_u32_e32 v33, v1, v0
	v_cmp_ne_u32_e32 vcc, 0, v16
                                        ; implicit-def: $vgpr0_vgpr1
                                        ; implicit-def: $vgpr2
	s_and_saveexec_b64 s[28:29], vcc
	s_xor_b64 s[28:29], exec, s[28:29]
; %bb.1783:                             ;   in Loop: Header=BB6_357 Depth=4
	v_cmp_lt_u64_e32 vcc, s[88:89], v[33:34]
	v_add_u32_e32 v0, 15, v20
	v_cndmask_b32_e32 v2, v16, v0, vcc
	v_cndmask_b32_e64 v0, 0, 1, vcc
	v_lshrrev_b64 v[0:1], v0, v[33:34]
; %bb.1784:                             ;   in Loop: Header=BB6_357 Depth=4
	s_andn2_saveexec_b64 s[28:29], s[28:29]
; %bb.1785:                             ;   in Loop: Header=BB6_357 Depth=4
	v_mov_b32_e32 v0, v33
	v_mov_b32_e32 v1, v34
	v_bfe_u32 v2, v33, 23, 1
; %bb.1786:                             ;   in Loop: Header=BB6_357 Depth=4
	s_or_b64 exec, exec, s[28:29]
	v_lshrrev_b64 v[0:1], 21, v[0:1]
	v_cmp_gt_i32_e32 vcc, 32, v2
	v_cndmask_b32_e32 v1, 0, v1, vcc
	v_cndmask_b32_e32 v0, 3, v0, vcc
	v_cmp_eq_u64_e64 s[28:29], 0, v[0:1]
	v_min_i32_e32 v1, 31, v2
	v_lshlrev_b32_e32 v1, 2, v1
	v_cmp_eq_u32_e32 vcc, 0, v2
	v_and_b32_e32 v1, 0xfc, v1
	v_and_or_b32 v0, v0, 3, v1
	s_and_b64 s[28:29], vcc, s[28:29]
	v_cndmask_b32_e64 v0, v0, 0, s[28:29]
	v_or_b32_e32 v16, v0, v17
.LBB6_1787:                             ;   in Loop: Header=BB6_357 Depth=4
	s_or_b64 exec, exec, s[36:37]
                                        ; implicit-def: $vgpr17
.LBB6_1788:                             ;   in Loop: Header=BB6_357 Depth=4
	s_andn2_saveexec_b64 s[28:29], s[34:35]
; %bb.1789:                             ;   in Loop: Header=BB6_357 Depth=4
	v_or_b32_e32 v16, 0x7b, v17
; %bb.1790:                             ;   in Loop: Header=BB6_357 Depth=4
	s_or_b64 exec, exec, s[28:29]
                                        ; implicit-def: $vgpr0
.LBB6_1791:                             ;   in Loop: Header=BB6_357 Depth=4
	s_andn2_saveexec_b64 s[28:29], s[30:31]
	s_cbranch_execz .LBB6_1797
; %bb.1792:                             ;   in Loop: Header=BB6_357 Depth=4
	v_cmp_ne_u64_e32 vcc, 0, v[33:34]
                                        ; implicit-def: $vgpr16
	s_and_saveexec_b64 s[30:31], vcc
	s_xor_b64 vcc, exec, s[30:31]
; %bb.1793:                             ;   in Loop: Header=BB6_357 Depth=4
	v_or_b32_sdwa v16, v0, s83 dst_sel:DWORD dst_unused:UNUSED_PAD src0_sel:BYTE_3 src1_sel:DWORD
                                        ; implicit-def: $vgpr0
; %bb.1794:                             ;   in Loop: Header=BB6_357 Depth=4
	s_andn2_saveexec_b64 s[30:31], vcc
; %bb.1795:                             ;   in Loop: Header=BB6_357 Depth=4
	v_cmp_lt_i32_e32 vcc, -1, v0
	v_bfrev_b32_e32 v0, 0.5
	v_mov_b32_e32 v1, 0x7c
	v_cndmask_b32_e32 v16, v0, v1, vcc
; %bb.1796:                             ;   in Loop: Header=BB6_357 Depth=4
	s_or_b64 exec, exec, s[30:31]
.LBB6_1797:                             ;   in Loop: Header=BB6_357 Depth=4
	s_or_b64 exec, exec, s[28:29]
	v_cmp_ne_u16_sdwa vcc, v22, v34 src0_sel:BYTE_0 src1_sel:DWORD
	v_mov_b32_e32 v0, 0
	v_mov_b32_e32 v1, 0
	s_and_saveexec_b64 s[28:29], vcc
	s_cbranch_execz .LBB6_1805
; %bb.1798:                             ;   in Loop: Header=BB6_357 Depth=4
	v_cmp_ne_u16_sdwa vcc, sext(v22), s80 src0_sel:BYTE_0 src1_sel:DWORD
	v_bfrev_b32_e32 v1, 1
	s_and_saveexec_b64 s[30:31], vcc
	s_cbranch_execz .LBB6_1804
; %bb.1799:                             ;   in Loop: Header=BB6_357 Depth=4
	v_and_b32_e32 v1, 0x7c, v22
	v_and_b32_e32 v2, 3, v22
	v_cmp_ne_u32_e32 vcc, s81, v1
                                        ; implicit-def: $vgpr1
	s_and_saveexec_b64 s[34:35], vcc
	s_xor_b64 s[34:35], exec, s[34:35]
	s_cbranch_execz .LBB6_1801
; %bb.1800:                             ;   in Loop: Header=BB6_357 Depth=4
	v_ffbh_u32_e32 v17, v2
	v_min_u32_e32 v17, 32, v17
	v_bfe_u32 v1, v22, 2, 5
	v_subrev_u32_e32 v20, 29, v17
	v_lshlrev_b64 v[20:21], v20, v[22:23]
	v_sub_u32_e32 v17, 30, v17
	v_cmp_eq_u32_e32 vcc, 0, v1
	v_cndmask_b32_e32 v1, v1, v17, vcc
	v_lshlrev_b32_e32 v17, 24, v22
	v_and_b32_e32 v20, 3, v20
	v_and_b32_e32 v17, 0x80000000, v17
	v_cndmask_b32_e32 v2, v2, v20, vcc
	v_lshl_add_u32 v1, v1, 23, v17
	v_lshl_or_b32 v1, v2, 21, v1
	v_add_u32_e32 v1, 0x38000000, v1
                                        ; implicit-def: $vgpr2
.LBB6_1801:                             ;   in Loop: Header=BB6_357 Depth=4
	s_andn2_saveexec_b64 s[34:35], s[34:35]
; %bb.1802:                             ;   in Loop: Header=BB6_357 Depth=4
	v_mov_b32_e32 v1, -1
	v_cmp_gt_i16_sdwa vcc, sext(v22), v1 src0_sel:BYTE_0 src1_sel:DWORD
	v_mov_b32_e32 v1, 0xff800000
	v_mov_b32_e32 v17, 0x7f800000
	v_cndmask_b32_e32 v1, v1, v17, vcc
	v_cmp_eq_u32_e32 vcc, 0, v2
	v_mov_b32_e32 v2, 0x7f800001
	v_cndmask_b32_e32 v1, v2, v1, vcc
; %bb.1803:                             ;   in Loop: Header=BB6_357 Depth=4
	s_or_b64 exec, exec, s[34:35]
.LBB6_1804:                             ;   in Loop: Header=BB6_357 Depth=4
	s_or_b64 exec, exec, s[30:31]
.LBB6_1805:                             ;   in Loop: Header=BB6_357 Depth=4
	s_or_b64 exec, exec, s[28:29]
	v_cmp_ne_u16_sdwa vcc, v18, v34 src0_sel:BYTE_0 src1_sel:DWORD
	s_and_saveexec_b64 s[28:29], vcc
	s_cbranch_execz .LBB6_1813
; %bb.1806:                             ;   in Loop: Header=BB6_357 Depth=4
	v_cmp_ne_u16_sdwa vcc, sext(v18), s80 src0_sel:BYTE_0 src1_sel:DWORD
	v_bfrev_b32_e32 v0, 1
	s_and_saveexec_b64 s[30:31], vcc
	s_cbranch_execz .LBB6_1812
; %bb.1807:                             ;   in Loop: Header=BB6_357 Depth=4
	v_and_b32_e32 v0, 0x7c, v18
	v_and_b32_e32 v2, 3, v18
	v_cmp_ne_u32_e32 vcc, s81, v0
                                        ; implicit-def: $vgpr0
	s_and_saveexec_b64 s[34:35], vcc
	s_xor_b64 s[34:35], exec, s[34:35]
	s_cbranch_execz .LBB6_1809
; %bb.1808:                             ;   in Loop: Header=BB6_357 Depth=4
	v_ffbh_u32_e32 v17, v2
	v_min_u32_e32 v17, 32, v17
	v_bfe_u32 v0, v18, 2, 5
	v_subrev_u32_e32 v20, 29, v17
	v_lshlrev_b64 v[20:21], v20, v[18:19]
	v_sub_u32_e32 v17, 30, v17
	v_cmp_eq_u32_e32 vcc, 0, v0
	v_cndmask_b32_e32 v0, v0, v17, vcc
	v_lshlrev_b32_e32 v17, 24, v18
	v_and_b32_e32 v20, 3, v20
	v_and_b32_e32 v17, 0x80000000, v17
	v_cndmask_b32_e32 v2, v2, v20, vcc
	v_lshl_add_u32 v0, v0, 23, v17
	v_lshl_or_b32 v0, v2, 21, v0
	v_add_u32_e32 v0, 0x38000000, v0
                                        ; implicit-def: $vgpr2
.LBB6_1809:                             ;   in Loop: Header=BB6_357 Depth=4
	s_andn2_saveexec_b64 s[34:35], s[34:35]
; %bb.1810:                             ;   in Loop: Header=BB6_357 Depth=4
	v_mov_b32_e32 v0, -1
	v_cmp_gt_i16_sdwa vcc, sext(v18), v0 src0_sel:BYTE_0 src1_sel:DWORD
	v_mov_b32_e32 v0, 0xff800000
	v_mov_b32_e32 v17, 0x7f800000
	v_cndmask_b32_e32 v0, v0, v17, vcc
	v_cmp_eq_u32_e32 vcc, 0, v2
	v_mov_b32_e32 v2, 0x7f800001
	v_cndmask_b32_e32 v0, v2, v0, vcc
; %bb.1811:                             ;   in Loop: Header=BB6_357 Depth=4
	s_or_b64 exec, exec, s[34:35]
.LBB6_1812:                             ;   in Loop: Header=BB6_357 Depth=4
	s_or_b64 exec, exec, s[30:31]
.LBB6_1813:                             ;   in Loop: Header=BB6_357 Depth=4
	s_or_b64 exec, exec, s[28:29]
	v_mul_f32_e32 v0, v1, v0
	v_and_b32_e32 v1, 0x7f800000, v0
	v_mov_b32_e32 v2, v34
	v_cmp_ne_u64_e32 vcc, s[76:77], v[1:2]
	v_and_b32_e32 v33, 0x7fffff, v0
                                        ; implicit-def: $vgpr17
	s_and_saveexec_b64 s[28:29], vcc
	s_xor_b64 s[30:31], exec, s[28:29]
	s_cbranch_execz .LBB6_1827
; %bb.1814:                             ;   in Loop: Header=BB6_357 Depth=4
	v_and_b32_e32 v1, 0x7fffffff, v0
	v_mov_b32_e32 v2, v34
	v_cmp_gt_u64_e32 vcc, s[78:79], v[1:2]
	v_and_b32_sdwa v20, v0, s44 dst_sel:DWORD dst_unused:UNUSED_PAD src0_sel:BYTE_3 src1_sel:DWORD
                                        ; implicit-def: $vgpr17
	s_and_saveexec_b64 s[28:29], vcc
	s_xor_b64 s[34:35], exec, s[28:29]
	s_cbranch_execz .LBB6_1824
; %bb.1815:                             ;   in Loop: Header=BB6_357 Depth=4
	v_mov_b32_e32 v17, 0
	v_cmp_ne_u32_e32 vcc, 0, v0
	s_and_saveexec_b64 s[36:37], vcc
	s_cbranch_execz .LBB6_1823
; %bb.1816:                             ;   in Loop: Header=BB6_357 Depth=4
	v_bfe_u32 v17, v0, 23, 8
	v_cmp_gt_u32_e64 s[28:29], s45, v17
	v_sub_u32_e32 v0, 0x71, v17
	v_cmp_eq_u32_e32 vcc, 0, v17
	v_cndmask_b32_e64 v0, 0, v0, s[28:29]
	v_mov_b32_e32 v2, 0x70
	v_cndmask_b32_e32 v21, v0, v2, vcc
	v_add_u32_e32 v2, 21, v21
	v_or_b32_e32 v1, 0x800000, v33
	v_lshlrev_b64 v[36:37], v2, -1
	v_cndmask_b32_e32 v0, v1, v33, vcc
	v_mov_b32_e32 v1, v34
	v_add_u32_e32 v2, 20, v21
	v_bfi_b32 v36, v36, 0, v0
	v_lshlrev_b64 v[38:39], v2, 1
	v_lshrrev_b64 v[0:1], v21, v[0:1]
	v_bfi_b32 v37, v37, 0, 0
	v_cmp_eq_u64_e64 s[28:29], v[36:37], v[38:39]
	v_mov_b32_e32 v2, v1
	v_mov_b32_e32 v1, v0
	s_and_saveexec_b64 s[38:39], s[28:29]
; %bb.1817:                             ;   in Loop: Header=BB6_357 Depth=4
	v_bfe_u32 v1, v0, 21, 1
	v_add_co_u32_e64 v1, s[28:29], v0, v1
	v_add_co_u32_e64 v1, s[28:29], -1, v1
; %bb.1818:                             ;   in Loop: Header=BB6_357 Depth=4
	s_or_b64 exec, exec, s[38:39]
	v_add_u32_e32 v2, 0xffffff81, v17
	v_mov_b32_e32 v17, 0xffffff82
	v_cndmask_b32_e32 v2, v2, v17, vcc
	v_lshrrev_b32_e32 v17, 23, v0
	v_add3_u32 v21, v21, v2, v17
	v_add_u32_e32 v17, 14, v21
	v_and_b32_e32 v1, 0x1fffff, v1
	v_add_u32_e32 v33, v1, v0
	v_cmp_ne_u32_e32 vcc, 0, v17
                                        ; implicit-def: $vgpr0_vgpr1
                                        ; implicit-def: $vgpr2
	s_and_saveexec_b64 s[28:29], vcc
	s_xor_b64 s[28:29], exec, s[28:29]
; %bb.1819:                             ;   in Loop: Header=BB6_357 Depth=4
	v_cmp_lt_u64_e32 vcc, s[88:89], v[33:34]
	v_add_u32_e32 v0, 15, v21
	v_cndmask_b32_e32 v2, v17, v0, vcc
	v_cndmask_b32_e64 v0, 0, 1, vcc
	v_lshrrev_b64 v[0:1], v0, v[33:34]
; %bb.1820:                             ;   in Loop: Header=BB6_357 Depth=4
	s_andn2_saveexec_b64 s[28:29], s[28:29]
; %bb.1821:                             ;   in Loop: Header=BB6_357 Depth=4
	v_mov_b32_e32 v0, v33
	v_mov_b32_e32 v1, v34
	v_bfe_u32 v2, v33, 23, 1
; %bb.1822:                             ;   in Loop: Header=BB6_357 Depth=4
	s_or_b64 exec, exec, s[28:29]
	v_lshrrev_b64 v[0:1], 21, v[0:1]
	v_cmp_gt_i32_e32 vcc, 32, v2
	v_cndmask_b32_e32 v1, 0, v1, vcc
	v_cndmask_b32_e32 v0, 3, v0, vcc
	v_cmp_eq_u64_e64 s[28:29], 0, v[0:1]
	v_min_i32_e32 v1, 31, v2
	v_lshlrev_b32_e32 v1, 2, v1
	v_cmp_eq_u32_e32 vcc, 0, v2
	v_and_b32_e32 v1, 0xfc, v1
	v_and_or_b32 v0, v0, 3, v1
	s_and_b64 s[28:29], vcc, s[28:29]
	v_cndmask_b32_e64 v0, v0, 0, s[28:29]
	v_or_b32_e32 v17, v0, v20
.LBB6_1823:                             ;   in Loop: Header=BB6_357 Depth=4
	s_or_b64 exec, exec, s[36:37]
                                        ; implicit-def: $vgpr20
.LBB6_1824:                             ;   in Loop: Header=BB6_357 Depth=4
	s_andn2_saveexec_b64 s[28:29], s[34:35]
; %bb.1825:                             ;   in Loop: Header=BB6_357 Depth=4
	v_or_b32_e32 v17, 0x7b, v20
; %bb.1826:                             ;   in Loop: Header=BB6_357 Depth=4
	s_or_b64 exec, exec, s[28:29]
                                        ; implicit-def: $vgpr0
.LBB6_1827:                             ;   in Loop: Header=BB6_357 Depth=4
	s_andn2_saveexec_b64 s[28:29], s[30:31]
	s_cbranch_execz .LBB6_1833
; %bb.1828:                             ;   in Loop: Header=BB6_357 Depth=4
	v_cmp_ne_u64_e32 vcc, 0, v[33:34]
                                        ; implicit-def: $vgpr17
	s_and_saveexec_b64 s[30:31], vcc
	s_xor_b64 vcc, exec, s[30:31]
; %bb.1829:                             ;   in Loop: Header=BB6_357 Depth=4
	v_or_b32_sdwa v17, v0, s83 dst_sel:DWORD dst_unused:UNUSED_PAD src0_sel:BYTE_3 src1_sel:DWORD
                                        ; implicit-def: $vgpr0
; %bb.1830:                             ;   in Loop: Header=BB6_357 Depth=4
	s_andn2_saveexec_b64 s[30:31], vcc
; %bb.1831:                             ;   in Loop: Header=BB6_357 Depth=4
	v_cmp_lt_i32_e32 vcc, -1, v0
	v_bfrev_b32_e32 v0, 0.5
	v_mov_b32_e32 v1, 0x7c
	v_cndmask_b32_e32 v17, v0, v1, vcc
; %bb.1832:                             ;   in Loop: Header=BB6_357 Depth=4
	s_or_b64 exec, exec, s[30:31]
.LBB6_1833:                             ;   in Loop: Header=BB6_357 Depth=4
	s_or_b64 exec, exec, s[28:29]
	v_lshrrev_b16_e32 v0, 8, v22
	v_cmp_ne_u16_e32 vcc, 0, v0
	v_mov_b32_e32 v2, 0
	v_mov_b32_e32 v20, 0
	s_and_saveexec_b64 s[28:29], vcc
	s_cbranch_execz .LBB6_1841
; %bb.1834:                             ;   in Loop: Header=BB6_357 Depth=4
	v_cmp_ne_u16_e32 vcc, s44, v0
	v_bfrev_b32_e32 v20, 1
	s_and_saveexec_b64 s[30:31], vcc
	s_cbranch_execz .LBB6_1840
; %bb.1835:                             ;   in Loop: Header=BB6_357 Depth=4
	v_and_b32_e32 v1, 0x7c, v0
	v_and_b32_e32 v21, 3, v0
	v_cmp_ne_u32_e32 vcc, s81, v1
                                        ; implicit-def: $vgpr20
	s_and_saveexec_b64 s[34:35], vcc
	s_xor_b64 s[34:35], exec, s[34:35]
	s_cbranch_execz .LBB6_1837
; %bb.1836:                             ;   in Loop: Header=BB6_357 Depth=4
	v_ffbh_u32_e32 v28, v21
	v_min_u32_e32 v28, 32, v28
	v_mov_b32_e32 v1, v34
	v_subrev_u32_e32 v29, 29, v28
	v_bfe_u32 v20, v0, 2, 5
	v_lshlrev_b64 v[0:1], v29, v[0:1]
	v_sub_u32_e32 v1, 30, v28
	v_cmp_eq_u32_e32 vcc, 0, v20
	v_cndmask_b32_e32 v1, v20, v1, vcc
	v_lshlrev_b32_e32 v20, 16, v22
	v_and_b32_e32 v0, 3, v0
	v_and_b32_e32 v20, 0x80000000, v20
	v_cndmask_b32_e32 v0, v21, v0, vcc
	v_lshl_add_u32 v1, v1, 23, v20
	v_lshl_or_b32 v0, v0, 21, v1
	v_add_u32_e32 v20, 0x38000000, v0
                                        ; implicit-def: $vgpr21
.LBB6_1837:                             ;   in Loop: Header=BB6_357 Depth=4
	s_andn2_saveexec_b64 s[34:35], s[34:35]
; %bb.1838:                             ;   in Loop: Header=BB6_357 Depth=4
	v_cmp_lt_i16_e32 vcc, -1, v22
	v_mov_b32_e32 v0, 0xff800000
	v_mov_b32_e32 v1, 0x7f800000
	v_cndmask_b32_e32 v0, v0, v1, vcc
	v_cmp_eq_u32_e32 vcc, 0, v21
	v_mov_b32_e32 v1, 0x7f800001
	v_cndmask_b32_e32 v20, v1, v0, vcc
; %bb.1839:                             ;   in Loop: Header=BB6_357 Depth=4
	s_or_b64 exec, exec, s[34:35]
.LBB6_1840:                             ;   in Loop: Header=BB6_357 Depth=4
	s_or_b64 exec, exec, s[30:31]
.LBB6_1841:                             ;   in Loop: Header=BB6_357 Depth=4
	s_or_b64 exec, exec, s[28:29]
	v_lshrrev_b16_e32 v0, 8, v18
	v_cmp_ne_u16_e32 vcc, 0, v0
	s_and_saveexec_b64 s[28:29], vcc
	s_cbranch_execz .LBB6_1849
; %bb.1842:                             ;   in Loop: Header=BB6_357 Depth=4
	v_cmp_ne_u16_e32 vcc, s44, v0
	v_bfrev_b32_e32 v2, 1
	s_and_saveexec_b64 s[30:31], vcc
	s_cbranch_execz .LBB6_1848
; %bb.1843:                             ;   in Loop: Header=BB6_357 Depth=4
	v_and_b32_e32 v1, 0x7c, v0
	v_and_b32_e32 v21, 3, v0
	v_cmp_ne_u32_e32 vcc, s81, v1
                                        ; implicit-def: $vgpr2
	s_and_saveexec_b64 s[34:35], vcc
	s_xor_b64 s[34:35], exec, s[34:35]
	s_cbranch_execz .LBB6_1845
; %bb.1844:                             ;   in Loop: Header=BB6_357 Depth=4
	v_ffbh_u32_e32 v28, v21
	v_min_u32_e32 v28, 32, v28
	v_mov_b32_e32 v1, v34
	v_subrev_u32_e32 v29, 29, v28
	v_bfe_u32 v2, v0, 2, 5
	v_lshlrev_b64 v[0:1], v29, v[0:1]
	v_sub_u32_e32 v1, 30, v28
	v_cmp_eq_u32_e32 vcc, 0, v2
	v_cndmask_b32_e32 v1, v2, v1, vcc
	v_lshlrev_b32_e32 v2, 16, v18
	v_and_b32_e32 v0, 3, v0
	v_and_b32_e32 v2, 0x80000000, v2
	v_cndmask_b32_e32 v0, v21, v0, vcc
	v_lshl_add_u32 v1, v1, 23, v2
	v_lshl_or_b32 v0, v0, 21, v1
	v_add_u32_e32 v2, 0x38000000, v0
                                        ; implicit-def: $vgpr21
.LBB6_1845:                             ;   in Loop: Header=BB6_357 Depth=4
	s_andn2_saveexec_b64 s[34:35], s[34:35]
; %bb.1846:                             ;   in Loop: Header=BB6_357 Depth=4
	v_cmp_lt_i16_e32 vcc, -1, v18
	v_mov_b32_e32 v0, 0xff800000
	v_mov_b32_e32 v1, 0x7f800000
	v_cndmask_b32_e32 v0, v0, v1, vcc
	v_cmp_eq_u32_e32 vcc, 0, v21
	v_mov_b32_e32 v1, 0x7f800001
	v_cndmask_b32_e32 v2, v1, v0, vcc
; %bb.1847:                             ;   in Loop: Header=BB6_357 Depth=4
	s_or_b64 exec, exec, s[34:35]
.LBB6_1848:                             ;   in Loop: Header=BB6_357 Depth=4
	s_or_b64 exec, exec, s[30:31]
.LBB6_1849:                             ;   in Loop: Header=BB6_357 Depth=4
	s_or_b64 exec, exec, s[28:29]
	v_mul_f32_e32 v0, v20, v2
	v_and_b32_e32 v1, 0x7f800000, v0
	v_mov_b32_e32 v2, v34
	v_cmp_ne_u64_e32 vcc, s[76:77], v[1:2]
	v_and_b32_e32 v33, 0x7fffff, v0
                                        ; implicit-def: $vgpr20
	s_and_saveexec_b64 s[28:29], vcc
	s_xor_b64 s[30:31], exec, s[28:29]
	s_cbranch_execz .LBB6_1863
; %bb.1850:                             ;   in Loop: Header=BB6_357 Depth=4
	v_and_b32_e32 v1, 0x7fffffff, v0
	v_mov_b32_e32 v2, v34
	v_cmp_gt_u64_e32 vcc, s[78:79], v[1:2]
	v_and_b32_sdwa v21, v0, s44 dst_sel:DWORD dst_unused:UNUSED_PAD src0_sel:BYTE_3 src1_sel:DWORD
                                        ; implicit-def: $vgpr20
	s_and_saveexec_b64 s[28:29], vcc
	s_xor_b64 s[34:35], exec, s[28:29]
	s_cbranch_execz .LBB6_1860
; %bb.1851:                             ;   in Loop: Header=BB6_357 Depth=4
	v_mov_b32_e32 v20, 0
	v_cmp_ne_u32_e32 vcc, 0, v0
	s_and_saveexec_b64 s[36:37], vcc
	s_cbranch_execz .LBB6_1859
; %bb.1852:                             ;   in Loop: Header=BB6_357 Depth=4
	v_bfe_u32 v20, v0, 23, 8
	v_cmp_gt_u32_e64 s[28:29], s45, v20
	v_sub_u32_e32 v0, 0x71, v20
	v_cmp_eq_u32_e32 vcc, 0, v20
	v_cndmask_b32_e64 v0, 0, v0, s[28:29]
	v_mov_b32_e32 v2, 0x70
	v_cndmask_b32_e32 v36, v0, v2, vcc
	v_add_u32_e32 v2, 21, v36
	v_or_b32_e32 v1, 0x800000, v33
	v_lshlrev_b64 v[37:38], v2, -1
	v_cndmask_b32_e32 v0, v1, v33, vcc
	v_mov_b32_e32 v1, v34
	v_add_u32_e32 v2, 20, v36
	v_bfi_b32 v37, v37, 0, v0
	v_lshlrev_b64 v[48:49], v2, 1
	v_lshrrev_b64 v[0:1], v36, v[0:1]
	v_bfi_b32 v38, v38, 0, 0
	v_cmp_eq_u64_e64 s[28:29], v[37:38], v[48:49]
	v_mov_b32_e32 v2, v1
	v_mov_b32_e32 v1, v0
	s_and_saveexec_b64 s[38:39], s[28:29]
; %bb.1853:                             ;   in Loop: Header=BB6_357 Depth=4
	v_bfe_u32 v1, v0, 21, 1
	v_add_co_u32_e64 v1, s[28:29], v0, v1
	v_add_co_u32_e64 v1, s[28:29], -1, v1
; %bb.1854:                             ;   in Loop: Header=BB6_357 Depth=4
	s_or_b64 exec, exec, s[38:39]
	v_add_u32_e32 v2, 0xffffff81, v20
	v_mov_b32_e32 v20, 0xffffff82
	v_cndmask_b32_e32 v2, v2, v20, vcc
	v_lshrrev_b32_e32 v20, 23, v0
	v_add3_u32 v36, v36, v2, v20
	v_add_u32_e32 v20, 14, v36
	v_and_b32_e32 v1, 0x1fffff, v1
	v_add_u32_e32 v33, v1, v0
	v_cmp_ne_u32_e32 vcc, 0, v20
                                        ; implicit-def: $vgpr0_vgpr1
                                        ; implicit-def: $vgpr2
	s_and_saveexec_b64 s[28:29], vcc
	s_xor_b64 s[28:29], exec, s[28:29]
; %bb.1855:                             ;   in Loop: Header=BB6_357 Depth=4
	v_cmp_lt_u64_e32 vcc, s[88:89], v[33:34]
	v_add_u32_e32 v0, 15, v36
	v_cndmask_b32_e32 v2, v20, v0, vcc
	v_cndmask_b32_e64 v0, 0, 1, vcc
	v_lshrrev_b64 v[0:1], v0, v[33:34]
; %bb.1856:                             ;   in Loop: Header=BB6_357 Depth=4
	s_andn2_saveexec_b64 s[28:29], s[28:29]
; %bb.1857:                             ;   in Loop: Header=BB6_357 Depth=4
	v_mov_b32_e32 v0, v33
	v_mov_b32_e32 v1, v34
	v_bfe_u32 v2, v33, 23, 1
; %bb.1858:                             ;   in Loop: Header=BB6_357 Depth=4
	s_or_b64 exec, exec, s[28:29]
	v_lshrrev_b64 v[0:1], 21, v[0:1]
	v_cmp_gt_i32_e32 vcc, 32, v2
	v_cndmask_b32_e32 v1, 0, v1, vcc
	v_cndmask_b32_e32 v0, 3, v0, vcc
	v_cmp_eq_u64_e64 s[28:29], 0, v[0:1]
	v_min_i32_e32 v1, 31, v2
	v_lshlrev_b32_e32 v1, 2, v1
	v_cmp_eq_u32_e32 vcc, 0, v2
	v_and_b32_e32 v1, 0xfc, v1
	v_and_or_b32 v0, v0, 3, v1
	s_and_b64 s[28:29], vcc, s[28:29]
	v_cndmask_b32_e64 v0, v0, 0, s[28:29]
	v_or_b32_e32 v20, v0, v21
.LBB6_1859:                             ;   in Loop: Header=BB6_357 Depth=4
	s_or_b64 exec, exec, s[36:37]
                                        ; implicit-def: $vgpr21
.LBB6_1860:                             ;   in Loop: Header=BB6_357 Depth=4
	s_andn2_saveexec_b64 s[28:29], s[34:35]
; %bb.1861:                             ;   in Loop: Header=BB6_357 Depth=4
	v_or_b32_e32 v20, 0x7b, v21
; %bb.1862:                             ;   in Loop: Header=BB6_357 Depth=4
	s_or_b64 exec, exec, s[28:29]
                                        ; implicit-def: $vgpr0
.LBB6_1863:                             ;   in Loop: Header=BB6_357 Depth=4
	s_andn2_saveexec_b64 s[28:29], s[30:31]
	s_cbranch_execz .LBB6_1869
; %bb.1864:                             ;   in Loop: Header=BB6_357 Depth=4
	v_cmp_ne_u64_e32 vcc, 0, v[33:34]
                                        ; implicit-def: $vgpr20
	s_and_saveexec_b64 s[30:31], vcc
	s_xor_b64 vcc, exec, s[30:31]
; %bb.1865:                             ;   in Loop: Header=BB6_357 Depth=4
	v_or_b32_sdwa v20, v0, s83 dst_sel:DWORD dst_unused:UNUSED_PAD src0_sel:BYTE_3 src1_sel:DWORD
                                        ; implicit-def: $vgpr0
; %bb.1866:                             ;   in Loop: Header=BB6_357 Depth=4
	s_andn2_saveexec_b64 s[30:31], vcc
; %bb.1867:                             ;   in Loop: Header=BB6_357 Depth=4
	v_cmp_lt_i32_e32 vcc, -1, v0
	v_bfrev_b32_e32 v0, 0.5
	v_mov_b32_e32 v1, 0x7c
	v_cndmask_b32_e32 v20, v0, v1, vcc
; %bb.1868:                             ;   in Loop: Header=BB6_357 Depth=4
	s_or_b64 exec, exec, s[30:31]
.LBB6_1869:                             ;   in Loop: Header=BB6_357 Depth=4
	s_or_b64 exec, exec, s[28:29]
	v_lshrrev_b32_e32 v0, 16, v22
	v_cmp_ne_u16_sdwa vcc, v0, v34 src0_sel:BYTE_0 src1_sel:DWORD
	v_mov_b32_e32 v1, 0
	v_mov_b32_e32 v2, 0
	s_and_saveexec_b64 s[28:29], vcc
	s_cbranch_execz .LBB6_1877
; %bb.1870:                             ;   in Loop: Header=BB6_357 Depth=4
	v_cmp_ne_u16_sdwa vcc, v0, s44 src0_sel:BYTE_0 src1_sel:DWORD
	v_bfrev_b32_e32 v2, 1
	s_and_saveexec_b64 s[30:31], vcc
	s_cbranch_execz .LBB6_1876
; %bb.1871:                             ;   in Loop: Header=BB6_357 Depth=4
	v_and_b32_e32 v2, 0x7c0000, v22
	v_bfe_u32 v21, v22, 16, 2
	v_cmp_ne_u32_e32 vcc, s9, v2
                                        ; implicit-def: $vgpr2
	s_and_saveexec_b64 s[34:35], vcc
	s_xor_b64 s[34:35], exec, s[34:35]
	s_cbranch_execz .LBB6_1873
; %bb.1872:                             ;   in Loop: Header=BB6_357 Depth=4
	v_ffbh_u32_e32 v28, v21
	v_min_u32_e32 v28, 32, v28
	v_subrev_u32_e32 v29, 29, v28
	v_lshlrev_b64 v[36:37], v29, v[0:1]
	v_bfe_u32 v2, v22, 18, 5
	v_sub_u32_e32 v0, 30, v28
	v_and_b32_e32 v28, 3, v36
	v_cmp_eq_u32_e32 vcc, 0, v2
	v_cndmask_b32_e32 v0, v2, v0, vcc
	v_cndmask_b32_e32 v2, v21, v28, vcc
	v_lshlrev_b32_e32 v21, 8, v22
	v_and_b32_e32 v21, 0x80000000, v21
	v_lshl_add_u32 v0, v0, 23, v21
	v_lshl_or_b32 v0, v2, 21, v0
	v_add_u32_e32 v2, 0x38000000, v0
                                        ; implicit-def: $vgpr21
                                        ; implicit-def: $vgpr0
.LBB6_1873:                             ;   in Loop: Header=BB6_357 Depth=4
	s_andn2_saveexec_b64 s[34:35], s[34:35]
; %bb.1874:                             ;   in Loop: Header=BB6_357 Depth=4
	v_mov_b32_e32 v2, -1
	v_cmp_gt_i16_sdwa vcc, sext(v0), v2 src0_sel:BYTE_0 src1_sel:DWORD
	v_mov_b32_e32 v0, 0xff800000
	v_mov_b32_e32 v2, 0x7f800000
	v_cndmask_b32_e32 v0, v0, v2, vcc
	v_cmp_eq_u32_e32 vcc, 0, v21
	v_mov_b32_e32 v2, 0x7f800001
	v_cndmask_b32_e32 v2, v2, v0, vcc
; %bb.1875:                             ;   in Loop: Header=BB6_357 Depth=4
	s_or_b64 exec, exec, s[34:35]
.LBB6_1876:                             ;   in Loop: Header=BB6_357 Depth=4
	s_or_b64 exec, exec, s[30:31]
.LBB6_1877:                             ;   in Loop: Header=BB6_357 Depth=4
	s_or_b64 exec, exec, s[28:29]
	v_lshrrev_b32_e32 v0, 16, v18
	v_cmp_ne_u16_sdwa vcc, v0, v34 src0_sel:BYTE_0 src1_sel:DWORD
	s_and_saveexec_b64 s[28:29], vcc
	s_cbranch_execz .LBB6_1885
; %bb.1878:                             ;   in Loop: Header=BB6_357 Depth=4
	v_cmp_ne_u16_sdwa vcc, v0, s44 src0_sel:BYTE_0 src1_sel:DWORD
	v_bfrev_b32_e32 v1, 1
	s_and_saveexec_b64 s[30:31], vcc
	s_cbranch_execz .LBB6_1884
; %bb.1879:                             ;   in Loop: Header=BB6_357 Depth=4
	v_and_b32_e32 v1, 0x7c0000, v18
	v_bfe_u32 v21, v18, 16, 2
	v_cmp_ne_u32_e32 vcc, s9, v1
                                        ; implicit-def: $vgpr1
	s_and_saveexec_b64 s[34:35], vcc
	s_xor_b64 s[34:35], exec, s[34:35]
	s_cbranch_execz .LBB6_1881
; %bb.1880:                             ;   in Loop: Header=BB6_357 Depth=4
	v_ffbh_u32_e32 v1, v21
	v_min_u32_e32 v29, 32, v1
	v_subrev_u32_e32 v1, 29, v29
	v_lshlrev_b64 v[0:1], v1, v[0:1]
	v_bfe_u32 v28, v18, 18, 5
	v_and_b32_e32 v0, 3, v0
	v_cmp_eq_u32_e32 vcc, 0, v28
	v_sub_u32_e32 v1, 30, v29
	v_cndmask_b32_e32 v0, v21, v0, vcc
	v_lshlrev_b32_e32 v21, 8, v18
	v_cndmask_b32_e32 v1, v28, v1, vcc
	v_and_b32_e32 v21, 0x80000000, v21
	v_lshl_add_u32 v1, v1, 23, v21
	v_lshl_or_b32 v0, v0, 21, v1
	v_add_u32_e32 v1, 0x38000000, v0
                                        ; implicit-def: $vgpr21
                                        ; implicit-def: $vgpr0
.LBB6_1881:                             ;   in Loop: Header=BB6_357 Depth=4
	s_andn2_saveexec_b64 s[34:35], s[34:35]
; %bb.1882:                             ;   in Loop: Header=BB6_357 Depth=4
	v_mov_b32_e32 v1, -1
	v_cmp_gt_i16_sdwa vcc, sext(v0), v1 src0_sel:BYTE_0 src1_sel:DWORD
	v_mov_b32_e32 v0, 0xff800000
	v_mov_b32_e32 v1, 0x7f800000
	v_cndmask_b32_e32 v0, v0, v1, vcc
	v_cmp_eq_u32_e32 vcc, 0, v21
	v_mov_b32_e32 v1, 0x7f800001
	v_cndmask_b32_e32 v1, v1, v0, vcc
; %bb.1883:                             ;   in Loop: Header=BB6_357 Depth=4
	s_or_b64 exec, exec, s[34:35]
.LBB6_1884:                             ;   in Loop: Header=BB6_357 Depth=4
	s_or_b64 exec, exec, s[30:31]
.LBB6_1885:                             ;   in Loop: Header=BB6_357 Depth=4
	s_or_b64 exec, exec, s[28:29]
	v_mul_f32_e32 v0, v2, v1
	v_and_b32_e32 v1, 0x7f800000, v0
	v_mov_b32_e32 v2, v34
	v_cmp_ne_u64_e32 vcc, s[76:77], v[1:2]
	v_and_b32_e32 v33, 0x7fffff, v0
                                        ; implicit-def: $vgpr21
	s_and_saveexec_b64 s[28:29], vcc
	s_xor_b64 s[30:31], exec, s[28:29]
	s_cbranch_execz .LBB6_1899
; %bb.1886:                             ;   in Loop: Header=BB6_357 Depth=4
	v_and_b32_e32 v1, 0x7fffffff, v0
	v_mov_b32_e32 v2, v34
	v_cmp_gt_u64_e32 vcc, s[78:79], v[1:2]
	v_and_b32_sdwa v36, v0, s44 dst_sel:DWORD dst_unused:UNUSED_PAD src0_sel:BYTE_3 src1_sel:DWORD
                                        ; implicit-def: $vgpr21
	s_and_saveexec_b64 s[28:29], vcc
	s_xor_b64 s[34:35], exec, s[28:29]
	s_cbranch_execz .LBB6_1896
; %bb.1887:                             ;   in Loop: Header=BB6_357 Depth=4
	v_mov_b32_e32 v21, 0
	v_cmp_ne_u32_e32 vcc, 0, v0
	s_and_saveexec_b64 s[36:37], vcc
	s_cbranch_execz .LBB6_1895
; %bb.1888:                             ;   in Loop: Header=BB6_357 Depth=4
	v_bfe_u32 v21, v0, 23, 8
	v_cmp_gt_u32_e64 s[28:29], s45, v21
	v_sub_u32_e32 v0, 0x71, v21
	v_cmp_eq_u32_e32 vcc, 0, v21
	v_cndmask_b32_e64 v0, 0, v0, s[28:29]
	v_mov_b32_e32 v2, 0x70
	v_cndmask_b32_e32 v37, v0, v2, vcc
	v_add_u32_e32 v2, 21, v37
	v_or_b32_e32 v1, 0x800000, v33
	v_lshlrev_b64 v[38:39], v2, -1
	v_cndmask_b32_e32 v0, v1, v33, vcc
	v_mov_b32_e32 v1, v34
	v_add_u32_e32 v2, 20, v37
	v_bfi_b32 v38, v38, 0, v0
	v_lshlrev_b64 v[48:49], v2, 1
	v_lshrrev_b64 v[0:1], v37, v[0:1]
	v_bfi_b32 v39, v39, 0, 0
	v_cmp_eq_u64_e64 s[28:29], v[38:39], v[48:49]
	v_mov_b32_e32 v2, v1
	v_mov_b32_e32 v1, v0
	s_and_saveexec_b64 s[38:39], s[28:29]
; %bb.1889:                             ;   in Loop: Header=BB6_357 Depth=4
	v_bfe_u32 v1, v0, 21, 1
	v_add_co_u32_e64 v1, s[28:29], v0, v1
	v_add_co_u32_e64 v1, s[28:29], -1, v1
; %bb.1890:                             ;   in Loop: Header=BB6_357 Depth=4
	s_or_b64 exec, exec, s[38:39]
	v_add_u32_e32 v2, 0xffffff81, v21
	v_mov_b32_e32 v21, 0xffffff82
	v_cndmask_b32_e32 v2, v2, v21, vcc
	v_lshrrev_b32_e32 v21, 23, v0
	v_add3_u32 v37, v37, v2, v21
	v_add_u32_e32 v21, 14, v37
	v_and_b32_e32 v1, 0x1fffff, v1
	v_add_u32_e32 v33, v1, v0
	v_cmp_ne_u32_e32 vcc, 0, v21
                                        ; implicit-def: $vgpr0_vgpr1
                                        ; implicit-def: $vgpr2
	s_and_saveexec_b64 s[28:29], vcc
	s_xor_b64 s[28:29], exec, s[28:29]
; %bb.1891:                             ;   in Loop: Header=BB6_357 Depth=4
	v_cmp_lt_u64_e32 vcc, s[88:89], v[33:34]
	v_add_u32_e32 v0, 15, v37
	v_cndmask_b32_e32 v2, v21, v0, vcc
	v_cndmask_b32_e64 v0, 0, 1, vcc
	v_lshrrev_b64 v[0:1], v0, v[33:34]
; %bb.1892:                             ;   in Loop: Header=BB6_357 Depth=4
	s_andn2_saveexec_b64 s[28:29], s[28:29]
; %bb.1893:                             ;   in Loop: Header=BB6_357 Depth=4
	v_mov_b32_e32 v0, v33
	v_mov_b32_e32 v1, v34
	v_bfe_u32 v2, v33, 23, 1
; %bb.1894:                             ;   in Loop: Header=BB6_357 Depth=4
	s_or_b64 exec, exec, s[28:29]
	v_lshrrev_b64 v[0:1], 21, v[0:1]
	v_cmp_gt_i32_e32 vcc, 32, v2
	v_cndmask_b32_e32 v1, 0, v1, vcc
	v_cndmask_b32_e32 v0, 3, v0, vcc
	v_cmp_eq_u64_e64 s[28:29], 0, v[0:1]
	v_min_i32_e32 v1, 31, v2
	v_lshlrev_b32_e32 v1, 2, v1
	v_cmp_eq_u32_e32 vcc, 0, v2
	v_and_b32_e32 v1, 0xfc, v1
	v_and_or_b32 v0, v0, 3, v1
	s_and_b64 s[28:29], vcc, s[28:29]
	v_cndmask_b32_e64 v0, v0, 0, s[28:29]
	v_or_b32_e32 v21, v0, v36
.LBB6_1895:                             ;   in Loop: Header=BB6_357 Depth=4
	s_or_b64 exec, exec, s[36:37]
                                        ; implicit-def: $vgpr36
.LBB6_1896:                             ;   in Loop: Header=BB6_357 Depth=4
	s_andn2_saveexec_b64 s[28:29], s[34:35]
; %bb.1897:                             ;   in Loop: Header=BB6_357 Depth=4
	v_or_b32_e32 v21, 0x7b, v36
; %bb.1898:                             ;   in Loop: Header=BB6_357 Depth=4
	s_or_b64 exec, exec, s[28:29]
                                        ; implicit-def: $vgpr0
.LBB6_1899:                             ;   in Loop: Header=BB6_357 Depth=4
	s_andn2_saveexec_b64 s[28:29], s[30:31]
	s_cbranch_execz .LBB6_1905
; %bb.1900:                             ;   in Loop: Header=BB6_357 Depth=4
	v_cmp_ne_u64_e32 vcc, 0, v[33:34]
                                        ; implicit-def: $vgpr21
	s_and_saveexec_b64 s[30:31], vcc
	s_xor_b64 vcc, exec, s[30:31]
; %bb.1901:                             ;   in Loop: Header=BB6_357 Depth=4
	v_or_b32_sdwa v21, v0, s83 dst_sel:DWORD dst_unused:UNUSED_PAD src0_sel:BYTE_3 src1_sel:DWORD
                                        ; implicit-def: $vgpr0
; %bb.1902:                             ;   in Loop: Header=BB6_357 Depth=4
	s_andn2_saveexec_b64 s[30:31], vcc
; %bb.1903:                             ;   in Loop: Header=BB6_357 Depth=4
	v_cmp_lt_i32_e32 vcc, -1, v0
	v_bfrev_b32_e32 v0, 0.5
	v_mov_b32_e32 v1, 0x7c
	v_cndmask_b32_e32 v21, v0, v1, vcc
; %bb.1904:                             ;   in Loop: Header=BB6_357 Depth=4
	s_or_b64 exec, exec, s[30:31]
.LBB6_1905:                             ;   in Loop: Header=BB6_357 Depth=4
	s_or_b64 exec, exec, s[28:29]
	v_cmp_lt_u32_e32 vcc, s57, v22
	v_mov_b32_e32 v1, 0
	v_mov_b32_e32 v2, 0
	s_and_saveexec_b64 s[28:29], vcc
	s_cbranch_execz .LBB6_1913
; %bb.1906:                             ;   in Loop: Header=BB6_357 Depth=4
	v_lshrrev_b32_e32 v0, 24, v22
	v_cmp_ne_u32_e32 vcc, s44, v0
	v_bfrev_b32_e32 v2, 1
	s_and_saveexec_b64 s[30:31], vcc
	s_cbranch_execz .LBB6_1912
; %bb.1907:                             ;   in Loop: Header=BB6_357 Depth=4
	v_and_b32_e32 v2, 0x7c000000, v22
	v_bfe_u32 v33, v22, 24, 2
	v_cmp_ne_u32_e32 vcc, s8, v2
                                        ; implicit-def: $vgpr2
	s_and_saveexec_b64 s[34:35], vcc
	s_xor_b64 s[34:35], exec, s[34:35]
	s_cbranch_execz .LBB6_1909
; %bb.1908:                             ;   in Loop: Header=BB6_357 Depth=4
	v_ffbh_u32_e32 v28, v33
	v_min_u32_e32 v28, 32, v28
	v_subrev_u32_e32 v29, 29, v28
	v_lshlrev_b64 v[36:37], v29, v[0:1]
	v_bfe_u32 v2, v22, 26, 5
	v_sub_u32_e32 v0, 30, v28
	v_and_b32_e32 v28, 3, v36
	v_cmp_eq_u32_e32 vcc, 0, v2
	v_cndmask_b32_e32 v0, v2, v0, vcc
	v_cndmask_b32_e32 v2, v33, v28, vcc
	v_and_b32_e32 v28, 0x80000000, v22
	v_lshl_add_u32 v0, v0, 23, v28
	v_lshl_or_b32 v0, v2, 21, v0
	v_add_u32_e32 v2, 0x38000000, v0
                                        ; implicit-def: $vgpr33
.LBB6_1909:                             ;   in Loop: Header=BB6_357 Depth=4
	s_andn2_saveexec_b64 s[34:35], s[34:35]
; %bb.1910:                             ;   in Loop: Header=BB6_357 Depth=4
	v_cmp_lt_i32_e32 vcc, -1, v22
	v_mov_b32_e32 v0, 0xff800000
	v_mov_b32_e32 v2, 0x7f800000
	v_cndmask_b32_e32 v0, v0, v2, vcc
	v_cmp_eq_u32_e32 vcc, 0, v33
	v_mov_b32_e32 v2, 0x7f800001
	v_cndmask_b32_e32 v2, v2, v0, vcc
; %bb.1911:                             ;   in Loop: Header=BB6_357 Depth=4
	s_or_b64 exec, exec, s[34:35]
.LBB6_1912:                             ;   in Loop: Header=BB6_357 Depth=4
	s_or_b64 exec, exec, s[30:31]
.LBB6_1913:                             ;   in Loop: Header=BB6_357 Depth=4
	s_or_b64 exec, exec, s[28:29]
	v_cmp_lt_u32_e32 vcc, s57, v18
	s_and_saveexec_b64 s[28:29], vcc
	s_cbranch_execz .LBB6_1921
; %bb.1914:                             ;   in Loop: Header=BB6_357 Depth=4
	v_lshrrev_b32_e32 v0, 24, v18
	v_cmp_ne_u32_e32 vcc, s44, v0
	v_bfrev_b32_e32 v1, 1
	s_and_saveexec_b64 s[30:31], vcc
	s_cbranch_execz .LBB6_1920
; %bb.1915:                             ;   in Loop: Header=BB6_357 Depth=4
	v_and_b32_e32 v1, 0x7c000000, v18
	v_bfe_u32 v33, v18, 24, 2
	v_cmp_ne_u32_e32 vcc, s8, v1
                                        ; implicit-def: $vgpr1
	s_and_saveexec_b64 s[34:35], vcc
	s_xor_b64 s[34:35], exec, s[34:35]
	s_cbranch_execz .LBB6_1917
; %bb.1916:                             ;   in Loop: Header=BB6_357 Depth=4
	v_ffbh_u32_e32 v1, v33
	v_min_u32_e32 v29, 32, v1
	v_subrev_u32_e32 v1, 29, v29
	v_bfe_u32 v28, v18, 26, 5
	v_lshlrev_b64 v[0:1], v1, v[0:1]
	v_sub_u32_e32 v1, 30, v29
	v_cmp_eq_u32_e32 vcc, 0, v28
	v_and_b32_e32 v0, 3, v0
	v_cndmask_b32_e32 v1, v28, v1, vcc
	v_and_b32_e32 v28, 0x80000000, v18
	v_cndmask_b32_e32 v0, v33, v0, vcc
	v_lshl_add_u32 v1, v1, 23, v28
	v_lshl_or_b32 v0, v0, 21, v1
	v_add_u32_e32 v1, 0x38000000, v0
                                        ; implicit-def: $vgpr33
.LBB6_1917:                             ;   in Loop: Header=BB6_357 Depth=4
	s_andn2_saveexec_b64 s[34:35], s[34:35]
; %bb.1918:                             ;   in Loop: Header=BB6_357 Depth=4
	v_cmp_lt_i32_e32 vcc, -1, v18
	v_mov_b32_e32 v0, 0xff800000
	v_mov_b32_e32 v1, 0x7f800000
	v_cndmask_b32_e32 v0, v0, v1, vcc
	v_cmp_eq_u32_e32 vcc, 0, v33
	v_mov_b32_e32 v1, 0x7f800001
	v_cndmask_b32_e32 v1, v1, v0, vcc
; %bb.1919:                             ;   in Loop: Header=BB6_357 Depth=4
	s_or_b64 exec, exec, s[34:35]
.LBB6_1920:                             ;   in Loop: Header=BB6_357 Depth=4
	s_or_b64 exec, exec, s[30:31]
.LBB6_1921:                             ;   in Loop: Header=BB6_357 Depth=4
	s_or_b64 exec, exec, s[28:29]
	v_mul_f32_e32 v0, v2, v1
	v_and_b32_e32 v1, 0x7f800000, v0
	v_mov_b32_e32 v2, v34
	v_cmp_ne_u64_e32 vcc, s[76:77], v[1:2]
	v_and_b32_e32 v33, 0x7fffff, v0
                                        ; implicit-def: $vgpr42
	s_and_saveexec_b64 s[28:29], vcc
	s_xor_b64 s[30:31], exec, s[28:29]
	s_cbranch_execz .LBB6_1935
; %bb.1922:                             ;   in Loop: Header=BB6_357 Depth=4
	v_and_b32_e32 v1, 0x7fffffff, v0
	v_mov_b32_e32 v2, v34
	v_cmp_gt_u64_e32 vcc, s[78:79], v[1:2]
	v_and_b32_sdwa v36, v0, s44 dst_sel:DWORD dst_unused:UNUSED_PAD src0_sel:BYTE_3 src1_sel:DWORD
                                        ; implicit-def: $vgpr42
	s_and_saveexec_b64 s[28:29], vcc
	s_xor_b64 s[34:35], exec, s[28:29]
	s_cbranch_execz .LBB6_1932
; %bb.1923:                             ;   in Loop: Header=BB6_357 Depth=4
	v_mov_b32_e32 v42, 0
	v_cmp_ne_u32_e32 vcc, 0, v0
	s_and_saveexec_b64 s[36:37], vcc
	s_cbranch_execz .LBB6_1931
; %bb.1924:                             ;   in Loop: Header=BB6_357 Depth=4
	v_bfe_u32 v37, v0, 23, 8
	v_cmp_gt_u32_e64 s[28:29], s45, v37
	v_sub_u32_e32 v0, 0x71, v37
	v_cmp_eq_u32_e32 vcc, 0, v37
	v_cndmask_b32_e64 v0, 0, v0, s[28:29]
	v_mov_b32_e32 v2, 0x70
	v_cndmask_b32_e32 v38, v0, v2, vcc
	v_add_u32_e32 v2, 21, v38
	v_or_b32_e32 v1, 0x800000, v33
	v_lshlrev_b64 v[48:49], v2, -1
	v_cndmask_b32_e32 v0, v1, v33, vcc
	v_mov_b32_e32 v1, v34
	v_add_u32_e32 v2, 20, v38
	v_bfi_b32 v48, v48, 0, v0
	v_lshlrev_b64 v[50:51], v2, 1
	v_lshrrev_b64 v[0:1], v38, v[0:1]
	v_bfi_b32 v49, v49, 0, 0
	v_cmp_eq_u64_e64 s[28:29], v[48:49], v[50:51]
	v_mov_b32_e32 v2, v1
	v_mov_b32_e32 v1, v0
	s_and_saveexec_b64 s[38:39], s[28:29]
; %bb.1925:                             ;   in Loop: Header=BB6_357 Depth=4
	v_bfe_u32 v1, v0, 21, 1
	v_add_co_u32_e64 v1, s[28:29], v0, v1
	v_add_co_u32_e64 v1, s[28:29], -1, v1
; %bb.1926:                             ;   in Loop: Header=BB6_357 Depth=4
	s_or_b64 exec, exec, s[38:39]
	v_add_u32_e32 v2, 0xffffff81, v37
	v_mov_b32_e32 v28, 0xffffff82
	v_cndmask_b32_e32 v2, v2, v28, vcc
	v_lshrrev_b32_e32 v28, 23, v0
	v_add3_u32 v38, v38, v2, v28
	v_add_u32_e32 v37, 14, v38
	v_and_b32_e32 v1, 0x1fffff, v1
	v_add_u32_e32 v33, v1, v0
	v_cmp_ne_u32_e32 vcc, 0, v37
                                        ; implicit-def: $vgpr0_vgpr1
                                        ; implicit-def: $vgpr2
	s_and_saveexec_b64 s[28:29], vcc
	s_xor_b64 s[28:29], exec, s[28:29]
; %bb.1927:                             ;   in Loop: Header=BB6_357 Depth=4
	v_cmp_lt_u64_e32 vcc, s[88:89], v[33:34]
	v_add_u32_e32 v0, 15, v38
	v_cndmask_b32_e32 v2, v37, v0, vcc
	v_cndmask_b32_e64 v0, 0, 1, vcc
	v_lshrrev_b64 v[0:1], v0, v[33:34]
; %bb.1928:                             ;   in Loop: Header=BB6_357 Depth=4
	s_andn2_saveexec_b64 s[28:29], s[28:29]
; %bb.1929:                             ;   in Loop: Header=BB6_357 Depth=4
	v_mov_b32_e32 v0, v33
	v_mov_b32_e32 v1, v34
	v_bfe_u32 v2, v33, 23, 1
; %bb.1930:                             ;   in Loop: Header=BB6_357 Depth=4
	s_or_b64 exec, exec, s[28:29]
	v_lshrrev_b64 v[0:1], 21, v[0:1]
	v_cmp_gt_i32_e32 vcc, 32, v2
	v_cndmask_b32_e32 v1, 0, v1, vcc
	v_cndmask_b32_e32 v0, 3, v0, vcc
	v_cmp_eq_u64_e64 s[28:29], 0, v[0:1]
	v_min_i32_e32 v1, 31, v2
	v_lshlrev_b32_e32 v1, 2, v1
	v_cmp_eq_u32_e32 vcc, 0, v2
	v_and_b32_e32 v1, 0xfc, v1
	v_and_or_b32 v0, v0, 3, v1
	s_and_b64 s[28:29], vcc, s[28:29]
	v_cndmask_b32_e64 v0, v0, 0, s[28:29]
	v_or_b32_e32 v42, v0, v36
.LBB6_1931:                             ;   in Loop: Header=BB6_357 Depth=4
	s_or_b64 exec, exec, s[36:37]
                                        ; implicit-def: $vgpr36
.LBB6_1932:                             ;   in Loop: Header=BB6_357 Depth=4
	s_andn2_saveexec_b64 s[28:29], s[34:35]
; %bb.1933:                             ;   in Loop: Header=BB6_357 Depth=4
	v_or_b32_e32 v42, 0x7b, v36
; %bb.1934:                             ;   in Loop: Header=BB6_357 Depth=4
	s_or_b64 exec, exec, s[28:29]
                                        ; implicit-def: $vgpr0
.LBB6_1935:                             ;   in Loop: Header=BB6_357 Depth=4
	s_andn2_saveexec_b64 s[28:29], s[30:31]
	s_cbranch_execz .LBB6_1941
; %bb.1936:                             ;   in Loop: Header=BB6_357 Depth=4
	v_cmp_ne_u64_e32 vcc, 0, v[33:34]
                                        ; implicit-def: $vgpr42
	s_and_saveexec_b64 s[30:31], vcc
	s_xor_b64 vcc, exec, s[30:31]
; %bb.1937:                             ;   in Loop: Header=BB6_357 Depth=4
	v_or_b32_sdwa v42, v0, s83 dst_sel:DWORD dst_unused:UNUSED_PAD src0_sel:BYTE_3 src1_sel:DWORD
                                        ; implicit-def: $vgpr0
; %bb.1938:                             ;   in Loop: Header=BB6_357 Depth=4
	s_andn2_saveexec_b64 s[30:31], vcc
; %bb.1939:                             ;   in Loop: Header=BB6_357 Depth=4
	v_cmp_lt_i32_e32 vcc, -1, v0
	v_bfrev_b32_e32 v0, 0.5
	v_mov_b32_e32 v1, 0x7c
	v_cndmask_b32_e32 v42, v0, v1, vcc
; %bb.1940:                             ;   in Loop: Header=BB6_357 Depth=4
	s_or_b64 exec, exec, s[30:31]
.LBB6_1941:                             ;   in Loop: Header=BB6_357 Depth=4
	s_or_b64 exec, exec, s[28:29]
	v_mov_b32_e32 v33, v23
	v_cmp_ne_u16_sdwa vcc, v23, v34 src0_sel:BYTE_0 src1_sel:DWORD
	v_mov_b32_e32 v1, 0
	v_mov_b32_e32 v0, 0
	s_and_saveexec_b64 s[28:29], vcc
	s_cbranch_execz .LBB6_1949
; %bb.1942:                             ;   in Loop: Header=BB6_357 Depth=4
	v_cmp_ne_u16_sdwa vcc, v23, s44 src0_sel:BYTE_0 src1_sel:DWORD
	v_bfrev_b32_e32 v0, 1
	s_and_saveexec_b64 s[30:31], vcc
	s_cbranch_execz .LBB6_1948
; %bb.1943:                             ;   in Loop: Header=BB6_357 Depth=4
	v_and_b32_e32 v0, 0x7c, v23
	v_and_b32_e32 v2, 3, v23
	v_cmp_ne_u32_e32 vcc, s81, v0
                                        ; implicit-def: $vgpr0
	s_and_saveexec_b64 s[34:35], vcc
	s_xor_b64 s[34:35], exec, s[34:35]
	s_cbranch_execz .LBB6_1945
; %bb.1944:                             ;   in Loop: Header=BB6_357 Depth=4
	v_ffbh_u32_e32 v28, v2
	v_min_u32_e32 v28, 32, v28
	v_bfe_u32 v0, v23, 2, 5
	v_subrev_u32_e32 v29, 29, v28
	v_lshlrev_b64 v[36:37], v29, v[33:34]
	v_sub_u32_e32 v28, 30, v28
	v_cmp_eq_u32_e32 vcc, 0, v0
	v_cndmask_b32_e32 v0, v0, v28, vcc
	v_lshlrev_b32_e32 v28, 24, v23
	v_and_b32_e32 v29, 3, v36
	v_and_b32_e32 v28, 0x80000000, v28
	v_cndmask_b32_e32 v2, v2, v29, vcc
	v_lshl_add_u32 v0, v0, 23, v28
	v_lshl_or_b32 v0, v2, 21, v0
	v_add_u32_e32 v0, 0x38000000, v0
                                        ; implicit-def: $vgpr2
.LBB6_1945:                             ;   in Loop: Header=BB6_357 Depth=4
	s_andn2_saveexec_b64 s[34:35], s[34:35]
; %bb.1946:                             ;   in Loop: Header=BB6_357 Depth=4
	v_mov_b32_e32 v0, -1
	v_cmp_gt_i16_sdwa vcc, sext(v23), v0 src0_sel:BYTE_0 src1_sel:DWORD
	v_mov_b32_e32 v0, 0xff800000
	v_mov_b32_e32 v28, 0x7f800000
	v_cndmask_b32_e32 v0, v0, v28, vcc
	v_cmp_eq_u32_e32 vcc, 0, v2
	v_mov_b32_e32 v2, 0x7f800001
	v_cndmask_b32_e32 v0, v2, v0, vcc
; %bb.1947:                             ;   in Loop: Header=BB6_357 Depth=4
	s_or_b64 exec, exec, s[34:35]
.LBB6_1948:                             ;   in Loop: Header=BB6_357 Depth=4
	s_or_b64 exec, exec, s[30:31]
.LBB6_1949:                             ;   in Loop: Header=BB6_357 Depth=4
	s_or_b64 exec, exec, s[28:29]
	v_cmp_ne_u16_sdwa vcc, v19, v34 src0_sel:BYTE_0 src1_sel:DWORD
	s_and_saveexec_b64 s[28:29], vcc
	s_cbranch_execz .LBB6_1957
; %bb.1950:                             ;   in Loop: Header=BB6_357 Depth=4
	v_cmp_ne_u16_sdwa vcc, v19, s44 src0_sel:BYTE_0 src1_sel:DWORD
	v_bfrev_b32_e32 v1, 1
	s_and_saveexec_b64 s[30:31], vcc
	s_cbranch_execz .LBB6_1956
; %bb.1951:                             ;   in Loop: Header=BB6_357 Depth=4
	v_and_b32_e32 v1, 0x7c, v19
	v_and_b32_e32 v2, 3, v19
	v_cmp_ne_u32_e32 vcc, s81, v1
                                        ; implicit-def: $vgpr1
	s_and_saveexec_b64 s[34:35], vcc
	s_xor_b64 s[34:35], exec, s[34:35]
	s_cbranch_execz .LBB6_1953
; %bb.1952:                             ;   in Loop: Header=BB6_357 Depth=4
	v_ffbh_u32_e32 v28, v2
	v_min_u32_e32 v28, 32, v28
	v_mov_b32_e32 v36, v19
	v_mov_b32_e32 v37, v34
	v_bfe_u32 v1, v19, 2, 5
	v_subrev_u32_e32 v29, 29, v28
	v_lshlrev_b64 v[36:37], v29, v[36:37]
	v_sub_u32_e32 v28, 30, v28
	v_cmp_eq_u32_e32 vcc, 0, v1
	v_cndmask_b32_e32 v1, v1, v28, vcc
	v_lshlrev_b32_e32 v28, 24, v19
	v_and_b32_e32 v29, 3, v36
	v_and_b32_e32 v28, 0x80000000, v28
	v_cndmask_b32_e32 v2, v2, v29, vcc
	v_lshl_add_u32 v1, v1, 23, v28
	v_lshl_or_b32 v1, v2, 21, v1
	v_add_u32_e32 v1, 0x38000000, v1
                                        ; implicit-def: $vgpr2
.LBB6_1953:                             ;   in Loop: Header=BB6_357 Depth=4
	s_andn2_saveexec_b64 s[34:35], s[34:35]
; %bb.1954:                             ;   in Loop: Header=BB6_357 Depth=4
	v_mov_b32_e32 v1, -1
	v_cmp_gt_i16_sdwa vcc, sext(v19), v1 src0_sel:BYTE_0 src1_sel:DWORD
	v_mov_b32_e32 v1, 0xff800000
	v_mov_b32_e32 v28, 0x7f800000
	v_cndmask_b32_e32 v1, v1, v28, vcc
	v_cmp_eq_u32_e32 vcc, 0, v2
	v_mov_b32_e32 v2, 0x7f800001
	v_cndmask_b32_e32 v1, v2, v1, vcc
; %bb.1955:                             ;   in Loop: Header=BB6_357 Depth=4
	s_or_b64 exec, exec, s[34:35]
.LBB6_1956:                             ;   in Loop: Header=BB6_357 Depth=4
	s_or_b64 exec, exec, s[30:31]
.LBB6_1957:                             ;   in Loop: Header=BB6_357 Depth=4
	s_or_b64 exec, exec, s[28:29]
	v_mul_f32_e32 v2, v0, v1
	v_and_b32_e32 v36, 0x7f800000, v2
	v_mov_b32_e32 v37, v34
	v_cmp_ne_u64_e32 vcc, s[76:77], v[36:37]
	v_and_b32_e32 v0, 0x7fffff, v2
	v_mov_b32_e32 v1, v34
                                        ; implicit-def: $vgpr43
	s_and_saveexec_b64 s[28:29], vcc
	s_xor_b64 s[30:31], exec, s[28:29]
	s_cbranch_execz .LBB6_1971
; %bb.1958:                             ;   in Loop: Header=BB6_357 Depth=4
	v_and_b32_e32 v36, 0x7fffffff, v2
	v_mov_b32_e32 v37, v34
	v_cmp_gt_u64_e32 vcc, s[78:79], v[36:37]
	v_and_b32_sdwa v36, v2, s44 dst_sel:DWORD dst_unused:UNUSED_PAD src0_sel:BYTE_3 src1_sel:DWORD
                                        ; implicit-def: $vgpr43
	s_and_saveexec_b64 s[28:29], vcc
	s_xor_b64 s[34:35], exec, s[28:29]
	s_cbranch_execz .LBB6_1968
; %bb.1959:                             ;   in Loop: Header=BB6_357 Depth=4
	v_mov_b32_e32 v43, 0
	v_cmp_ne_u32_e32 vcc, 0, v2
	s_and_saveexec_b64 s[36:37], vcc
	s_cbranch_execz .LBB6_1967
; %bb.1960:                             ;   in Loop: Header=BB6_357 Depth=4
	v_bfe_u32 v37, v2, 23, 8
	v_cmp_gt_u32_e64 s[28:29], s45, v37
	v_sub_u32_e32 v2, 0x71, v37
	v_cmp_eq_u32_e32 vcc, 0, v37
	v_cndmask_b32_e64 v2, 0, v2, s[28:29]
	v_mov_b32_e32 v29, 0x70
	v_cndmask_b32_e32 v38, v2, v29, vcc
	v_add_u32_e32 v2, 21, v38
	v_or_b32_e32 v28, 0x800000, v0
	v_lshlrev_b64 v[48:49], v2, -1
	v_cndmask_b32_e32 v0, v28, v0, vcc
	v_add_u32_e32 v2, 20, v38
	v_bfi_b32 v48, v48, 0, v0
	v_lshlrev_b64 v[50:51], v2, 1
	v_lshrrev_b64 v[0:1], v38, v[0:1]
	v_bfi_b32 v49, v49, 0, 0
	v_cmp_eq_u64_e64 s[28:29], v[48:49], v[50:51]
	v_mov_b32_e32 v2, v1
	v_mov_b32_e32 v1, v0
	s_and_saveexec_b64 s[38:39], s[28:29]
; %bb.1961:                             ;   in Loop: Header=BB6_357 Depth=4
	v_bfe_u32 v1, v0, 21, 1
	v_add_co_u32_e64 v1, s[28:29], v0, v1
	v_add_co_u32_e64 v1, s[28:29], -1, v1
; %bb.1962:                             ;   in Loop: Header=BB6_357 Depth=4
	s_or_b64 exec, exec, s[38:39]
	v_add_u32_e32 v2, 0xffffff81, v37
	v_mov_b32_e32 v28, 0xffffff82
	v_cndmask_b32_e32 v2, v2, v28, vcc
	v_lshrrev_b32_e32 v28, 23, v0
	v_add3_u32 v38, v38, v2, v28
	v_add_u32_e32 v37, 14, v38
	v_and_b32_e32 v1, 0x1fffff, v1
	v_add_u32_e32 v0, v1, v0
	v_mov_b32_e32 v1, v34
	v_cmp_ne_u32_e32 vcc, 0, v37
                                        ; implicit-def: $vgpr2
	s_and_saveexec_b64 s[28:29], vcc
	s_xor_b64 s[28:29], exec, s[28:29]
; %bb.1963:                             ;   in Loop: Header=BB6_357 Depth=4
	v_cmp_lt_u64_e32 vcc, s[88:89], v[0:1]
	v_add_u32_e32 v2, 15, v38
	v_cndmask_b32_e64 v28, 0, 1, vcc
	v_lshrrev_b64 v[0:1], v28, v[0:1]
	v_cndmask_b32_e32 v2, v37, v2, vcc
; %bb.1964:                             ;   in Loop: Header=BB6_357 Depth=4
	s_andn2_saveexec_b64 s[28:29], s[28:29]
; %bb.1965:                             ;   in Loop: Header=BB6_357 Depth=4
	v_bfe_u32 v2, v0, 23, 1
; %bb.1966:                             ;   in Loop: Header=BB6_357 Depth=4
	s_or_b64 exec, exec, s[28:29]
	v_lshrrev_b64 v[0:1], 21, v[0:1]
	v_cmp_gt_i32_e32 vcc, 32, v2
	v_cndmask_b32_e32 v1, 0, v1, vcc
	v_cndmask_b32_e32 v0, 3, v0, vcc
	v_cmp_eq_u64_e64 s[28:29], 0, v[0:1]
	v_min_i32_e32 v1, 31, v2
	v_lshlrev_b32_e32 v1, 2, v1
	v_cmp_eq_u32_e32 vcc, 0, v2
	v_and_b32_e32 v1, 0xfc, v1
	v_and_or_b32 v0, v0, 3, v1
	s_and_b64 s[28:29], vcc, s[28:29]
	v_cndmask_b32_e64 v0, v0, 0, s[28:29]
	v_or_b32_e32 v43, v0, v36
.LBB6_1967:                             ;   in Loop: Header=BB6_357 Depth=4
	s_or_b64 exec, exec, s[36:37]
                                        ; implicit-def: $vgpr36
.LBB6_1968:                             ;   in Loop: Header=BB6_357 Depth=4
	s_andn2_saveexec_b64 s[28:29], s[34:35]
; %bb.1969:                             ;   in Loop: Header=BB6_357 Depth=4
	v_or_b32_e32 v43, 0x7b, v36
; %bb.1970:                             ;   in Loop: Header=BB6_357 Depth=4
	s_or_b64 exec, exec, s[28:29]
                                        ; implicit-def: $vgpr2
                                        ; implicit-def: $vgpr0_vgpr1
.LBB6_1971:                             ;   in Loop: Header=BB6_357 Depth=4
	s_andn2_saveexec_b64 s[28:29], s[30:31]
	s_cbranch_execz .LBB6_1977
; %bb.1972:                             ;   in Loop: Header=BB6_357 Depth=4
	v_cmp_ne_u64_e32 vcc, 0, v[0:1]
                                        ; implicit-def: $vgpr43
	s_and_saveexec_b64 s[30:31], vcc
	s_xor_b64 vcc, exec, s[30:31]
; %bb.1973:                             ;   in Loop: Header=BB6_357 Depth=4
	v_or_b32_sdwa v43, v2, s83 dst_sel:DWORD dst_unused:UNUSED_PAD src0_sel:BYTE_3 src1_sel:DWORD
                                        ; implicit-def: $vgpr2
; %bb.1974:                             ;   in Loop: Header=BB6_357 Depth=4
	s_andn2_saveexec_b64 s[30:31], vcc
; %bb.1975:                             ;   in Loop: Header=BB6_357 Depth=4
	v_cmp_lt_i32_e32 vcc, -1, v2
	v_bfrev_b32_e32 v0, 0.5
	v_mov_b32_e32 v1, 0x7c
	v_cndmask_b32_e32 v43, v0, v1, vcc
; %bb.1976:                             ;   in Loop: Header=BB6_357 Depth=4
	s_or_b64 exec, exec, s[30:31]
.LBB6_1977:                             ;   in Loop: Header=BB6_357 Depth=4
	s_or_b64 exec, exec, s[28:29]
	v_lshrrev_b16_e32 v0, 8, v33
	v_cmp_ne_u16_e32 vcc, 0, v0
	v_mov_b32_e32 v2, 0
	v_mov_b32_e32 v36, 0
	s_and_saveexec_b64 s[28:29], vcc
	s_cbranch_execz .LBB6_1985
; %bb.1978:                             ;   in Loop: Header=BB6_357 Depth=4
	v_cmp_ne_u16_e32 vcc, s44, v0
	v_bfrev_b32_e32 v36, 1
	s_and_saveexec_b64 s[30:31], vcc
	s_cbranch_execz .LBB6_1984
; %bb.1979:                             ;   in Loop: Header=BB6_357 Depth=4
	v_and_b32_e32 v1, 0x7c, v0
	v_and_b32_e32 v37, 3, v0
	v_cmp_ne_u32_e32 vcc, s81, v1
                                        ; implicit-def: $vgpr36
	s_and_saveexec_b64 s[34:35], vcc
	s_xor_b64 s[34:35], exec, s[34:35]
	s_cbranch_execz .LBB6_1981
; %bb.1980:                             ;   in Loop: Header=BB6_357 Depth=4
	v_ffbh_u32_e32 v29, v37
	v_min_u32_e32 v29, 32, v29
	v_mov_b32_e32 v1, v34
	v_subrev_u32_e32 v32, 29, v29
	v_bfe_u32 v28, v0, 2, 5
	v_lshlrev_b64 v[0:1], v32, v[0:1]
	v_sub_u32_e32 v1, 30, v29
	v_cmp_eq_u32_e32 vcc, 0, v28
	v_cndmask_b32_e32 v1, v28, v1, vcc
	v_lshlrev_b32_e32 v28, 16, v33
	v_and_b32_e32 v0, 3, v0
	v_and_b32_e32 v28, 0x80000000, v28
	v_cndmask_b32_e32 v0, v37, v0, vcc
	v_lshl_add_u32 v1, v1, 23, v28
	v_lshl_or_b32 v0, v0, 21, v1
	v_add_u32_e32 v36, 0x38000000, v0
                                        ; implicit-def: $vgpr37
.LBB6_1981:                             ;   in Loop: Header=BB6_357 Depth=4
	s_andn2_saveexec_b64 s[34:35], s[34:35]
; %bb.1982:                             ;   in Loop: Header=BB6_357 Depth=4
	v_cmp_lt_i16_e32 vcc, -1, v33
	v_mov_b32_e32 v0, 0xff800000
	v_mov_b32_e32 v1, 0x7f800000
	v_cndmask_b32_e32 v0, v0, v1, vcc
	v_cmp_eq_u32_e32 vcc, 0, v37
	v_mov_b32_e32 v1, 0x7f800001
	v_cndmask_b32_e32 v36, v1, v0, vcc
; %bb.1983:                             ;   in Loop: Header=BB6_357 Depth=4
	s_or_b64 exec, exec, s[34:35]
.LBB6_1984:                             ;   in Loop: Header=BB6_357 Depth=4
	s_or_b64 exec, exec, s[30:31]
.LBB6_1985:                             ;   in Loop: Header=BB6_357 Depth=4
	s_or_b64 exec, exec, s[28:29]
	v_lshrrev_b16_e32 v0, 8, v19
	v_cmp_ne_u16_e32 vcc, 0, v0
	s_and_saveexec_b64 s[28:29], vcc
	s_cbranch_execz .LBB6_1993
; %bb.1986:                             ;   in Loop: Header=BB6_357 Depth=4
	v_cmp_ne_u16_e32 vcc, s44, v0
	v_bfrev_b32_e32 v2, 1
	s_and_saveexec_b64 s[30:31], vcc
	s_cbranch_execz .LBB6_1992
; %bb.1987:                             ;   in Loop: Header=BB6_357 Depth=4
	v_and_b32_e32 v1, 0x7c, v0
	v_and_b32_e32 v33, 3, v0
	v_cmp_ne_u32_e32 vcc, s81, v1
                                        ; implicit-def: $vgpr2
	s_and_saveexec_b64 s[34:35], vcc
	s_xor_b64 s[34:35], exec, s[34:35]
	s_cbranch_execz .LBB6_1989
; %bb.1988:                             ;   in Loop: Header=BB6_357 Depth=4
	v_ffbh_u32_e32 v28, v33
	v_min_u32_e32 v28, 32, v28
	v_mov_b32_e32 v1, v34
	v_subrev_u32_e32 v29, 29, v28
	v_bfe_u32 v2, v0, 2, 5
	v_lshlrev_b64 v[0:1], v29, v[0:1]
	v_sub_u32_e32 v1, 30, v28
	v_cmp_eq_u32_e32 vcc, 0, v2
	v_cndmask_b32_e32 v1, v2, v1, vcc
	v_lshlrev_b32_e32 v2, 16, v19
	v_and_b32_e32 v0, 3, v0
	v_and_b32_e32 v2, 0x80000000, v2
	v_cndmask_b32_e32 v0, v33, v0, vcc
	v_lshl_add_u32 v1, v1, 23, v2
	v_lshl_or_b32 v0, v0, 21, v1
	v_add_u32_e32 v2, 0x38000000, v0
                                        ; implicit-def: $vgpr33
.LBB6_1989:                             ;   in Loop: Header=BB6_357 Depth=4
	s_andn2_saveexec_b64 s[34:35], s[34:35]
; %bb.1990:                             ;   in Loop: Header=BB6_357 Depth=4
	v_cmp_lt_i16_e32 vcc, -1, v19
	v_mov_b32_e32 v0, 0xff800000
	v_mov_b32_e32 v1, 0x7f800000
	v_cndmask_b32_e32 v0, v0, v1, vcc
	v_cmp_eq_u32_e32 vcc, 0, v33
	v_mov_b32_e32 v1, 0x7f800001
	v_cndmask_b32_e32 v2, v1, v0, vcc
; %bb.1991:                             ;   in Loop: Header=BB6_357 Depth=4
	s_or_b64 exec, exec, s[34:35]
.LBB6_1992:                             ;   in Loop: Header=BB6_357 Depth=4
	s_or_b64 exec, exec, s[30:31]
.LBB6_1993:                             ;   in Loop: Header=BB6_357 Depth=4
	s_or_b64 exec, exec, s[28:29]
	v_mul_f32_e32 v0, v36, v2
	v_and_b32_e32 v1, 0x7f800000, v0
	v_mov_b32_e32 v2, v34
	v_cmp_ne_u64_e32 vcc, s[76:77], v[1:2]
	v_and_b32_e32 v33, 0x7fffff, v0
                                        ; implicit-def: $vgpr36
	s_and_saveexec_b64 s[28:29], vcc
	s_xor_b64 s[30:31], exec, s[28:29]
	s_cbranch_execz .LBB6_2007
; %bb.1994:                             ;   in Loop: Header=BB6_357 Depth=4
	v_and_b32_e32 v1, 0x7fffffff, v0
	v_mov_b32_e32 v2, v34
	v_cmp_gt_u64_e32 vcc, s[78:79], v[1:2]
	v_and_b32_sdwa v37, v0, s44 dst_sel:DWORD dst_unused:UNUSED_PAD src0_sel:BYTE_3 src1_sel:DWORD
                                        ; implicit-def: $vgpr36
	s_and_saveexec_b64 s[28:29], vcc
	s_xor_b64 s[34:35], exec, s[28:29]
	s_cbranch_execz .LBB6_2004
; %bb.1995:                             ;   in Loop: Header=BB6_357 Depth=4
	v_mov_b32_e32 v36, 0
	v_cmp_ne_u32_e32 vcc, 0, v0
	s_and_saveexec_b64 s[36:37], vcc
	s_cbranch_execz .LBB6_2003
; %bb.1996:                             ;   in Loop: Header=BB6_357 Depth=4
	v_bfe_u32 v36, v0, 23, 8
	v_cmp_gt_u32_e64 s[28:29], s45, v36
	v_sub_u32_e32 v0, 0x71, v36
	v_cmp_eq_u32_e32 vcc, 0, v36
	v_cndmask_b32_e64 v0, 0, v0, s[28:29]
	v_mov_b32_e32 v2, 0x70
	v_cndmask_b32_e32 v38, v0, v2, vcc
	v_add_u32_e32 v2, 21, v38
	v_or_b32_e32 v1, 0x800000, v33
	v_lshlrev_b64 v[48:49], v2, -1
	v_cndmask_b32_e32 v0, v1, v33, vcc
	v_mov_b32_e32 v1, v34
	v_add_u32_e32 v2, 20, v38
	v_bfi_b32 v48, v48, 0, v0
	v_lshlrev_b64 v[50:51], v2, 1
	v_lshrrev_b64 v[0:1], v38, v[0:1]
	v_bfi_b32 v49, v49, 0, 0
	v_cmp_eq_u64_e64 s[28:29], v[48:49], v[50:51]
	v_mov_b32_e32 v2, v1
	v_mov_b32_e32 v1, v0
	s_and_saveexec_b64 s[38:39], s[28:29]
; %bb.1997:                             ;   in Loop: Header=BB6_357 Depth=4
	v_bfe_u32 v1, v0, 21, 1
	v_add_co_u32_e64 v1, s[28:29], v0, v1
	v_add_co_u32_e64 v1, s[28:29], -1, v1
; %bb.1998:                             ;   in Loop: Header=BB6_357 Depth=4
	s_or_b64 exec, exec, s[38:39]
	v_add_u32_e32 v2, 0xffffff81, v36
	v_mov_b32_e32 v28, 0xffffff82
	v_cndmask_b32_e32 v2, v2, v28, vcc
	v_lshrrev_b32_e32 v28, 23, v0
	v_add3_u32 v38, v38, v2, v28
	v_add_u32_e32 v36, 14, v38
	v_and_b32_e32 v1, 0x1fffff, v1
	v_add_u32_e32 v33, v1, v0
	v_cmp_ne_u32_e32 vcc, 0, v36
                                        ; implicit-def: $vgpr0_vgpr1
                                        ; implicit-def: $vgpr2
	s_and_saveexec_b64 s[28:29], vcc
	s_xor_b64 s[28:29], exec, s[28:29]
; %bb.1999:                             ;   in Loop: Header=BB6_357 Depth=4
	v_cmp_lt_u64_e32 vcc, s[88:89], v[33:34]
	v_add_u32_e32 v0, 15, v38
	v_cndmask_b32_e32 v2, v36, v0, vcc
	v_cndmask_b32_e64 v0, 0, 1, vcc
	v_lshrrev_b64 v[0:1], v0, v[33:34]
; %bb.2000:                             ;   in Loop: Header=BB6_357 Depth=4
	s_andn2_saveexec_b64 s[28:29], s[28:29]
; %bb.2001:                             ;   in Loop: Header=BB6_357 Depth=4
	v_mov_b32_e32 v0, v33
	v_mov_b32_e32 v1, v34
	v_bfe_u32 v2, v33, 23, 1
; %bb.2002:                             ;   in Loop: Header=BB6_357 Depth=4
	s_or_b64 exec, exec, s[28:29]
	v_lshrrev_b64 v[0:1], 21, v[0:1]
	v_cmp_gt_i32_e32 vcc, 32, v2
	v_cndmask_b32_e32 v1, 0, v1, vcc
	v_cndmask_b32_e32 v0, 3, v0, vcc
	v_cmp_eq_u64_e64 s[28:29], 0, v[0:1]
	v_min_i32_e32 v1, 31, v2
	v_lshlrev_b32_e32 v1, 2, v1
	v_cmp_eq_u32_e32 vcc, 0, v2
	v_and_b32_e32 v1, 0xfc, v1
	v_and_or_b32 v0, v0, 3, v1
	s_and_b64 s[28:29], vcc, s[28:29]
	v_cndmask_b32_e64 v0, v0, 0, s[28:29]
	v_or_b32_e32 v36, v0, v37
.LBB6_2003:                             ;   in Loop: Header=BB6_357 Depth=4
	s_or_b64 exec, exec, s[36:37]
                                        ; implicit-def: $vgpr37
.LBB6_2004:                             ;   in Loop: Header=BB6_357 Depth=4
	s_andn2_saveexec_b64 s[28:29], s[34:35]
; %bb.2005:                             ;   in Loop: Header=BB6_357 Depth=4
	v_or_b32_e32 v36, 0x7b, v37
; %bb.2006:                             ;   in Loop: Header=BB6_357 Depth=4
	s_or_b64 exec, exec, s[28:29]
                                        ; implicit-def: $vgpr0
.LBB6_2007:                             ;   in Loop: Header=BB6_357 Depth=4
	s_andn2_saveexec_b64 s[28:29], s[30:31]
	s_cbranch_execz .LBB6_2013
; %bb.2008:                             ;   in Loop: Header=BB6_357 Depth=4
	v_cmp_ne_u64_e32 vcc, 0, v[33:34]
                                        ; implicit-def: $vgpr36
	s_and_saveexec_b64 s[30:31], vcc
	s_xor_b64 vcc, exec, s[30:31]
; %bb.2009:                             ;   in Loop: Header=BB6_357 Depth=4
	v_or_b32_sdwa v36, v0, s83 dst_sel:DWORD dst_unused:UNUSED_PAD src0_sel:BYTE_3 src1_sel:DWORD
                                        ; implicit-def: $vgpr0
; %bb.2010:                             ;   in Loop: Header=BB6_357 Depth=4
	s_andn2_saveexec_b64 s[30:31], vcc
; %bb.2011:                             ;   in Loop: Header=BB6_357 Depth=4
	v_cmp_lt_i32_e32 vcc, -1, v0
	v_bfrev_b32_e32 v0, 0.5
	v_mov_b32_e32 v1, 0x7c
	v_cndmask_b32_e32 v36, v0, v1, vcc
; %bb.2012:                             ;   in Loop: Header=BB6_357 Depth=4
	s_or_b64 exec, exec, s[30:31]
.LBB6_2013:                             ;   in Loop: Header=BB6_357 Depth=4
	s_or_b64 exec, exec, s[28:29]
	v_lshrrev_b32_e32 v0, 16, v23
	v_cmp_ne_u16_sdwa vcc, v0, v34 src0_sel:BYTE_0 src1_sel:DWORD
	v_mov_b32_e32 v1, 0
	v_mov_b32_e32 v2, 0
	s_and_saveexec_b64 s[28:29], vcc
	s_cbranch_execz .LBB6_2021
; %bb.2014:                             ;   in Loop: Header=BB6_357 Depth=4
	v_cmp_ne_u16_sdwa vcc, v0, s44 src0_sel:BYTE_0 src1_sel:DWORD
	v_bfrev_b32_e32 v2, 1
	s_and_saveexec_b64 s[30:31], vcc
	s_cbranch_execz .LBB6_2020
; %bb.2015:                             ;   in Loop: Header=BB6_357 Depth=4
	v_and_b32_e32 v2, 0x7c0000, v23
	v_bfe_u32 v33, v23, 16, 2
	v_cmp_ne_u32_e32 vcc, s9, v2
                                        ; implicit-def: $vgpr2
	s_and_saveexec_b64 s[34:35], vcc
	s_xor_b64 s[34:35], exec, s[34:35]
	s_cbranch_execz .LBB6_2017
; %bb.2016:                             ;   in Loop: Header=BB6_357 Depth=4
	v_ffbh_u32_e32 v28, v33
	v_min_u32_e32 v28, 32, v28
	v_subrev_u32_e32 v29, 29, v28
	v_lshlrev_b64 v[37:38], v29, v[0:1]
	v_bfe_u32 v2, v23, 18, 5
	v_sub_u32_e32 v0, 30, v28
	v_and_b32_e32 v28, 3, v37
	v_cmp_eq_u32_e32 vcc, 0, v2
	v_cndmask_b32_e32 v0, v2, v0, vcc
	v_cndmask_b32_e32 v2, v33, v28, vcc
	v_lshlrev_b32_e32 v28, 8, v23
	v_and_b32_e32 v28, 0x80000000, v28
	v_lshl_add_u32 v0, v0, 23, v28
	v_lshl_or_b32 v0, v2, 21, v0
	v_add_u32_e32 v2, 0x38000000, v0
                                        ; implicit-def: $vgpr33
                                        ; implicit-def: $vgpr0
.LBB6_2017:                             ;   in Loop: Header=BB6_357 Depth=4
	s_andn2_saveexec_b64 s[34:35], s[34:35]
; %bb.2018:                             ;   in Loop: Header=BB6_357 Depth=4
	v_mov_b32_e32 v2, -1
	v_cmp_gt_i16_sdwa vcc, sext(v0), v2 src0_sel:BYTE_0 src1_sel:DWORD
	v_mov_b32_e32 v0, 0xff800000
	v_mov_b32_e32 v2, 0x7f800000
	v_cndmask_b32_e32 v0, v0, v2, vcc
	v_cmp_eq_u32_e32 vcc, 0, v33
	v_mov_b32_e32 v2, 0x7f800001
	v_cndmask_b32_e32 v2, v2, v0, vcc
; %bb.2019:                             ;   in Loop: Header=BB6_357 Depth=4
	s_or_b64 exec, exec, s[34:35]
.LBB6_2020:                             ;   in Loop: Header=BB6_357 Depth=4
	s_or_b64 exec, exec, s[30:31]
.LBB6_2021:                             ;   in Loop: Header=BB6_357 Depth=4
	s_or_b64 exec, exec, s[28:29]
	v_lshrrev_b32_e32 v0, 16, v19
	v_cmp_ne_u16_sdwa vcc, v0, v34 src0_sel:BYTE_0 src1_sel:DWORD
	s_and_saveexec_b64 s[28:29], vcc
	s_cbranch_execz .LBB6_2029
; %bb.2022:                             ;   in Loop: Header=BB6_357 Depth=4
	v_cmp_ne_u16_sdwa vcc, v0, s44 src0_sel:BYTE_0 src1_sel:DWORD
	v_bfrev_b32_e32 v1, 1
	s_and_saveexec_b64 s[30:31], vcc
	s_cbranch_execz .LBB6_2028
; %bb.2023:                             ;   in Loop: Header=BB6_357 Depth=4
	v_and_b32_e32 v1, 0x7c0000, v19
	v_bfe_u32 v33, v19, 16, 2
	v_cmp_ne_u32_e32 vcc, s9, v1
                                        ; implicit-def: $vgpr1
	s_and_saveexec_b64 s[34:35], vcc
	s_xor_b64 s[34:35], exec, s[34:35]
	s_cbranch_execz .LBB6_2025
; %bb.2024:                             ;   in Loop: Header=BB6_357 Depth=4
	v_ffbh_u32_e32 v1, v33
	v_min_u32_e32 v29, 32, v1
	v_subrev_u32_e32 v1, 29, v29
	v_bfe_u32 v28, v19, 18, 5
	v_lshlrev_b64 v[0:1], v1, v[0:1]
	v_sub_u32_e32 v1, 30, v29
	v_cmp_eq_u32_e32 vcc, 0, v28
	v_cndmask_b32_e32 v1, v28, v1, vcc
	v_lshlrev_b32_e32 v28, 8, v19
	v_and_b32_e32 v0, 3, v0
	v_and_b32_e32 v28, 0x80000000, v28
	v_cndmask_b32_e32 v0, v33, v0, vcc
	v_lshl_add_u32 v1, v1, 23, v28
	v_lshl_or_b32 v0, v0, 21, v1
	v_add_u32_e32 v1, 0x38000000, v0
                                        ; implicit-def: $vgpr33
                                        ; implicit-def: $vgpr0
.LBB6_2025:                             ;   in Loop: Header=BB6_357 Depth=4
	s_andn2_saveexec_b64 s[34:35], s[34:35]
; %bb.2026:                             ;   in Loop: Header=BB6_357 Depth=4
	v_mov_b32_e32 v1, -1
	v_cmp_gt_i16_sdwa vcc, sext(v0), v1 src0_sel:BYTE_0 src1_sel:DWORD
	v_mov_b32_e32 v0, 0xff800000
	v_mov_b32_e32 v1, 0x7f800000
	v_cndmask_b32_e32 v0, v0, v1, vcc
	v_cmp_eq_u32_e32 vcc, 0, v33
	v_mov_b32_e32 v1, 0x7f800001
	v_cndmask_b32_e32 v1, v1, v0, vcc
; %bb.2027:                             ;   in Loop: Header=BB6_357 Depth=4
	s_or_b64 exec, exec, s[34:35]
.LBB6_2028:                             ;   in Loop: Header=BB6_357 Depth=4
	s_or_b64 exec, exec, s[30:31]
.LBB6_2029:                             ;   in Loop: Header=BB6_357 Depth=4
	s_or_b64 exec, exec, s[28:29]
	v_mul_f32_e32 v0, v2, v1
	v_and_b32_e32 v1, 0x7f800000, v0
	v_mov_b32_e32 v2, v34
	v_cmp_ne_u64_e32 vcc, s[76:77], v[1:2]
	v_and_b32_e32 v33, 0x7fffff, v0
                                        ; implicit-def: $vgpr37
	s_and_saveexec_b64 s[28:29], vcc
	s_xor_b64 s[30:31], exec, s[28:29]
	s_cbranch_execz .LBB6_2043
; %bb.2030:                             ;   in Loop: Header=BB6_357 Depth=4
	v_and_b32_e32 v1, 0x7fffffff, v0
	v_mov_b32_e32 v2, v34
	v_cmp_gt_u64_e32 vcc, s[78:79], v[1:2]
	v_and_b32_sdwa v38, v0, s44 dst_sel:DWORD dst_unused:UNUSED_PAD src0_sel:BYTE_3 src1_sel:DWORD
                                        ; implicit-def: $vgpr37
	s_and_saveexec_b64 s[28:29], vcc
	s_xor_b64 s[34:35], exec, s[28:29]
	s_cbranch_execz .LBB6_2040
; %bb.2031:                             ;   in Loop: Header=BB6_357 Depth=4
	v_mov_b32_e32 v37, 0
	v_cmp_ne_u32_e32 vcc, 0, v0
	s_and_saveexec_b64 s[36:37], vcc
	s_cbranch_execz .LBB6_2039
; %bb.2032:                             ;   in Loop: Header=BB6_357 Depth=4
	v_bfe_u32 v37, v0, 23, 8
	v_cmp_gt_u32_e64 s[28:29], s45, v37
	v_sub_u32_e32 v0, 0x71, v37
	v_cmp_eq_u32_e32 vcc, 0, v37
	v_cndmask_b32_e64 v0, 0, v0, s[28:29]
	v_mov_b32_e32 v2, 0x70
	v_cndmask_b32_e32 v39, v0, v2, vcc
	v_add_u32_e32 v2, 21, v39
	v_or_b32_e32 v1, 0x800000, v33
	v_lshlrev_b64 v[48:49], v2, -1
	v_cndmask_b32_e32 v0, v1, v33, vcc
	v_mov_b32_e32 v1, v34
	v_add_u32_e32 v2, 20, v39
	v_bfi_b32 v48, v48, 0, v0
	v_lshlrev_b64 v[50:51], v2, 1
	v_lshrrev_b64 v[0:1], v39, v[0:1]
	v_bfi_b32 v49, v49, 0, 0
	v_cmp_eq_u64_e64 s[28:29], v[48:49], v[50:51]
	v_mov_b32_e32 v2, v1
	v_mov_b32_e32 v1, v0
	s_and_saveexec_b64 s[38:39], s[28:29]
; %bb.2033:                             ;   in Loop: Header=BB6_357 Depth=4
	v_bfe_u32 v1, v0, 21, 1
	v_add_co_u32_e64 v1, s[28:29], v0, v1
	v_add_co_u32_e64 v1, s[28:29], -1, v1
; %bb.2034:                             ;   in Loop: Header=BB6_357 Depth=4
	s_or_b64 exec, exec, s[38:39]
	v_add_u32_e32 v2, 0xffffff81, v37
	v_mov_b32_e32 v28, 0xffffff82
	v_cndmask_b32_e32 v2, v2, v28, vcc
	v_lshrrev_b32_e32 v28, 23, v0
	v_add3_u32 v39, v39, v2, v28
	v_add_u32_e32 v37, 14, v39
	v_and_b32_e32 v1, 0x1fffff, v1
	v_add_u32_e32 v33, v1, v0
	v_cmp_ne_u32_e32 vcc, 0, v37
                                        ; implicit-def: $vgpr0_vgpr1
                                        ; implicit-def: $vgpr2
	s_and_saveexec_b64 s[28:29], vcc
	s_xor_b64 s[28:29], exec, s[28:29]
; %bb.2035:                             ;   in Loop: Header=BB6_357 Depth=4
	v_cmp_lt_u64_e32 vcc, s[88:89], v[33:34]
	v_add_u32_e32 v0, 15, v39
	v_cndmask_b32_e32 v2, v37, v0, vcc
	v_cndmask_b32_e64 v0, 0, 1, vcc
	v_lshrrev_b64 v[0:1], v0, v[33:34]
; %bb.2036:                             ;   in Loop: Header=BB6_357 Depth=4
	s_andn2_saveexec_b64 s[28:29], s[28:29]
; %bb.2037:                             ;   in Loop: Header=BB6_357 Depth=4
	v_mov_b32_e32 v0, v33
	v_mov_b32_e32 v1, v34
	v_bfe_u32 v2, v33, 23, 1
; %bb.2038:                             ;   in Loop: Header=BB6_357 Depth=4
	s_or_b64 exec, exec, s[28:29]
	v_lshrrev_b64 v[0:1], 21, v[0:1]
	v_cmp_gt_i32_e32 vcc, 32, v2
	v_cndmask_b32_e32 v1, 0, v1, vcc
	v_cndmask_b32_e32 v0, 3, v0, vcc
	v_cmp_eq_u64_e64 s[28:29], 0, v[0:1]
	v_min_i32_e32 v1, 31, v2
	v_lshlrev_b32_e32 v1, 2, v1
	v_cmp_eq_u32_e32 vcc, 0, v2
	v_and_b32_e32 v1, 0xfc, v1
	v_and_or_b32 v0, v0, 3, v1
	s_and_b64 s[28:29], vcc, s[28:29]
	v_cndmask_b32_e64 v0, v0, 0, s[28:29]
	v_or_b32_e32 v37, v0, v38
.LBB6_2039:                             ;   in Loop: Header=BB6_357 Depth=4
	s_or_b64 exec, exec, s[36:37]
                                        ; implicit-def: $vgpr38
.LBB6_2040:                             ;   in Loop: Header=BB6_357 Depth=4
	s_andn2_saveexec_b64 s[28:29], s[34:35]
; %bb.2041:                             ;   in Loop: Header=BB6_357 Depth=4
	v_or_b32_e32 v37, 0x7b, v38
; %bb.2042:                             ;   in Loop: Header=BB6_357 Depth=4
	s_or_b64 exec, exec, s[28:29]
                                        ; implicit-def: $vgpr0
.LBB6_2043:                             ;   in Loop: Header=BB6_357 Depth=4
	s_andn2_saveexec_b64 s[28:29], s[30:31]
	s_cbranch_execz .LBB6_2049
; %bb.2044:                             ;   in Loop: Header=BB6_357 Depth=4
	v_cmp_ne_u64_e32 vcc, 0, v[33:34]
                                        ; implicit-def: $vgpr37
	s_and_saveexec_b64 s[30:31], vcc
	s_xor_b64 vcc, exec, s[30:31]
; %bb.2045:                             ;   in Loop: Header=BB6_357 Depth=4
	v_or_b32_sdwa v37, v0, s83 dst_sel:DWORD dst_unused:UNUSED_PAD src0_sel:BYTE_3 src1_sel:DWORD
                                        ; implicit-def: $vgpr0
; %bb.2046:                             ;   in Loop: Header=BB6_357 Depth=4
	s_andn2_saveexec_b64 s[30:31], vcc
; %bb.2047:                             ;   in Loop: Header=BB6_357 Depth=4
	v_cmp_lt_i32_e32 vcc, -1, v0
	v_bfrev_b32_e32 v0, 0.5
	v_mov_b32_e32 v1, 0x7c
	v_cndmask_b32_e32 v37, v0, v1, vcc
; %bb.2048:                             ;   in Loop: Header=BB6_357 Depth=4
	s_or_b64 exec, exec, s[30:31]
.LBB6_2049:                             ;   in Loop: Header=BB6_357 Depth=4
	s_or_b64 exec, exec, s[28:29]
	v_cmp_lt_u64_e32 vcc, s[56:57], v[22:23]
	v_mov_b32_e32 v1, 0
	v_mov_b32_e32 v2, 0
	s_and_saveexec_b64 s[28:29], vcc
	s_cbranch_execz .LBB6_2057
; %bb.2050:                             ;   in Loop: Header=BB6_357 Depth=4
	v_lshrrev_b32_e32 v0, 24, v23
	v_cmp_ne_u32_e32 vcc, s44, v0
	v_bfrev_b32_e32 v2, 1
	s_and_saveexec_b64 s[30:31], vcc
	s_cbranch_execz .LBB6_2056
; %bb.2051:                             ;   in Loop: Header=BB6_357 Depth=4
	v_and_b32_e32 v2, 0x7c000000, v23
	v_bfe_u32 v33, v23, 24, 2
	v_cmp_ne_u32_e32 vcc, s8, v2
                                        ; implicit-def: $vgpr2
	s_and_saveexec_b64 s[34:35], vcc
	s_xor_b64 s[34:35], exec, s[34:35]
	s_cbranch_execz .LBB6_2053
; %bb.2052:                             ;   in Loop: Header=BB6_357 Depth=4
	v_ffbh_u32_e32 v22, v33
	v_min_u32_e32 v22, 32, v22
	v_subrev_u32_e32 v28, 29, v22
	v_lshlrev_b64 v[38:39], v28, v[0:1]
	v_bfe_u32 v2, v23, 26, 5
	v_sub_u32_e32 v0, 30, v22
	v_and_b32_e32 v22, 3, v38
	v_cmp_eq_u32_e32 vcc, 0, v2
	v_cndmask_b32_e32 v0, v2, v0, vcc
	v_cndmask_b32_e32 v2, v33, v22, vcc
	v_and_b32_e32 v22, 0x80000000, v23
	v_lshl_add_u32 v0, v0, 23, v22
	v_lshl_or_b32 v0, v2, 21, v0
	v_add_u32_e32 v2, 0x38000000, v0
                                        ; implicit-def: $vgpr33
                                        ; implicit-def: $vgpr22_vgpr23
.LBB6_2053:                             ;   in Loop: Header=BB6_357 Depth=4
	s_andn2_saveexec_b64 s[34:35], s[34:35]
; %bb.2054:                             ;   in Loop: Header=BB6_357 Depth=4
	v_cmp_lt_i64_e32 vcc, -1, v[22:23]
	v_mov_b32_e32 v0, 0xff800000
	v_mov_b32_e32 v2, 0x7f800000
	v_cndmask_b32_e32 v0, v0, v2, vcc
	v_cmp_eq_u32_e32 vcc, 0, v33
	v_mov_b32_e32 v2, 0x7f800001
	v_cndmask_b32_e32 v2, v2, v0, vcc
; %bb.2055:                             ;   in Loop: Header=BB6_357 Depth=4
	s_or_b64 exec, exec, s[34:35]
.LBB6_2056:                             ;   in Loop: Header=BB6_357 Depth=4
	s_or_b64 exec, exec, s[30:31]
.LBB6_2057:                             ;   in Loop: Header=BB6_357 Depth=4
	s_or_b64 exec, exec, s[28:29]
	v_cmp_lt_u64_e32 vcc, s[56:57], v[18:19]
	s_and_saveexec_b64 s[28:29], vcc
	s_cbranch_execz .LBB6_2065
; %bb.2058:                             ;   in Loop: Header=BB6_357 Depth=4
	v_lshrrev_b32_e32 v0, 24, v19
	v_cmp_ne_u32_e32 vcc, s44, v0
	v_bfrev_b32_e32 v1, 1
	s_and_saveexec_b64 s[30:31], vcc
	s_cbranch_execz .LBB6_2064
; %bb.2059:                             ;   in Loop: Header=BB6_357 Depth=4
	v_and_b32_e32 v1, 0x7c000000, v19
	v_bfe_u32 v22, v19, 24, 2
	v_cmp_ne_u32_e32 vcc, s8, v1
                                        ; implicit-def: $vgpr1
	s_and_saveexec_b64 s[34:35], vcc
	s_xor_b64 s[34:35], exec, s[34:35]
	s_cbranch_execz .LBB6_2061
; %bb.2060:                             ;   in Loop: Header=BB6_357 Depth=4
	v_ffbh_u32_e32 v1, v22
	v_min_u32_e32 v23, 32, v1
	v_subrev_u32_e32 v1, 29, v23
	v_bfe_u32 v18, v19, 26, 5
	v_lshlrev_b64 v[0:1], v1, v[0:1]
	v_sub_u32_e32 v1, 30, v23
	v_cmp_eq_u32_e32 vcc, 0, v18
	v_and_b32_e32 v0, 3, v0
	v_cndmask_b32_e32 v1, v18, v1, vcc
	v_and_b32_e32 v18, 0x80000000, v19
	v_cndmask_b32_e32 v0, v22, v0, vcc
	v_lshl_add_u32 v1, v1, 23, v18
	v_lshl_or_b32 v0, v0, 21, v1
	v_add_u32_e32 v1, 0x38000000, v0
                                        ; implicit-def: $vgpr22
                                        ; implicit-def: $vgpr18_vgpr19
.LBB6_2061:                             ;   in Loop: Header=BB6_357 Depth=4
	s_andn2_saveexec_b64 s[34:35], s[34:35]
; %bb.2062:                             ;   in Loop: Header=BB6_357 Depth=4
	v_cmp_lt_i64_e32 vcc, -1, v[18:19]
	v_mov_b32_e32 v0, 0xff800000
	v_mov_b32_e32 v1, 0x7f800000
	v_cndmask_b32_e32 v0, v0, v1, vcc
	v_cmp_eq_u32_e32 vcc, 0, v22
	v_mov_b32_e32 v1, 0x7f800001
	v_cndmask_b32_e32 v1, v1, v0, vcc
; %bb.2063:                             ;   in Loop: Header=BB6_357 Depth=4
	s_or_b64 exec, exec, s[34:35]
.LBB6_2064:                             ;   in Loop: Header=BB6_357 Depth=4
	s_or_b64 exec, exec, s[30:31]
.LBB6_2065:                             ;   in Loop: Header=BB6_357 Depth=4
	s_or_b64 exec, exec, s[28:29]
	v_mul_f32_e32 v0, v2, v1
	v_and_b32_e32 v1, 0x7f800000, v0
	v_mov_b32_e32 v2, v34
	v_cmp_ne_u64_e32 vcc, s[76:77], v[1:2]
	v_and_b32_e32 v33, 0x7fffff, v0
                                        ; implicit-def: $vgpr18
	s_and_saveexec_b64 s[28:29], vcc
	s_xor_b64 s[30:31], exec, s[28:29]
	s_cbranch_execz .LBB6_2079
; %bb.2066:                             ;   in Loop: Header=BB6_357 Depth=4
	v_and_b32_e32 v1, 0x7fffffff, v0
	v_mov_b32_e32 v2, v34
	v_cmp_gt_u64_e32 vcc, s[78:79], v[1:2]
	v_and_b32_sdwa v19, v0, s44 dst_sel:DWORD dst_unused:UNUSED_PAD src0_sel:BYTE_3 src1_sel:DWORD
                                        ; implicit-def: $vgpr18
	s_and_saveexec_b64 s[28:29], vcc
	s_xor_b64 s[34:35], exec, s[28:29]
	s_cbranch_execz .LBB6_2076
; %bb.2067:                             ;   in Loop: Header=BB6_357 Depth=4
	v_mov_b32_e32 v18, 0
	v_cmp_ne_u32_e32 vcc, 0, v0
	s_and_saveexec_b64 s[36:37], vcc
	s_cbranch_execz .LBB6_2075
; %bb.2068:                             ;   in Loop: Header=BB6_357 Depth=4
	v_bfe_u32 v18, v0, 23, 8
	v_cmp_gt_u32_e64 s[28:29], s45, v18
	v_sub_u32_e32 v0, 0x71, v18
	v_cmp_eq_u32_e32 vcc, 0, v18
	v_cndmask_b32_e64 v0, 0, v0, s[28:29]
	v_mov_b32_e32 v2, 0x70
	v_cndmask_b32_e32 v22, v0, v2, vcc
	v_add_u32_e32 v2, 21, v22
	v_or_b32_e32 v1, 0x800000, v33
	v_lshlrev_b64 v[38:39], v2, -1
	v_cndmask_b32_e32 v0, v1, v33, vcc
	v_mov_b32_e32 v1, v34
	v_add_u32_e32 v2, 20, v22
	v_bfi_b32 v38, v38, 0, v0
	v_lshlrev_b64 v[48:49], v2, 1
	v_lshrrev_b64 v[0:1], v22, v[0:1]
	v_bfi_b32 v39, v39, 0, 0
	v_cmp_eq_u64_e64 s[28:29], v[38:39], v[48:49]
	v_mov_b32_e32 v2, v1
	v_mov_b32_e32 v1, v0
	s_and_saveexec_b64 s[38:39], s[28:29]
; %bb.2069:                             ;   in Loop: Header=BB6_357 Depth=4
	v_bfe_u32 v1, v0, 21, 1
	v_add_co_u32_e64 v1, s[28:29], v0, v1
	v_add_co_u32_e64 v1, s[28:29], -1, v1
; %bb.2070:                             ;   in Loop: Header=BB6_357 Depth=4
	s_or_b64 exec, exec, s[38:39]
	v_add_u32_e32 v2, 0xffffff81, v18
	v_mov_b32_e32 v18, 0xffffff82
	v_cndmask_b32_e32 v2, v2, v18, vcc
	v_lshrrev_b32_e32 v18, 23, v0
	v_add3_u32 v22, v22, v2, v18
	v_add_u32_e32 v18, 14, v22
	v_and_b32_e32 v1, 0x1fffff, v1
	v_add_u32_e32 v33, v1, v0
	v_cmp_ne_u32_e32 vcc, 0, v18
                                        ; implicit-def: $vgpr0_vgpr1
                                        ; implicit-def: $vgpr2
	s_and_saveexec_b64 s[28:29], vcc
	s_xor_b64 s[28:29], exec, s[28:29]
; %bb.2071:                             ;   in Loop: Header=BB6_357 Depth=4
	v_cmp_lt_u64_e32 vcc, s[88:89], v[33:34]
	v_add_u32_e32 v0, 15, v22
	v_cndmask_b32_e32 v2, v18, v0, vcc
	v_cndmask_b32_e64 v0, 0, 1, vcc
	v_lshrrev_b64 v[0:1], v0, v[33:34]
; %bb.2072:                             ;   in Loop: Header=BB6_357 Depth=4
	s_andn2_saveexec_b64 s[28:29], s[28:29]
; %bb.2073:                             ;   in Loop: Header=BB6_357 Depth=4
	v_mov_b32_e32 v0, v33
	v_mov_b32_e32 v1, v34
	v_bfe_u32 v2, v33, 23, 1
; %bb.2074:                             ;   in Loop: Header=BB6_357 Depth=4
	s_or_b64 exec, exec, s[28:29]
	v_lshrrev_b64 v[0:1], 21, v[0:1]
	v_cmp_gt_i32_e32 vcc, 32, v2
	v_cndmask_b32_e32 v1, 0, v1, vcc
	v_cndmask_b32_e32 v0, 3, v0, vcc
	v_cmp_eq_u64_e64 s[28:29], 0, v[0:1]
	v_min_i32_e32 v1, 31, v2
	v_lshlrev_b32_e32 v1, 2, v1
	v_cmp_eq_u32_e32 vcc, 0, v2
	v_and_b32_e32 v1, 0xfc, v1
	v_and_or_b32 v0, v0, 3, v1
	s_and_b64 s[28:29], vcc, s[28:29]
	v_cndmask_b32_e64 v0, v0, 0, s[28:29]
	v_or_b32_e32 v18, v0, v19
.LBB6_2075:                             ;   in Loop: Header=BB6_357 Depth=4
	s_or_b64 exec, exec, s[36:37]
                                        ; implicit-def: $vgpr19
.LBB6_2076:                             ;   in Loop: Header=BB6_357 Depth=4
	s_andn2_saveexec_b64 s[28:29], s[34:35]
; %bb.2077:                             ;   in Loop: Header=BB6_357 Depth=4
	v_or_b32_e32 v18, 0x7b, v19
; %bb.2078:                             ;   in Loop: Header=BB6_357 Depth=4
	s_or_b64 exec, exec, s[28:29]
                                        ; implicit-def: $vgpr0
.LBB6_2079:                             ;   in Loop: Header=BB6_357 Depth=4
	s_andn2_saveexec_b64 s[28:29], s[30:31]
	s_cbranch_execz .LBB6_2085
; %bb.2080:                             ;   in Loop: Header=BB6_357 Depth=4
	v_cmp_ne_u64_e32 vcc, 0, v[33:34]
                                        ; implicit-def: $vgpr18
	s_and_saveexec_b64 s[30:31], vcc
	s_xor_b64 vcc, exec, s[30:31]
; %bb.2081:                             ;   in Loop: Header=BB6_357 Depth=4
	v_or_b32_sdwa v18, v0, s83 dst_sel:DWORD dst_unused:UNUSED_PAD src0_sel:BYTE_3 src1_sel:DWORD
                                        ; implicit-def: $vgpr0
; %bb.2082:                             ;   in Loop: Header=BB6_357 Depth=4
	s_andn2_saveexec_b64 s[30:31], vcc
; %bb.2083:                             ;   in Loop: Header=BB6_357 Depth=4
	v_cmp_lt_i32_e32 vcc, -1, v0
	v_bfrev_b32_e32 v0, 0.5
	v_mov_b32_e32 v1, 0x7c
	v_cndmask_b32_e32 v18, v0, v1, vcc
; %bb.2084:                             ;   in Loop: Header=BB6_357 Depth=4
	s_or_b64 exec, exec, s[30:31]
.LBB6_2085:                             ;   in Loop: Header=BB6_357 Depth=4
	s_or_b64 exec, exec, s[28:29]
	v_cmp_ne_u16_sdwa vcc, v12, v34 src0_sel:BYTE_0 src1_sel:DWORD
	v_mov_b32_e32 v0, 0
	v_mov_b32_e32 v1, 0
	s_and_saveexec_b64 s[28:29], vcc
	s_cbranch_execz .LBB6_2093
; %bb.2086:                             ;   in Loop: Header=BB6_357 Depth=4
	v_cmp_ne_u16_sdwa vcc, sext(v12), s80 src0_sel:BYTE_0 src1_sel:DWORD
	v_bfrev_b32_e32 v1, 1
	s_and_saveexec_b64 s[30:31], vcc
	s_cbranch_execz .LBB6_2092
; %bb.2087:                             ;   in Loop: Header=BB6_357 Depth=4
	v_and_b32_e32 v1, 0x7c, v12
	v_and_b32_e32 v2, 3, v12
	v_cmp_ne_u32_e32 vcc, s81, v1
                                        ; implicit-def: $vgpr1
	s_and_saveexec_b64 s[34:35], vcc
	s_xor_b64 s[34:35], exec, s[34:35]
	s_cbranch_execz .LBB6_2089
; %bb.2088:                             ;   in Loop: Header=BB6_357 Depth=4
	v_ffbh_u32_e32 v19, v2
	v_min_u32_e32 v19, 32, v19
	v_bfe_u32 v1, v12, 2, 5
	v_subrev_u32_e32 v22, 29, v19
	v_lshlrev_b64 v[22:23], v22, v[12:13]
	v_sub_u32_e32 v19, 30, v19
	v_cmp_eq_u32_e32 vcc, 0, v1
	v_cndmask_b32_e32 v1, v1, v19, vcc
	v_lshlrev_b32_e32 v19, 24, v12
	v_and_b32_e32 v22, 3, v22
	v_and_b32_e32 v19, 0x80000000, v19
	v_cndmask_b32_e32 v2, v2, v22, vcc
	v_lshl_add_u32 v1, v1, 23, v19
	v_lshl_or_b32 v1, v2, 21, v1
	v_add_u32_e32 v1, 0x38000000, v1
                                        ; implicit-def: $vgpr2
.LBB6_2089:                             ;   in Loop: Header=BB6_357 Depth=4
	s_andn2_saveexec_b64 s[34:35], s[34:35]
; %bb.2090:                             ;   in Loop: Header=BB6_357 Depth=4
	v_mov_b32_e32 v1, -1
	v_cmp_gt_i16_sdwa vcc, sext(v12), v1 src0_sel:BYTE_0 src1_sel:DWORD
	v_mov_b32_e32 v1, 0xff800000
	v_mov_b32_e32 v19, 0x7f800000
	v_cndmask_b32_e32 v1, v1, v19, vcc
	v_cmp_eq_u32_e32 vcc, 0, v2
	v_mov_b32_e32 v2, 0x7f800001
	v_cndmask_b32_e32 v1, v2, v1, vcc
; %bb.2091:                             ;   in Loop: Header=BB6_357 Depth=4
	s_or_b64 exec, exec, s[34:35]
.LBB6_2092:                             ;   in Loop: Header=BB6_357 Depth=4
	s_or_b64 exec, exec, s[30:31]
.LBB6_2093:                             ;   in Loop: Header=BB6_357 Depth=4
	s_or_b64 exec, exec, s[28:29]
	s_waitcnt vmcnt(0)
	v_cmp_ne_u16_sdwa vcc, v8, v34 src0_sel:BYTE_0 src1_sel:DWORD
	s_and_saveexec_b64 s[28:29], vcc
	s_cbranch_execz .LBB6_2101
; %bb.2094:                             ;   in Loop: Header=BB6_357 Depth=4
	v_cmp_ne_u16_sdwa vcc, sext(v8), s80 src0_sel:BYTE_0 src1_sel:DWORD
	v_bfrev_b32_e32 v0, 1
	s_and_saveexec_b64 s[30:31], vcc
	s_cbranch_execz .LBB6_2100
; %bb.2095:                             ;   in Loop: Header=BB6_357 Depth=4
	v_and_b32_e32 v0, 0x7c, v8
	v_and_b32_e32 v2, 3, v8
	v_cmp_ne_u32_e32 vcc, s81, v0
                                        ; implicit-def: $vgpr0
	s_and_saveexec_b64 s[34:35], vcc
	s_xor_b64 s[34:35], exec, s[34:35]
	s_cbranch_execz .LBB6_2097
; %bb.2096:                             ;   in Loop: Header=BB6_357 Depth=4
	v_ffbh_u32_e32 v19, v2
	v_min_u32_e32 v19, 32, v19
	v_bfe_u32 v0, v8, 2, 5
	v_subrev_u32_e32 v22, 29, v19
	v_lshlrev_b64 v[22:23], v22, v[8:9]
	v_sub_u32_e32 v19, 30, v19
	v_cmp_eq_u32_e32 vcc, 0, v0
	v_cndmask_b32_e32 v0, v0, v19, vcc
	v_lshlrev_b32_e32 v19, 24, v8
	v_and_b32_e32 v22, 3, v22
	v_and_b32_e32 v19, 0x80000000, v19
	v_cndmask_b32_e32 v2, v2, v22, vcc
	v_lshl_add_u32 v0, v0, 23, v19
	v_lshl_or_b32 v0, v2, 21, v0
	v_add_u32_e32 v0, 0x38000000, v0
                                        ; implicit-def: $vgpr2
.LBB6_2097:                             ;   in Loop: Header=BB6_357 Depth=4
	s_andn2_saveexec_b64 s[34:35], s[34:35]
; %bb.2098:                             ;   in Loop: Header=BB6_357 Depth=4
	v_mov_b32_e32 v0, -1
	v_cmp_gt_i16_sdwa vcc, sext(v8), v0 src0_sel:BYTE_0 src1_sel:DWORD
	v_mov_b32_e32 v0, 0xff800000
	v_mov_b32_e32 v19, 0x7f800000
	v_cndmask_b32_e32 v0, v0, v19, vcc
	v_cmp_eq_u32_e32 vcc, 0, v2
	v_mov_b32_e32 v2, 0x7f800001
	v_cndmask_b32_e32 v0, v2, v0, vcc
; %bb.2099:                             ;   in Loop: Header=BB6_357 Depth=4
	s_or_b64 exec, exec, s[34:35]
.LBB6_2100:                             ;   in Loop: Header=BB6_357 Depth=4
	s_or_b64 exec, exec, s[30:31]
.LBB6_2101:                             ;   in Loop: Header=BB6_357 Depth=4
	s_or_b64 exec, exec, s[28:29]
	v_mul_f32_e32 v0, v1, v0
	v_and_b32_e32 v1, 0x7f800000, v0
	v_mov_b32_e32 v2, v34
	v_cmp_ne_u64_e32 vcc, s[76:77], v[1:2]
	v_and_b32_e32 v33, 0x7fffff, v0
                                        ; implicit-def: $vgpr19
	s_and_saveexec_b64 s[28:29], vcc
	s_xor_b64 s[30:31], exec, s[28:29]
	s_cbranch_execz .LBB6_2115
; %bb.2102:                             ;   in Loop: Header=BB6_357 Depth=4
	v_and_b32_e32 v1, 0x7fffffff, v0
	v_mov_b32_e32 v2, v34
	v_cmp_gt_u64_e32 vcc, s[78:79], v[1:2]
	v_and_b32_sdwa v22, v0, s44 dst_sel:DWORD dst_unused:UNUSED_PAD src0_sel:BYTE_3 src1_sel:DWORD
                                        ; implicit-def: $vgpr19
	s_and_saveexec_b64 s[28:29], vcc
	s_xor_b64 s[34:35], exec, s[28:29]
	s_cbranch_execz .LBB6_2112
; %bb.2103:                             ;   in Loop: Header=BB6_357 Depth=4
	v_mov_b32_e32 v19, 0
	v_cmp_ne_u32_e32 vcc, 0, v0
	s_and_saveexec_b64 s[36:37], vcc
	s_cbranch_execz .LBB6_2111
; %bb.2104:                             ;   in Loop: Header=BB6_357 Depth=4
	v_bfe_u32 v19, v0, 23, 8
	v_cmp_gt_u32_e64 s[28:29], s45, v19
	v_sub_u32_e32 v0, 0x71, v19
	v_cmp_eq_u32_e32 vcc, 0, v19
	v_cndmask_b32_e64 v0, 0, v0, s[28:29]
	v_mov_b32_e32 v2, 0x70
	v_cndmask_b32_e32 v23, v0, v2, vcc
	v_add_u32_e32 v2, 21, v23
	v_or_b32_e32 v1, 0x800000, v33
	v_lshlrev_b64 v[38:39], v2, -1
	v_cndmask_b32_e32 v0, v1, v33, vcc
	v_mov_b32_e32 v1, v34
	v_add_u32_e32 v2, 20, v23
	v_bfi_b32 v38, v38, 0, v0
	v_lshlrev_b64 v[48:49], v2, 1
	v_lshrrev_b64 v[0:1], v23, v[0:1]
	v_bfi_b32 v39, v39, 0, 0
	v_cmp_eq_u64_e64 s[28:29], v[38:39], v[48:49]
	v_mov_b32_e32 v2, v1
	v_mov_b32_e32 v1, v0
	s_and_saveexec_b64 s[38:39], s[28:29]
; %bb.2105:                             ;   in Loop: Header=BB6_357 Depth=4
	v_bfe_u32 v1, v0, 21, 1
	v_add_co_u32_e64 v1, s[28:29], v0, v1
	v_add_co_u32_e64 v1, s[28:29], -1, v1
; %bb.2106:                             ;   in Loop: Header=BB6_357 Depth=4
	s_or_b64 exec, exec, s[38:39]
	v_add_u32_e32 v2, 0xffffff81, v19
	v_mov_b32_e32 v19, 0xffffff82
	v_cndmask_b32_e32 v2, v2, v19, vcc
	v_lshrrev_b32_e32 v19, 23, v0
	v_add3_u32 v23, v23, v2, v19
	v_add_u32_e32 v19, 14, v23
	v_and_b32_e32 v1, 0x1fffff, v1
	v_add_u32_e32 v33, v1, v0
	v_cmp_ne_u32_e32 vcc, 0, v19
                                        ; implicit-def: $vgpr0_vgpr1
                                        ; implicit-def: $vgpr2
	s_and_saveexec_b64 s[28:29], vcc
	s_xor_b64 s[28:29], exec, s[28:29]
; %bb.2107:                             ;   in Loop: Header=BB6_357 Depth=4
	v_cmp_lt_u64_e32 vcc, s[88:89], v[33:34]
	v_add_u32_e32 v0, 15, v23
	v_cndmask_b32_e32 v2, v19, v0, vcc
	v_cndmask_b32_e64 v0, 0, 1, vcc
	v_lshrrev_b64 v[0:1], v0, v[33:34]
; %bb.2108:                             ;   in Loop: Header=BB6_357 Depth=4
	s_andn2_saveexec_b64 s[28:29], s[28:29]
; %bb.2109:                             ;   in Loop: Header=BB6_357 Depth=4
	v_mov_b32_e32 v0, v33
	v_mov_b32_e32 v1, v34
	v_bfe_u32 v2, v33, 23, 1
; %bb.2110:                             ;   in Loop: Header=BB6_357 Depth=4
	s_or_b64 exec, exec, s[28:29]
	v_lshrrev_b64 v[0:1], 21, v[0:1]
	v_cmp_gt_i32_e32 vcc, 32, v2
	v_cndmask_b32_e32 v1, 0, v1, vcc
	v_cndmask_b32_e32 v0, 3, v0, vcc
	v_cmp_eq_u64_e64 s[28:29], 0, v[0:1]
	v_min_i32_e32 v1, 31, v2
	v_lshlrev_b32_e32 v1, 2, v1
	v_cmp_eq_u32_e32 vcc, 0, v2
	v_and_b32_e32 v1, 0xfc, v1
	v_and_or_b32 v0, v0, 3, v1
	s_and_b64 s[28:29], vcc, s[28:29]
	v_cndmask_b32_e64 v0, v0, 0, s[28:29]
	v_or_b32_e32 v19, v0, v22
.LBB6_2111:                             ;   in Loop: Header=BB6_357 Depth=4
	s_or_b64 exec, exec, s[36:37]
                                        ; implicit-def: $vgpr22
.LBB6_2112:                             ;   in Loop: Header=BB6_357 Depth=4
	s_andn2_saveexec_b64 s[28:29], s[34:35]
; %bb.2113:                             ;   in Loop: Header=BB6_357 Depth=4
	v_or_b32_e32 v19, 0x7b, v22
; %bb.2114:                             ;   in Loop: Header=BB6_357 Depth=4
	s_or_b64 exec, exec, s[28:29]
                                        ; implicit-def: $vgpr0
.LBB6_2115:                             ;   in Loop: Header=BB6_357 Depth=4
	s_andn2_saveexec_b64 s[28:29], s[30:31]
	s_cbranch_execz .LBB6_2121
; %bb.2116:                             ;   in Loop: Header=BB6_357 Depth=4
	v_cmp_ne_u64_e32 vcc, 0, v[33:34]
                                        ; implicit-def: $vgpr19
	s_and_saveexec_b64 s[30:31], vcc
	s_xor_b64 vcc, exec, s[30:31]
; %bb.2117:                             ;   in Loop: Header=BB6_357 Depth=4
	v_or_b32_sdwa v19, v0, s83 dst_sel:DWORD dst_unused:UNUSED_PAD src0_sel:BYTE_3 src1_sel:DWORD
                                        ; implicit-def: $vgpr0
; %bb.2118:                             ;   in Loop: Header=BB6_357 Depth=4
	s_andn2_saveexec_b64 s[30:31], vcc
; %bb.2119:                             ;   in Loop: Header=BB6_357 Depth=4
	v_cmp_lt_i32_e32 vcc, -1, v0
	v_bfrev_b32_e32 v0, 0.5
	v_mov_b32_e32 v1, 0x7c
	v_cndmask_b32_e32 v19, v0, v1, vcc
; %bb.2120:                             ;   in Loop: Header=BB6_357 Depth=4
	s_or_b64 exec, exec, s[30:31]
.LBB6_2121:                             ;   in Loop: Header=BB6_357 Depth=4
	s_or_b64 exec, exec, s[28:29]
	v_lshrrev_b16_e32 v0, 8, v12
	v_cmp_ne_u16_e32 vcc, 0, v0
	v_mov_b32_e32 v2, 0
	v_mov_b32_e32 v22, 0
	s_and_saveexec_b64 s[28:29], vcc
	s_cbranch_execz .LBB6_2129
; %bb.2122:                             ;   in Loop: Header=BB6_357 Depth=4
	v_cmp_ne_u16_e32 vcc, s44, v0
	v_bfrev_b32_e32 v22, 1
	s_and_saveexec_b64 s[30:31], vcc
	s_cbranch_execz .LBB6_2128
; %bb.2123:                             ;   in Loop: Header=BB6_357 Depth=4
	v_and_b32_e32 v1, 0x7c, v0
	v_and_b32_e32 v23, 3, v0
	v_cmp_ne_u32_e32 vcc, s81, v1
                                        ; implicit-def: $vgpr22
	s_and_saveexec_b64 s[34:35], vcc
	s_xor_b64 s[34:35], exec, s[34:35]
	s_cbranch_execz .LBB6_2125
; %bb.2124:                             ;   in Loop: Header=BB6_357 Depth=4
	v_ffbh_u32_e32 v28, v23
	v_min_u32_e32 v28, 32, v28
	v_mov_b32_e32 v1, v34
	v_subrev_u32_e32 v29, 29, v28
	v_bfe_u32 v22, v0, 2, 5
	v_lshlrev_b64 v[0:1], v29, v[0:1]
	v_sub_u32_e32 v1, 30, v28
	v_cmp_eq_u32_e32 vcc, 0, v22
	v_cndmask_b32_e32 v1, v22, v1, vcc
	v_lshlrev_b32_e32 v22, 16, v12
	v_and_b32_e32 v0, 3, v0
	v_and_b32_e32 v22, 0x80000000, v22
	v_cndmask_b32_e32 v0, v23, v0, vcc
	v_lshl_add_u32 v1, v1, 23, v22
	v_lshl_or_b32 v0, v0, 21, v1
	v_add_u32_e32 v22, 0x38000000, v0
                                        ; implicit-def: $vgpr23
.LBB6_2125:                             ;   in Loop: Header=BB6_357 Depth=4
	s_andn2_saveexec_b64 s[34:35], s[34:35]
; %bb.2126:                             ;   in Loop: Header=BB6_357 Depth=4
	v_cmp_lt_i16_e32 vcc, -1, v12
	v_mov_b32_e32 v0, 0xff800000
	v_mov_b32_e32 v1, 0x7f800000
	v_cndmask_b32_e32 v0, v0, v1, vcc
	v_cmp_eq_u32_e32 vcc, 0, v23
	v_mov_b32_e32 v1, 0x7f800001
	v_cndmask_b32_e32 v22, v1, v0, vcc
; %bb.2127:                             ;   in Loop: Header=BB6_357 Depth=4
	s_or_b64 exec, exec, s[34:35]
.LBB6_2128:                             ;   in Loop: Header=BB6_357 Depth=4
	s_or_b64 exec, exec, s[30:31]
.LBB6_2129:                             ;   in Loop: Header=BB6_357 Depth=4
	s_or_b64 exec, exec, s[28:29]
	v_lshrrev_b16_e32 v0, 8, v8
	v_cmp_ne_u16_e32 vcc, 0, v0
	s_and_saveexec_b64 s[28:29], vcc
	s_cbranch_execz .LBB6_2137
; %bb.2130:                             ;   in Loop: Header=BB6_357 Depth=4
	v_cmp_ne_u16_e32 vcc, s44, v0
	v_bfrev_b32_e32 v2, 1
	s_and_saveexec_b64 s[30:31], vcc
	s_cbranch_execz .LBB6_2136
; %bb.2131:                             ;   in Loop: Header=BB6_357 Depth=4
	v_and_b32_e32 v1, 0x7c, v0
	v_and_b32_e32 v23, 3, v0
	v_cmp_ne_u32_e32 vcc, s81, v1
                                        ; implicit-def: $vgpr2
	s_and_saveexec_b64 s[34:35], vcc
	s_xor_b64 s[34:35], exec, s[34:35]
	s_cbranch_execz .LBB6_2133
; %bb.2132:                             ;   in Loop: Header=BB6_357 Depth=4
	v_ffbh_u32_e32 v28, v23
	v_min_u32_e32 v28, 32, v28
	v_mov_b32_e32 v1, v34
	v_subrev_u32_e32 v29, 29, v28
	v_bfe_u32 v2, v0, 2, 5
	v_lshlrev_b64 v[0:1], v29, v[0:1]
	v_sub_u32_e32 v1, 30, v28
	v_cmp_eq_u32_e32 vcc, 0, v2
	v_cndmask_b32_e32 v1, v2, v1, vcc
	v_lshlrev_b32_e32 v2, 16, v8
	v_and_b32_e32 v0, 3, v0
	v_and_b32_e32 v2, 0x80000000, v2
	v_cndmask_b32_e32 v0, v23, v0, vcc
	v_lshl_add_u32 v1, v1, 23, v2
	v_lshl_or_b32 v0, v0, 21, v1
	v_add_u32_e32 v2, 0x38000000, v0
                                        ; implicit-def: $vgpr23
.LBB6_2133:                             ;   in Loop: Header=BB6_357 Depth=4
	s_andn2_saveexec_b64 s[34:35], s[34:35]
; %bb.2134:                             ;   in Loop: Header=BB6_357 Depth=4
	v_cmp_lt_i16_e32 vcc, -1, v8
	v_mov_b32_e32 v0, 0xff800000
	v_mov_b32_e32 v1, 0x7f800000
	v_cndmask_b32_e32 v0, v0, v1, vcc
	v_cmp_eq_u32_e32 vcc, 0, v23
	v_mov_b32_e32 v1, 0x7f800001
	v_cndmask_b32_e32 v2, v1, v0, vcc
; %bb.2135:                             ;   in Loop: Header=BB6_357 Depth=4
	s_or_b64 exec, exec, s[34:35]
.LBB6_2136:                             ;   in Loop: Header=BB6_357 Depth=4
	s_or_b64 exec, exec, s[30:31]
.LBB6_2137:                             ;   in Loop: Header=BB6_357 Depth=4
	s_or_b64 exec, exec, s[28:29]
	v_mul_f32_e32 v0, v22, v2
	v_and_b32_e32 v1, 0x7f800000, v0
	v_mov_b32_e32 v2, v34
	v_cmp_ne_u64_e32 vcc, s[76:77], v[1:2]
	v_and_b32_e32 v33, 0x7fffff, v0
                                        ; implicit-def: $vgpr22
	s_and_saveexec_b64 s[28:29], vcc
	s_xor_b64 s[30:31], exec, s[28:29]
	s_cbranch_execz .LBB6_2151
; %bb.2138:                             ;   in Loop: Header=BB6_357 Depth=4
	v_and_b32_e32 v1, 0x7fffffff, v0
	v_mov_b32_e32 v2, v34
	v_cmp_gt_u64_e32 vcc, s[78:79], v[1:2]
	v_and_b32_sdwa v23, v0, s44 dst_sel:DWORD dst_unused:UNUSED_PAD src0_sel:BYTE_3 src1_sel:DWORD
                                        ; implicit-def: $vgpr22
	s_and_saveexec_b64 s[28:29], vcc
	s_xor_b64 s[34:35], exec, s[28:29]
	s_cbranch_execz .LBB6_2148
; %bb.2139:                             ;   in Loop: Header=BB6_357 Depth=4
	v_mov_b32_e32 v22, 0
	v_cmp_ne_u32_e32 vcc, 0, v0
	s_and_saveexec_b64 s[36:37], vcc
	s_cbranch_execz .LBB6_2147
; %bb.2140:                             ;   in Loop: Header=BB6_357 Depth=4
	v_bfe_u32 v22, v0, 23, 8
	v_cmp_gt_u32_e64 s[28:29], s45, v22
	v_sub_u32_e32 v0, 0x71, v22
	v_cmp_eq_u32_e32 vcc, 0, v22
	v_cndmask_b32_e64 v0, 0, v0, s[28:29]
	v_mov_b32_e32 v2, 0x70
	v_cndmask_b32_e32 v38, v0, v2, vcc
	v_add_u32_e32 v2, 21, v38
	v_or_b32_e32 v1, 0x800000, v33
	v_lshlrev_b64 v[48:49], v2, -1
	v_cndmask_b32_e32 v0, v1, v33, vcc
	v_mov_b32_e32 v1, v34
	v_add_u32_e32 v2, 20, v38
	v_bfi_b32 v48, v48, 0, v0
	v_lshlrev_b64 v[50:51], v2, 1
	v_lshrrev_b64 v[0:1], v38, v[0:1]
	v_bfi_b32 v49, v49, 0, 0
	v_cmp_eq_u64_e64 s[28:29], v[48:49], v[50:51]
	v_mov_b32_e32 v2, v1
	v_mov_b32_e32 v1, v0
	s_and_saveexec_b64 s[38:39], s[28:29]
; %bb.2141:                             ;   in Loop: Header=BB6_357 Depth=4
	v_bfe_u32 v1, v0, 21, 1
	v_add_co_u32_e64 v1, s[28:29], v0, v1
	v_add_co_u32_e64 v1, s[28:29], -1, v1
; %bb.2142:                             ;   in Loop: Header=BB6_357 Depth=4
	s_or_b64 exec, exec, s[38:39]
	v_add_u32_e32 v2, 0xffffff81, v22
	v_mov_b32_e32 v22, 0xffffff82
	v_cndmask_b32_e32 v2, v2, v22, vcc
	v_lshrrev_b32_e32 v22, 23, v0
	v_add3_u32 v38, v38, v2, v22
	v_add_u32_e32 v22, 14, v38
	v_and_b32_e32 v1, 0x1fffff, v1
	v_add_u32_e32 v33, v1, v0
	v_cmp_ne_u32_e32 vcc, 0, v22
                                        ; implicit-def: $vgpr0_vgpr1
                                        ; implicit-def: $vgpr2
	s_and_saveexec_b64 s[28:29], vcc
	s_xor_b64 s[28:29], exec, s[28:29]
; %bb.2143:                             ;   in Loop: Header=BB6_357 Depth=4
	v_cmp_lt_u64_e32 vcc, s[88:89], v[33:34]
	v_add_u32_e32 v0, 15, v38
	v_cndmask_b32_e32 v2, v22, v0, vcc
	v_cndmask_b32_e64 v0, 0, 1, vcc
	v_lshrrev_b64 v[0:1], v0, v[33:34]
; %bb.2144:                             ;   in Loop: Header=BB6_357 Depth=4
	s_andn2_saveexec_b64 s[28:29], s[28:29]
; %bb.2145:                             ;   in Loop: Header=BB6_357 Depth=4
	v_mov_b32_e32 v0, v33
	v_mov_b32_e32 v1, v34
	v_bfe_u32 v2, v33, 23, 1
; %bb.2146:                             ;   in Loop: Header=BB6_357 Depth=4
	s_or_b64 exec, exec, s[28:29]
	v_lshrrev_b64 v[0:1], 21, v[0:1]
	v_cmp_gt_i32_e32 vcc, 32, v2
	v_cndmask_b32_e32 v1, 0, v1, vcc
	v_cndmask_b32_e32 v0, 3, v0, vcc
	v_cmp_eq_u64_e64 s[28:29], 0, v[0:1]
	v_min_i32_e32 v1, 31, v2
	v_lshlrev_b32_e32 v1, 2, v1
	v_cmp_eq_u32_e32 vcc, 0, v2
	v_and_b32_e32 v1, 0xfc, v1
	v_and_or_b32 v0, v0, 3, v1
	s_and_b64 s[28:29], vcc, s[28:29]
	v_cndmask_b32_e64 v0, v0, 0, s[28:29]
	v_or_b32_e32 v22, v0, v23
.LBB6_2147:                             ;   in Loop: Header=BB6_357 Depth=4
	s_or_b64 exec, exec, s[36:37]
                                        ; implicit-def: $vgpr23
.LBB6_2148:                             ;   in Loop: Header=BB6_357 Depth=4
	s_andn2_saveexec_b64 s[28:29], s[34:35]
; %bb.2149:                             ;   in Loop: Header=BB6_357 Depth=4
	v_or_b32_e32 v22, 0x7b, v23
; %bb.2150:                             ;   in Loop: Header=BB6_357 Depth=4
	s_or_b64 exec, exec, s[28:29]
                                        ; implicit-def: $vgpr0
.LBB6_2151:                             ;   in Loop: Header=BB6_357 Depth=4
	s_andn2_saveexec_b64 s[28:29], s[30:31]
	s_cbranch_execz .LBB6_2157
; %bb.2152:                             ;   in Loop: Header=BB6_357 Depth=4
	v_cmp_ne_u64_e32 vcc, 0, v[33:34]
                                        ; implicit-def: $vgpr22
	s_and_saveexec_b64 s[30:31], vcc
	s_xor_b64 vcc, exec, s[30:31]
; %bb.2153:                             ;   in Loop: Header=BB6_357 Depth=4
	v_or_b32_sdwa v22, v0, s83 dst_sel:DWORD dst_unused:UNUSED_PAD src0_sel:BYTE_3 src1_sel:DWORD
                                        ; implicit-def: $vgpr0
; %bb.2154:                             ;   in Loop: Header=BB6_357 Depth=4
	s_andn2_saveexec_b64 s[30:31], vcc
; %bb.2155:                             ;   in Loop: Header=BB6_357 Depth=4
	v_cmp_lt_i32_e32 vcc, -1, v0
	v_bfrev_b32_e32 v0, 0.5
	v_mov_b32_e32 v1, 0x7c
	v_cndmask_b32_e32 v22, v0, v1, vcc
; %bb.2156:                             ;   in Loop: Header=BB6_357 Depth=4
	s_or_b64 exec, exec, s[30:31]
.LBB6_2157:                             ;   in Loop: Header=BB6_357 Depth=4
	s_or_b64 exec, exec, s[28:29]
	v_lshrrev_b32_e32 v0, 16, v12
	v_cmp_ne_u16_sdwa vcc, v0, v34 src0_sel:BYTE_0 src1_sel:DWORD
	v_mov_b32_e32 v1, 0
	v_mov_b32_e32 v2, 0
	s_and_saveexec_b64 s[28:29], vcc
	s_cbranch_execz .LBB6_2165
; %bb.2158:                             ;   in Loop: Header=BB6_357 Depth=4
	v_cmp_ne_u16_sdwa vcc, v0, s44 src0_sel:BYTE_0 src1_sel:DWORD
	v_bfrev_b32_e32 v2, 1
	s_and_saveexec_b64 s[30:31], vcc
	s_cbranch_execz .LBB6_2164
; %bb.2159:                             ;   in Loop: Header=BB6_357 Depth=4
	v_and_b32_e32 v2, 0x7c0000, v12
	v_bfe_u32 v23, v12, 16, 2
	v_cmp_ne_u32_e32 vcc, s9, v2
                                        ; implicit-def: $vgpr2
	s_and_saveexec_b64 s[34:35], vcc
	s_xor_b64 s[34:35], exec, s[34:35]
	s_cbranch_execz .LBB6_2161
; %bb.2160:                             ;   in Loop: Header=BB6_357 Depth=4
	v_ffbh_u32_e32 v28, v23
	v_min_u32_e32 v28, 32, v28
	v_subrev_u32_e32 v29, 29, v28
	v_lshlrev_b64 v[38:39], v29, v[0:1]
	v_bfe_u32 v2, v12, 18, 5
	v_sub_u32_e32 v0, 30, v28
	v_and_b32_e32 v28, 3, v38
	v_cmp_eq_u32_e32 vcc, 0, v2
	v_cndmask_b32_e32 v0, v2, v0, vcc
	v_cndmask_b32_e32 v2, v23, v28, vcc
	v_lshlrev_b32_e32 v23, 8, v12
	v_and_b32_e32 v23, 0x80000000, v23
	v_lshl_add_u32 v0, v0, 23, v23
	v_lshl_or_b32 v0, v2, 21, v0
	v_add_u32_e32 v2, 0x38000000, v0
                                        ; implicit-def: $vgpr23
                                        ; implicit-def: $vgpr0
.LBB6_2161:                             ;   in Loop: Header=BB6_357 Depth=4
	s_andn2_saveexec_b64 s[34:35], s[34:35]
; %bb.2162:                             ;   in Loop: Header=BB6_357 Depth=4
	v_mov_b32_e32 v2, -1
	v_cmp_gt_i16_sdwa vcc, sext(v0), v2 src0_sel:BYTE_0 src1_sel:DWORD
	v_mov_b32_e32 v0, 0xff800000
	v_mov_b32_e32 v2, 0x7f800000
	v_cndmask_b32_e32 v0, v0, v2, vcc
	v_cmp_eq_u32_e32 vcc, 0, v23
	v_mov_b32_e32 v2, 0x7f800001
	v_cndmask_b32_e32 v2, v2, v0, vcc
; %bb.2163:                             ;   in Loop: Header=BB6_357 Depth=4
	s_or_b64 exec, exec, s[34:35]
.LBB6_2164:                             ;   in Loop: Header=BB6_357 Depth=4
	s_or_b64 exec, exec, s[30:31]
.LBB6_2165:                             ;   in Loop: Header=BB6_357 Depth=4
	s_or_b64 exec, exec, s[28:29]
	v_lshrrev_b32_e32 v0, 16, v8
	v_cmp_ne_u16_sdwa vcc, v0, v34 src0_sel:BYTE_0 src1_sel:DWORD
	s_and_saveexec_b64 s[28:29], vcc
	s_cbranch_execz .LBB6_2173
; %bb.2166:                             ;   in Loop: Header=BB6_357 Depth=4
	v_cmp_ne_u16_sdwa vcc, v0, s44 src0_sel:BYTE_0 src1_sel:DWORD
	v_bfrev_b32_e32 v1, 1
	s_and_saveexec_b64 s[30:31], vcc
	s_cbranch_execz .LBB6_2172
; %bb.2167:                             ;   in Loop: Header=BB6_357 Depth=4
	v_and_b32_e32 v1, 0x7c0000, v8
	v_bfe_u32 v23, v8, 16, 2
	v_cmp_ne_u32_e32 vcc, s9, v1
                                        ; implicit-def: $vgpr1
	s_and_saveexec_b64 s[34:35], vcc
	s_xor_b64 s[34:35], exec, s[34:35]
	s_cbranch_execz .LBB6_2169
; %bb.2168:                             ;   in Loop: Header=BB6_357 Depth=4
	v_ffbh_u32_e32 v1, v23
	v_min_u32_e32 v29, 32, v1
	v_subrev_u32_e32 v1, 29, v29
	v_lshlrev_b64 v[0:1], v1, v[0:1]
	v_bfe_u32 v28, v8, 18, 5
	v_and_b32_e32 v0, 3, v0
	v_cmp_eq_u32_e32 vcc, 0, v28
	v_sub_u32_e32 v1, 30, v29
	v_cndmask_b32_e32 v0, v23, v0, vcc
	v_lshlrev_b32_e32 v23, 8, v8
	v_cndmask_b32_e32 v1, v28, v1, vcc
	v_and_b32_e32 v23, 0x80000000, v23
	v_lshl_add_u32 v1, v1, 23, v23
	v_lshl_or_b32 v0, v0, 21, v1
	v_add_u32_e32 v1, 0x38000000, v0
                                        ; implicit-def: $vgpr23
                                        ; implicit-def: $vgpr0
.LBB6_2169:                             ;   in Loop: Header=BB6_357 Depth=4
	s_andn2_saveexec_b64 s[34:35], s[34:35]
; %bb.2170:                             ;   in Loop: Header=BB6_357 Depth=4
	v_mov_b32_e32 v1, -1
	v_cmp_gt_i16_sdwa vcc, sext(v0), v1 src0_sel:BYTE_0 src1_sel:DWORD
	v_mov_b32_e32 v0, 0xff800000
	v_mov_b32_e32 v1, 0x7f800000
	v_cndmask_b32_e32 v0, v0, v1, vcc
	v_cmp_eq_u32_e32 vcc, 0, v23
	v_mov_b32_e32 v1, 0x7f800001
	v_cndmask_b32_e32 v1, v1, v0, vcc
; %bb.2171:                             ;   in Loop: Header=BB6_357 Depth=4
	s_or_b64 exec, exec, s[34:35]
.LBB6_2172:                             ;   in Loop: Header=BB6_357 Depth=4
	s_or_b64 exec, exec, s[30:31]
.LBB6_2173:                             ;   in Loop: Header=BB6_357 Depth=4
	s_or_b64 exec, exec, s[28:29]
	v_mul_f32_e32 v0, v2, v1
	v_and_b32_e32 v1, 0x7f800000, v0
	v_mov_b32_e32 v2, v34
	v_cmp_ne_u64_e32 vcc, s[76:77], v[1:2]
	v_and_b32_e32 v33, 0x7fffff, v0
                                        ; implicit-def: $vgpr23
	s_and_saveexec_b64 s[28:29], vcc
	s_xor_b64 s[30:31], exec, s[28:29]
	s_cbranch_execz .LBB6_2187
; %bb.2174:                             ;   in Loop: Header=BB6_357 Depth=4
	v_and_b32_e32 v1, 0x7fffffff, v0
	v_mov_b32_e32 v2, v34
	v_cmp_gt_u64_e32 vcc, s[78:79], v[1:2]
	v_and_b32_sdwa v38, v0, s44 dst_sel:DWORD dst_unused:UNUSED_PAD src0_sel:BYTE_3 src1_sel:DWORD
                                        ; implicit-def: $vgpr23
	s_and_saveexec_b64 s[28:29], vcc
	s_xor_b64 s[34:35], exec, s[28:29]
	s_cbranch_execz .LBB6_2184
; %bb.2175:                             ;   in Loop: Header=BB6_357 Depth=4
	v_mov_b32_e32 v23, 0
	v_cmp_ne_u32_e32 vcc, 0, v0
	s_and_saveexec_b64 s[36:37], vcc
	s_cbranch_execz .LBB6_2183
; %bb.2176:                             ;   in Loop: Header=BB6_357 Depth=4
	v_bfe_u32 v23, v0, 23, 8
	v_cmp_gt_u32_e64 s[28:29], s45, v23
	v_sub_u32_e32 v0, 0x71, v23
	v_cmp_eq_u32_e32 vcc, 0, v23
	v_cndmask_b32_e64 v0, 0, v0, s[28:29]
	v_mov_b32_e32 v2, 0x70
	v_cndmask_b32_e32 v39, v0, v2, vcc
	v_add_u32_e32 v2, 21, v39
	v_or_b32_e32 v1, 0x800000, v33
	v_lshlrev_b64 v[48:49], v2, -1
	v_cndmask_b32_e32 v0, v1, v33, vcc
	v_mov_b32_e32 v1, v34
	v_add_u32_e32 v2, 20, v39
	v_bfi_b32 v48, v48, 0, v0
	v_lshlrev_b64 v[50:51], v2, 1
	v_lshrrev_b64 v[0:1], v39, v[0:1]
	v_bfi_b32 v49, v49, 0, 0
	v_cmp_eq_u64_e64 s[28:29], v[48:49], v[50:51]
	v_mov_b32_e32 v2, v1
	v_mov_b32_e32 v1, v0
	s_and_saveexec_b64 s[38:39], s[28:29]
; %bb.2177:                             ;   in Loop: Header=BB6_357 Depth=4
	v_bfe_u32 v1, v0, 21, 1
	v_add_co_u32_e64 v1, s[28:29], v0, v1
	v_add_co_u32_e64 v1, s[28:29], -1, v1
; %bb.2178:                             ;   in Loop: Header=BB6_357 Depth=4
	s_or_b64 exec, exec, s[38:39]
	v_add_u32_e32 v2, 0xffffff81, v23
	v_mov_b32_e32 v23, 0xffffff82
	v_cndmask_b32_e32 v2, v2, v23, vcc
	v_lshrrev_b32_e32 v23, 23, v0
	v_add3_u32 v39, v39, v2, v23
	v_add_u32_e32 v23, 14, v39
	v_and_b32_e32 v1, 0x1fffff, v1
	v_add_u32_e32 v33, v1, v0
	v_cmp_ne_u32_e32 vcc, 0, v23
                                        ; implicit-def: $vgpr0_vgpr1
                                        ; implicit-def: $vgpr2
	s_and_saveexec_b64 s[28:29], vcc
	s_xor_b64 s[28:29], exec, s[28:29]
; %bb.2179:                             ;   in Loop: Header=BB6_357 Depth=4
	v_cmp_lt_u64_e32 vcc, s[88:89], v[33:34]
	v_add_u32_e32 v0, 15, v39
	v_cndmask_b32_e32 v2, v23, v0, vcc
	v_cndmask_b32_e64 v0, 0, 1, vcc
	v_lshrrev_b64 v[0:1], v0, v[33:34]
; %bb.2180:                             ;   in Loop: Header=BB6_357 Depth=4
	s_andn2_saveexec_b64 s[28:29], s[28:29]
; %bb.2181:                             ;   in Loop: Header=BB6_357 Depth=4
	v_mov_b32_e32 v0, v33
	v_mov_b32_e32 v1, v34
	v_bfe_u32 v2, v33, 23, 1
; %bb.2182:                             ;   in Loop: Header=BB6_357 Depth=4
	s_or_b64 exec, exec, s[28:29]
	v_lshrrev_b64 v[0:1], 21, v[0:1]
	v_cmp_gt_i32_e32 vcc, 32, v2
	v_cndmask_b32_e32 v1, 0, v1, vcc
	v_cndmask_b32_e32 v0, 3, v0, vcc
	v_cmp_eq_u64_e64 s[28:29], 0, v[0:1]
	v_min_i32_e32 v1, 31, v2
	v_lshlrev_b32_e32 v1, 2, v1
	v_cmp_eq_u32_e32 vcc, 0, v2
	v_and_b32_e32 v1, 0xfc, v1
	v_and_or_b32 v0, v0, 3, v1
	s_and_b64 s[28:29], vcc, s[28:29]
	v_cndmask_b32_e64 v0, v0, 0, s[28:29]
	v_or_b32_e32 v23, v0, v38
.LBB6_2183:                             ;   in Loop: Header=BB6_357 Depth=4
	s_or_b64 exec, exec, s[36:37]
                                        ; implicit-def: $vgpr38
.LBB6_2184:                             ;   in Loop: Header=BB6_357 Depth=4
	s_andn2_saveexec_b64 s[28:29], s[34:35]
; %bb.2185:                             ;   in Loop: Header=BB6_357 Depth=4
	v_or_b32_e32 v23, 0x7b, v38
; %bb.2186:                             ;   in Loop: Header=BB6_357 Depth=4
	s_or_b64 exec, exec, s[28:29]
                                        ; implicit-def: $vgpr0
.LBB6_2187:                             ;   in Loop: Header=BB6_357 Depth=4
	s_andn2_saveexec_b64 s[28:29], s[30:31]
	s_cbranch_execz .LBB6_2193
; %bb.2188:                             ;   in Loop: Header=BB6_357 Depth=4
	v_cmp_ne_u64_e32 vcc, 0, v[33:34]
                                        ; implicit-def: $vgpr23
	s_and_saveexec_b64 s[30:31], vcc
	s_xor_b64 vcc, exec, s[30:31]
; %bb.2189:                             ;   in Loop: Header=BB6_357 Depth=4
	v_or_b32_sdwa v23, v0, s83 dst_sel:DWORD dst_unused:UNUSED_PAD src0_sel:BYTE_3 src1_sel:DWORD
                                        ; implicit-def: $vgpr0
; %bb.2190:                             ;   in Loop: Header=BB6_357 Depth=4
	s_andn2_saveexec_b64 s[30:31], vcc
; %bb.2191:                             ;   in Loop: Header=BB6_357 Depth=4
	v_cmp_lt_i32_e32 vcc, -1, v0
	v_bfrev_b32_e32 v0, 0.5
	v_mov_b32_e32 v1, 0x7c
	v_cndmask_b32_e32 v23, v0, v1, vcc
; %bb.2192:                             ;   in Loop: Header=BB6_357 Depth=4
	s_or_b64 exec, exec, s[30:31]
.LBB6_2193:                             ;   in Loop: Header=BB6_357 Depth=4
	s_or_b64 exec, exec, s[28:29]
	v_cmp_lt_u32_e32 vcc, s57, v12
	v_mov_b32_e32 v1, 0
	v_mov_b32_e32 v2, 0
	s_and_saveexec_b64 s[28:29], vcc
	s_cbranch_execz .LBB6_2201
; %bb.2194:                             ;   in Loop: Header=BB6_357 Depth=4
	v_lshrrev_b32_e32 v0, 24, v12
	v_cmp_ne_u32_e32 vcc, s44, v0
	v_bfrev_b32_e32 v2, 1
	s_and_saveexec_b64 s[30:31], vcc
	s_cbranch_execz .LBB6_2200
; %bb.2195:                             ;   in Loop: Header=BB6_357 Depth=4
	v_and_b32_e32 v2, 0x7c000000, v12
	v_bfe_u32 v33, v12, 24, 2
	v_cmp_ne_u32_e32 vcc, s8, v2
                                        ; implicit-def: $vgpr2
	s_and_saveexec_b64 s[34:35], vcc
	s_xor_b64 s[34:35], exec, s[34:35]
	s_cbranch_execz .LBB6_2197
; %bb.2196:                             ;   in Loop: Header=BB6_357 Depth=4
	v_ffbh_u32_e32 v28, v33
	v_min_u32_e32 v28, 32, v28
	v_subrev_u32_e32 v29, 29, v28
	v_lshlrev_b64 v[38:39], v29, v[0:1]
	v_bfe_u32 v2, v12, 26, 5
	v_sub_u32_e32 v0, 30, v28
	v_and_b32_e32 v28, 3, v38
	v_cmp_eq_u32_e32 vcc, 0, v2
	v_cndmask_b32_e32 v0, v2, v0, vcc
	v_cndmask_b32_e32 v2, v33, v28, vcc
	v_and_b32_e32 v28, 0x80000000, v12
	v_lshl_add_u32 v0, v0, 23, v28
	v_lshl_or_b32 v0, v2, 21, v0
	v_add_u32_e32 v2, 0x38000000, v0
                                        ; implicit-def: $vgpr33
.LBB6_2197:                             ;   in Loop: Header=BB6_357 Depth=4
	s_andn2_saveexec_b64 s[34:35], s[34:35]
; %bb.2198:                             ;   in Loop: Header=BB6_357 Depth=4
	v_cmp_lt_i32_e32 vcc, -1, v12
	v_mov_b32_e32 v0, 0xff800000
	v_mov_b32_e32 v2, 0x7f800000
	v_cndmask_b32_e32 v0, v0, v2, vcc
	v_cmp_eq_u32_e32 vcc, 0, v33
	v_mov_b32_e32 v2, 0x7f800001
	v_cndmask_b32_e32 v2, v2, v0, vcc
; %bb.2199:                             ;   in Loop: Header=BB6_357 Depth=4
	s_or_b64 exec, exec, s[34:35]
.LBB6_2200:                             ;   in Loop: Header=BB6_357 Depth=4
	s_or_b64 exec, exec, s[30:31]
.LBB6_2201:                             ;   in Loop: Header=BB6_357 Depth=4
	s_or_b64 exec, exec, s[28:29]
	v_cmp_lt_u32_e32 vcc, s57, v8
	s_and_saveexec_b64 s[28:29], vcc
	s_cbranch_execz .LBB6_2209
; %bb.2202:                             ;   in Loop: Header=BB6_357 Depth=4
	v_lshrrev_b32_e32 v0, 24, v8
	v_cmp_ne_u32_e32 vcc, s44, v0
	v_bfrev_b32_e32 v1, 1
	s_and_saveexec_b64 s[30:31], vcc
	s_cbranch_execz .LBB6_2208
; %bb.2203:                             ;   in Loop: Header=BB6_357 Depth=4
	v_and_b32_e32 v1, 0x7c000000, v8
	v_bfe_u32 v33, v8, 24, 2
	v_cmp_ne_u32_e32 vcc, s8, v1
                                        ; implicit-def: $vgpr1
	s_and_saveexec_b64 s[34:35], vcc
	s_xor_b64 s[34:35], exec, s[34:35]
	s_cbranch_execz .LBB6_2205
; %bb.2204:                             ;   in Loop: Header=BB6_357 Depth=4
	v_ffbh_u32_e32 v1, v33
	v_min_u32_e32 v29, 32, v1
	v_subrev_u32_e32 v1, 29, v29
	v_bfe_u32 v28, v8, 26, 5
	v_lshlrev_b64 v[0:1], v1, v[0:1]
	v_sub_u32_e32 v1, 30, v29
	v_cmp_eq_u32_e32 vcc, 0, v28
	v_and_b32_e32 v0, 3, v0
	v_cndmask_b32_e32 v1, v28, v1, vcc
	v_and_b32_e32 v28, 0x80000000, v8
	v_cndmask_b32_e32 v0, v33, v0, vcc
	v_lshl_add_u32 v1, v1, 23, v28
	v_lshl_or_b32 v0, v0, 21, v1
	v_add_u32_e32 v1, 0x38000000, v0
                                        ; implicit-def: $vgpr33
.LBB6_2205:                             ;   in Loop: Header=BB6_357 Depth=4
	s_andn2_saveexec_b64 s[34:35], s[34:35]
; %bb.2206:                             ;   in Loop: Header=BB6_357 Depth=4
	v_cmp_lt_i32_e32 vcc, -1, v8
	v_mov_b32_e32 v0, 0xff800000
	v_mov_b32_e32 v1, 0x7f800000
	v_cndmask_b32_e32 v0, v0, v1, vcc
	v_cmp_eq_u32_e32 vcc, 0, v33
	v_mov_b32_e32 v1, 0x7f800001
	v_cndmask_b32_e32 v1, v1, v0, vcc
; %bb.2207:                             ;   in Loop: Header=BB6_357 Depth=4
	s_or_b64 exec, exec, s[34:35]
.LBB6_2208:                             ;   in Loop: Header=BB6_357 Depth=4
	s_or_b64 exec, exec, s[30:31]
.LBB6_2209:                             ;   in Loop: Header=BB6_357 Depth=4
	s_or_b64 exec, exec, s[28:29]
	v_mul_f32_e32 v0, v2, v1
	v_and_b32_e32 v1, 0x7f800000, v0
	v_mov_b32_e32 v2, v34
	v_cmp_ne_u64_e32 vcc, s[76:77], v[1:2]
	v_and_b32_e32 v33, 0x7fffff, v0
                                        ; implicit-def: $vgpr48
	s_and_saveexec_b64 s[28:29], vcc
	s_xor_b64 s[30:31], exec, s[28:29]
	s_cbranch_execz .LBB6_2223
; %bb.2210:                             ;   in Loop: Header=BB6_357 Depth=4
	v_and_b32_e32 v1, 0x7fffffff, v0
	v_mov_b32_e32 v2, v34
	v_cmp_gt_u64_e32 vcc, s[78:79], v[1:2]
	v_and_b32_sdwa v38, v0, s44 dst_sel:DWORD dst_unused:UNUSED_PAD src0_sel:BYTE_3 src1_sel:DWORD
                                        ; implicit-def: $vgpr48
	s_and_saveexec_b64 s[28:29], vcc
	s_xor_b64 s[34:35], exec, s[28:29]
	s_cbranch_execz .LBB6_2220
; %bb.2211:                             ;   in Loop: Header=BB6_357 Depth=4
	v_mov_b32_e32 v48, 0
	v_cmp_ne_u32_e32 vcc, 0, v0
	s_and_saveexec_b64 s[36:37], vcc
	s_cbranch_execz .LBB6_2219
; %bb.2212:                             ;   in Loop: Header=BB6_357 Depth=4
	v_bfe_u32 v39, v0, 23, 8
	v_cmp_gt_u32_e64 s[28:29], s45, v39
	v_sub_u32_e32 v0, 0x71, v39
	v_cmp_eq_u32_e32 vcc, 0, v39
	v_cndmask_b32_e64 v0, 0, v0, s[28:29]
	v_mov_b32_e32 v2, 0x70
	v_cndmask_b32_e32 v48, v0, v2, vcc
	v_add_u32_e32 v2, 21, v48
	v_or_b32_e32 v1, 0x800000, v33
	v_lshlrev_b64 v[49:50], v2, -1
	v_cndmask_b32_e32 v0, v1, v33, vcc
	v_mov_b32_e32 v1, v34
	v_add_u32_e32 v2, 20, v48
	v_bfi_b32 v49, v49, 0, v0
	v_lshlrev_b64 v[46:47], v2, 1
	v_lshrrev_b64 v[0:1], v48, v[0:1]
	v_bfi_b32 v50, v50, 0, 0
	v_cmp_eq_u64_e64 s[28:29], v[49:50], v[46:47]
	v_mov_b32_e32 v2, v1
	v_mov_b32_e32 v1, v0
	s_and_saveexec_b64 s[38:39], s[28:29]
; %bb.2213:                             ;   in Loop: Header=BB6_357 Depth=4
	v_bfe_u32 v1, v0, 21, 1
	v_add_co_u32_e64 v1, s[28:29], v0, v1
	v_add_co_u32_e64 v1, s[28:29], -1, v1
; %bb.2214:                             ;   in Loop: Header=BB6_357 Depth=4
	s_or_b64 exec, exec, s[38:39]
	v_add_u32_e32 v2, 0xffffff81, v39
	v_mov_b32_e32 v28, 0xffffff82
	v_cndmask_b32_e32 v2, v2, v28, vcc
	v_lshrrev_b32_e32 v28, 23, v0
	v_add3_u32 v48, v48, v2, v28
	v_add_u32_e32 v39, 14, v48
	v_and_b32_e32 v1, 0x1fffff, v1
	v_add_u32_e32 v33, v1, v0
	v_cmp_ne_u32_e32 vcc, 0, v39
                                        ; implicit-def: $vgpr0_vgpr1
                                        ; implicit-def: $vgpr2
	s_and_saveexec_b64 s[28:29], vcc
	s_xor_b64 s[28:29], exec, s[28:29]
; %bb.2215:                             ;   in Loop: Header=BB6_357 Depth=4
	v_cmp_lt_u64_e32 vcc, s[88:89], v[33:34]
	v_add_u32_e32 v0, 15, v48
	v_cndmask_b32_e32 v2, v39, v0, vcc
	v_cndmask_b32_e64 v0, 0, 1, vcc
	v_lshrrev_b64 v[0:1], v0, v[33:34]
; %bb.2216:                             ;   in Loop: Header=BB6_357 Depth=4
	s_andn2_saveexec_b64 s[28:29], s[28:29]
; %bb.2217:                             ;   in Loop: Header=BB6_357 Depth=4
	v_mov_b32_e32 v0, v33
	v_mov_b32_e32 v1, v34
	v_bfe_u32 v2, v33, 23, 1
; %bb.2218:                             ;   in Loop: Header=BB6_357 Depth=4
	s_or_b64 exec, exec, s[28:29]
	v_lshrrev_b64 v[0:1], 21, v[0:1]
	v_cmp_gt_i32_e32 vcc, 32, v2
	v_cndmask_b32_e32 v1, 0, v1, vcc
	v_cndmask_b32_e32 v0, 3, v0, vcc
	v_cmp_eq_u64_e64 s[28:29], 0, v[0:1]
	v_min_i32_e32 v1, 31, v2
	v_lshlrev_b32_e32 v1, 2, v1
	v_cmp_eq_u32_e32 vcc, 0, v2
	v_and_b32_e32 v1, 0xfc, v1
	v_and_or_b32 v0, v0, 3, v1
	s_and_b64 s[28:29], vcc, s[28:29]
	v_cndmask_b32_e64 v0, v0, 0, s[28:29]
	v_or_b32_e32 v48, v0, v38
.LBB6_2219:                             ;   in Loop: Header=BB6_357 Depth=4
	s_or_b64 exec, exec, s[36:37]
                                        ; implicit-def: $vgpr38
.LBB6_2220:                             ;   in Loop: Header=BB6_357 Depth=4
	s_andn2_saveexec_b64 s[28:29], s[34:35]
; %bb.2221:                             ;   in Loop: Header=BB6_357 Depth=4
	v_or_b32_e32 v48, 0x7b, v38
; %bb.2222:                             ;   in Loop: Header=BB6_357 Depth=4
	s_or_b64 exec, exec, s[28:29]
                                        ; implicit-def: $vgpr0
.LBB6_2223:                             ;   in Loop: Header=BB6_357 Depth=4
	s_andn2_saveexec_b64 s[28:29], s[30:31]
	s_cbranch_execz .LBB6_2229
; %bb.2224:                             ;   in Loop: Header=BB6_357 Depth=4
	v_cmp_ne_u64_e32 vcc, 0, v[33:34]
                                        ; implicit-def: $vgpr48
	s_and_saveexec_b64 s[30:31], vcc
	s_xor_b64 vcc, exec, s[30:31]
; %bb.2225:                             ;   in Loop: Header=BB6_357 Depth=4
	v_or_b32_sdwa v48, v0, s83 dst_sel:DWORD dst_unused:UNUSED_PAD src0_sel:BYTE_3 src1_sel:DWORD
                                        ; implicit-def: $vgpr0
; %bb.2226:                             ;   in Loop: Header=BB6_357 Depth=4
	s_andn2_saveexec_b64 s[30:31], vcc
; %bb.2227:                             ;   in Loop: Header=BB6_357 Depth=4
	v_cmp_lt_i32_e32 vcc, -1, v0
	v_bfrev_b32_e32 v0, 0.5
	v_mov_b32_e32 v1, 0x7c
	v_cndmask_b32_e32 v48, v0, v1, vcc
; %bb.2228:                             ;   in Loop: Header=BB6_357 Depth=4
	s_or_b64 exec, exec, s[30:31]
.LBB6_2229:                             ;   in Loop: Header=BB6_357 Depth=4
	s_or_b64 exec, exec, s[28:29]
	v_mov_b32_e32 v33, v13
	v_cmp_ne_u16_sdwa vcc, v13, v34 src0_sel:BYTE_0 src1_sel:DWORD
	v_mov_b32_e32 v1, 0
	v_mov_b32_e32 v0, 0
	s_and_saveexec_b64 s[28:29], vcc
	s_cbranch_execz .LBB6_2237
; %bb.2230:                             ;   in Loop: Header=BB6_357 Depth=4
	v_cmp_ne_u16_sdwa vcc, v13, s44 src0_sel:BYTE_0 src1_sel:DWORD
	v_bfrev_b32_e32 v0, 1
	s_and_saveexec_b64 s[30:31], vcc
	s_cbranch_execz .LBB6_2236
; %bb.2231:                             ;   in Loop: Header=BB6_357 Depth=4
	v_and_b32_e32 v0, 0x7c, v13
	v_and_b32_e32 v2, 3, v13
	v_cmp_ne_u32_e32 vcc, s81, v0
                                        ; implicit-def: $vgpr0
	s_and_saveexec_b64 s[34:35], vcc
	s_xor_b64 s[34:35], exec, s[34:35]
	s_cbranch_execz .LBB6_2233
; %bb.2232:                             ;   in Loop: Header=BB6_357 Depth=4
	v_ffbh_u32_e32 v28, v2
	v_min_u32_e32 v28, 32, v28
	v_bfe_u32 v0, v13, 2, 5
	v_subrev_u32_e32 v29, 29, v28
	v_lshlrev_b64 v[38:39], v29, v[33:34]
	v_sub_u32_e32 v28, 30, v28
	v_cmp_eq_u32_e32 vcc, 0, v0
	v_cndmask_b32_e32 v0, v0, v28, vcc
	v_lshlrev_b32_e32 v28, 24, v13
	v_and_b32_e32 v29, 3, v38
	v_and_b32_e32 v28, 0x80000000, v28
	v_cndmask_b32_e32 v2, v2, v29, vcc
	v_lshl_add_u32 v0, v0, 23, v28
	v_lshl_or_b32 v0, v2, 21, v0
	v_add_u32_e32 v0, 0x38000000, v0
                                        ; implicit-def: $vgpr2
.LBB6_2233:                             ;   in Loop: Header=BB6_357 Depth=4
	s_andn2_saveexec_b64 s[34:35], s[34:35]
; %bb.2234:                             ;   in Loop: Header=BB6_357 Depth=4
	v_mov_b32_e32 v0, -1
	v_cmp_gt_i16_sdwa vcc, sext(v13), v0 src0_sel:BYTE_0 src1_sel:DWORD
	v_mov_b32_e32 v0, 0xff800000
	v_mov_b32_e32 v28, 0x7f800000
	v_cndmask_b32_e32 v0, v0, v28, vcc
	v_cmp_eq_u32_e32 vcc, 0, v2
	v_mov_b32_e32 v2, 0x7f800001
	v_cndmask_b32_e32 v0, v2, v0, vcc
; %bb.2235:                             ;   in Loop: Header=BB6_357 Depth=4
	s_or_b64 exec, exec, s[34:35]
.LBB6_2236:                             ;   in Loop: Header=BB6_357 Depth=4
	s_or_b64 exec, exec, s[30:31]
.LBB6_2237:                             ;   in Loop: Header=BB6_357 Depth=4
	s_or_b64 exec, exec, s[28:29]
	v_cmp_ne_u16_sdwa vcc, v9, v34 src0_sel:BYTE_0 src1_sel:DWORD
	s_and_saveexec_b64 s[28:29], vcc
	s_cbranch_execz .LBB6_2245
; %bb.2238:                             ;   in Loop: Header=BB6_357 Depth=4
	v_cmp_ne_u16_sdwa vcc, v9, s44 src0_sel:BYTE_0 src1_sel:DWORD
	v_bfrev_b32_e32 v1, 1
	s_and_saveexec_b64 s[30:31], vcc
	s_cbranch_execz .LBB6_2244
; %bb.2239:                             ;   in Loop: Header=BB6_357 Depth=4
	v_and_b32_e32 v1, 0x7c, v9
	v_and_b32_e32 v2, 3, v9
	v_cmp_ne_u32_e32 vcc, s81, v1
                                        ; implicit-def: $vgpr1
	s_and_saveexec_b64 s[34:35], vcc
	s_xor_b64 s[34:35], exec, s[34:35]
	s_cbranch_execz .LBB6_2241
; %bb.2240:                             ;   in Loop: Header=BB6_357 Depth=4
	v_ffbh_u32_e32 v28, v2
	v_min_u32_e32 v28, 32, v28
	v_mov_b32_e32 v38, v9
	v_mov_b32_e32 v39, v34
	v_bfe_u32 v1, v9, 2, 5
	v_subrev_u32_e32 v29, 29, v28
	v_lshlrev_b64 v[38:39], v29, v[38:39]
	v_sub_u32_e32 v28, 30, v28
	v_cmp_eq_u32_e32 vcc, 0, v1
	v_cndmask_b32_e32 v1, v1, v28, vcc
	v_lshlrev_b32_e32 v28, 24, v9
	v_and_b32_e32 v29, 3, v38
	v_and_b32_e32 v28, 0x80000000, v28
	v_cndmask_b32_e32 v2, v2, v29, vcc
	v_lshl_add_u32 v1, v1, 23, v28
	v_lshl_or_b32 v1, v2, 21, v1
	v_add_u32_e32 v1, 0x38000000, v1
                                        ; implicit-def: $vgpr2
.LBB6_2241:                             ;   in Loop: Header=BB6_357 Depth=4
	s_andn2_saveexec_b64 s[34:35], s[34:35]
; %bb.2242:                             ;   in Loop: Header=BB6_357 Depth=4
	v_mov_b32_e32 v1, -1
	v_cmp_gt_i16_sdwa vcc, sext(v9), v1 src0_sel:BYTE_0 src1_sel:DWORD
	v_mov_b32_e32 v1, 0xff800000
	v_mov_b32_e32 v28, 0x7f800000
	v_cndmask_b32_e32 v1, v1, v28, vcc
	v_cmp_eq_u32_e32 vcc, 0, v2
	v_mov_b32_e32 v2, 0x7f800001
	v_cndmask_b32_e32 v1, v2, v1, vcc
; %bb.2243:                             ;   in Loop: Header=BB6_357 Depth=4
	s_or_b64 exec, exec, s[34:35]
.LBB6_2244:                             ;   in Loop: Header=BB6_357 Depth=4
	s_or_b64 exec, exec, s[30:31]
.LBB6_2245:                             ;   in Loop: Header=BB6_357 Depth=4
	s_or_b64 exec, exec, s[28:29]
	v_mul_f32_e32 v2, v0, v1
	v_and_b32_e32 v38, 0x7f800000, v2
	v_mov_b32_e32 v39, v34
	v_cmp_ne_u64_e32 vcc, s[76:77], v[38:39]
	v_and_b32_e32 v0, 0x7fffff, v2
	v_mov_b32_e32 v1, v34
                                        ; implicit-def: $vgpr49
	s_and_saveexec_b64 s[28:29], vcc
	s_xor_b64 s[30:31], exec, s[28:29]
	s_cbranch_execz .LBB6_2259
; %bb.2246:                             ;   in Loop: Header=BB6_357 Depth=4
	v_and_b32_e32 v38, 0x7fffffff, v2
	v_mov_b32_e32 v39, v34
	v_cmp_gt_u64_e32 vcc, s[78:79], v[38:39]
	v_and_b32_sdwa v38, v2, s44 dst_sel:DWORD dst_unused:UNUSED_PAD src0_sel:BYTE_3 src1_sel:DWORD
                                        ; implicit-def: $vgpr49
	s_and_saveexec_b64 s[28:29], vcc
	s_xor_b64 s[34:35], exec, s[28:29]
	s_cbranch_execz .LBB6_2256
; %bb.2247:                             ;   in Loop: Header=BB6_357 Depth=4
	v_mov_b32_e32 v49, 0
	v_cmp_ne_u32_e32 vcc, 0, v2
	s_and_saveexec_b64 s[36:37], vcc
	s_cbranch_execz .LBB6_2255
; %bb.2248:                             ;   in Loop: Header=BB6_357 Depth=4
	v_bfe_u32 v39, v2, 23, 8
	v_cmp_gt_u32_e64 s[28:29], s45, v39
	v_sub_u32_e32 v2, 0x71, v39
	v_cmp_eq_u32_e32 vcc, 0, v39
	v_cndmask_b32_e64 v2, 0, v2, s[28:29]
	v_mov_b32_e32 v29, 0x70
	v_cndmask_b32_e32 v49, v2, v29, vcc
	v_add_u32_e32 v2, 21, v49
	v_or_b32_e32 v28, 0x800000, v0
	v_lshlrev_b64 v[50:51], v2, -1
	v_cndmask_b32_e32 v0, v28, v0, vcc
	v_add_u32_e32 v2, 20, v49
	v_bfi_b32 v50, v50, 0, v0
	v_lshlrev_b64 v[46:47], v2, 1
	v_lshrrev_b64 v[0:1], v49, v[0:1]
	v_bfi_b32 v51, v51, 0, 0
	v_cmp_eq_u64_e64 s[28:29], v[50:51], v[46:47]
	v_mov_b32_e32 v2, v1
	v_mov_b32_e32 v1, v0
	s_and_saveexec_b64 s[38:39], s[28:29]
; %bb.2249:                             ;   in Loop: Header=BB6_357 Depth=4
	v_bfe_u32 v1, v0, 21, 1
	v_add_co_u32_e64 v1, s[28:29], v0, v1
	v_add_co_u32_e64 v1, s[28:29], -1, v1
; %bb.2250:                             ;   in Loop: Header=BB6_357 Depth=4
	s_or_b64 exec, exec, s[38:39]
	v_add_u32_e32 v2, 0xffffff81, v39
	v_mov_b32_e32 v28, 0xffffff82
	v_cndmask_b32_e32 v2, v2, v28, vcc
	v_lshrrev_b32_e32 v28, 23, v0
	v_add3_u32 v49, v49, v2, v28
	v_add_u32_e32 v39, 14, v49
	v_and_b32_e32 v1, 0x1fffff, v1
	v_add_u32_e32 v0, v1, v0
	v_mov_b32_e32 v1, v34
	v_cmp_ne_u32_e32 vcc, 0, v39
                                        ; implicit-def: $vgpr2
	s_and_saveexec_b64 s[28:29], vcc
	s_xor_b64 s[28:29], exec, s[28:29]
; %bb.2251:                             ;   in Loop: Header=BB6_357 Depth=4
	v_cmp_lt_u64_e32 vcc, s[88:89], v[0:1]
	v_add_u32_e32 v2, 15, v49
	v_cndmask_b32_e64 v28, 0, 1, vcc
	v_lshrrev_b64 v[0:1], v28, v[0:1]
	v_cndmask_b32_e32 v2, v39, v2, vcc
; %bb.2252:                             ;   in Loop: Header=BB6_357 Depth=4
	s_andn2_saveexec_b64 s[28:29], s[28:29]
; %bb.2253:                             ;   in Loop: Header=BB6_357 Depth=4
	v_bfe_u32 v2, v0, 23, 1
; %bb.2254:                             ;   in Loop: Header=BB6_357 Depth=4
	s_or_b64 exec, exec, s[28:29]
	v_lshrrev_b64 v[0:1], 21, v[0:1]
	v_cmp_gt_i32_e32 vcc, 32, v2
	v_cndmask_b32_e32 v1, 0, v1, vcc
	v_cndmask_b32_e32 v0, 3, v0, vcc
	v_cmp_eq_u64_e64 s[28:29], 0, v[0:1]
	v_min_i32_e32 v1, 31, v2
	v_lshlrev_b32_e32 v1, 2, v1
	v_cmp_eq_u32_e32 vcc, 0, v2
	v_and_b32_e32 v1, 0xfc, v1
	v_and_or_b32 v0, v0, 3, v1
	s_and_b64 s[28:29], vcc, s[28:29]
	v_cndmask_b32_e64 v0, v0, 0, s[28:29]
	v_or_b32_e32 v49, v0, v38
.LBB6_2255:                             ;   in Loop: Header=BB6_357 Depth=4
	s_or_b64 exec, exec, s[36:37]
                                        ; implicit-def: $vgpr38
.LBB6_2256:                             ;   in Loop: Header=BB6_357 Depth=4
	s_andn2_saveexec_b64 s[28:29], s[34:35]
; %bb.2257:                             ;   in Loop: Header=BB6_357 Depth=4
	v_or_b32_e32 v49, 0x7b, v38
; %bb.2258:                             ;   in Loop: Header=BB6_357 Depth=4
	s_or_b64 exec, exec, s[28:29]
                                        ; implicit-def: $vgpr2
                                        ; implicit-def: $vgpr0_vgpr1
.LBB6_2259:                             ;   in Loop: Header=BB6_357 Depth=4
	s_andn2_saveexec_b64 s[28:29], s[30:31]
	s_cbranch_execz .LBB6_2265
; %bb.2260:                             ;   in Loop: Header=BB6_357 Depth=4
	v_cmp_ne_u64_e32 vcc, 0, v[0:1]
                                        ; implicit-def: $vgpr49
	s_and_saveexec_b64 s[30:31], vcc
	s_xor_b64 vcc, exec, s[30:31]
; %bb.2261:                             ;   in Loop: Header=BB6_357 Depth=4
	v_or_b32_sdwa v49, v2, s83 dst_sel:DWORD dst_unused:UNUSED_PAD src0_sel:BYTE_3 src1_sel:DWORD
                                        ; implicit-def: $vgpr2
; %bb.2262:                             ;   in Loop: Header=BB6_357 Depth=4
	s_andn2_saveexec_b64 s[30:31], vcc
; %bb.2263:                             ;   in Loop: Header=BB6_357 Depth=4
	v_cmp_lt_i32_e32 vcc, -1, v2
	v_bfrev_b32_e32 v0, 0.5
	v_mov_b32_e32 v1, 0x7c
	v_cndmask_b32_e32 v49, v0, v1, vcc
; %bb.2264:                             ;   in Loop: Header=BB6_357 Depth=4
	s_or_b64 exec, exec, s[30:31]
.LBB6_2265:                             ;   in Loop: Header=BB6_357 Depth=4
	s_or_b64 exec, exec, s[28:29]
	v_lshrrev_b16_e32 v0, 8, v33
	v_cmp_ne_u16_e32 vcc, 0, v0
	v_mov_b32_e32 v2, 0
	v_mov_b32_e32 v38, 0
	s_and_saveexec_b64 s[28:29], vcc
	s_cbranch_execz .LBB6_2273
; %bb.2266:                             ;   in Loop: Header=BB6_357 Depth=4
	v_cmp_ne_u16_e32 vcc, s44, v0
	v_bfrev_b32_e32 v38, 1
	s_and_saveexec_b64 s[30:31], vcc
	s_cbranch_execz .LBB6_2272
; %bb.2267:                             ;   in Loop: Header=BB6_357 Depth=4
	v_and_b32_e32 v1, 0x7c, v0
	v_and_b32_e32 v39, 3, v0
	v_cmp_ne_u32_e32 vcc, s81, v1
                                        ; implicit-def: $vgpr38
	s_and_saveexec_b64 s[34:35], vcc
	s_xor_b64 s[34:35], exec, s[34:35]
	s_cbranch_execz .LBB6_2269
; %bb.2268:                             ;   in Loop: Header=BB6_357 Depth=4
	v_ffbh_u32_e32 v29, v39
	v_min_u32_e32 v29, 32, v29
	v_mov_b32_e32 v1, v34
	v_subrev_u32_e32 v32, 29, v29
	v_bfe_u32 v28, v0, 2, 5
	v_lshlrev_b64 v[0:1], v32, v[0:1]
	v_sub_u32_e32 v1, 30, v29
	v_cmp_eq_u32_e32 vcc, 0, v28
	v_cndmask_b32_e32 v1, v28, v1, vcc
	v_lshlrev_b32_e32 v28, 16, v33
	v_and_b32_e32 v0, 3, v0
	v_and_b32_e32 v28, 0x80000000, v28
	v_cndmask_b32_e32 v0, v39, v0, vcc
	v_lshl_add_u32 v1, v1, 23, v28
	v_lshl_or_b32 v0, v0, 21, v1
	v_add_u32_e32 v38, 0x38000000, v0
                                        ; implicit-def: $vgpr39
.LBB6_2269:                             ;   in Loop: Header=BB6_357 Depth=4
	s_andn2_saveexec_b64 s[34:35], s[34:35]
; %bb.2270:                             ;   in Loop: Header=BB6_357 Depth=4
	v_cmp_lt_i16_e32 vcc, -1, v33
	v_mov_b32_e32 v0, 0xff800000
	v_mov_b32_e32 v1, 0x7f800000
	v_cndmask_b32_e32 v0, v0, v1, vcc
	v_cmp_eq_u32_e32 vcc, 0, v39
	v_mov_b32_e32 v1, 0x7f800001
	v_cndmask_b32_e32 v38, v1, v0, vcc
; %bb.2271:                             ;   in Loop: Header=BB6_357 Depth=4
	s_or_b64 exec, exec, s[34:35]
.LBB6_2272:                             ;   in Loop: Header=BB6_357 Depth=4
	s_or_b64 exec, exec, s[30:31]
.LBB6_2273:                             ;   in Loop: Header=BB6_357 Depth=4
	s_or_b64 exec, exec, s[28:29]
	v_lshrrev_b16_e32 v0, 8, v9
	v_cmp_ne_u16_e32 vcc, 0, v0
	s_and_saveexec_b64 s[28:29], vcc
	s_cbranch_execz .LBB6_2281
; %bb.2274:                             ;   in Loop: Header=BB6_357 Depth=4
	v_cmp_ne_u16_e32 vcc, s44, v0
	v_bfrev_b32_e32 v2, 1
	s_and_saveexec_b64 s[30:31], vcc
	s_cbranch_execz .LBB6_2280
; %bb.2275:                             ;   in Loop: Header=BB6_357 Depth=4
	v_and_b32_e32 v1, 0x7c, v0
	v_and_b32_e32 v33, 3, v0
	v_cmp_ne_u32_e32 vcc, s81, v1
                                        ; implicit-def: $vgpr2
	s_and_saveexec_b64 s[34:35], vcc
	s_xor_b64 s[34:35], exec, s[34:35]
	s_cbranch_execz .LBB6_2277
; %bb.2276:                             ;   in Loop: Header=BB6_357 Depth=4
	v_ffbh_u32_e32 v28, v33
	v_min_u32_e32 v28, 32, v28
	v_mov_b32_e32 v1, v34
	v_subrev_u32_e32 v29, 29, v28
	v_bfe_u32 v2, v0, 2, 5
	v_lshlrev_b64 v[0:1], v29, v[0:1]
	v_sub_u32_e32 v1, 30, v28
	v_cmp_eq_u32_e32 vcc, 0, v2
	v_cndmask_b32_e32 v1, v2, v1, vcc
	v_lshlrev_b32_e32 v2, 16, v9
	v_and_b32_e32 v0, 3, v0
	v_and_b32_e32 v2, 0x80000000, v2
	v_cndmask_b32_e32 v0, v33, v0, vcc
	v_lshl_add_u32 v1, v1, 23, v2
	v_lshl_or_b32 v0, v0, 21, v1
	v_add_u32_e32 v2, 0x38000000, v0
                                        ; implicit-def: $vgpr33
.LBB6_2277:                             ;   in Loop: Header=BB6_357 Depth=4
	s_andn2_saveexec_b64 s[34:35], s[34:35]
; %bb.2278:                             ;   in Loop: Header=BB6_357 Depth=4
	v_cmp_lt_i16_e32 vcc, -1, v9
	v_mov_b32_e32 v0, 0xff800000
	v_mov_b32_e32 v1, 0x7f800000
	v_cndmask_b32_e32 v0, v0, v1, vcc
	v_cmp_eq_u32_e32 vcc, 0, v33
	v_mov_b32_e32 v1, 0x7f800001
	v_cndmask_b32_e32 v2, v1, v0, vcc
; %bb.2279:                             ;   in Loop: Header=BB6_357 Depth=4
	s_or_b64 exec, exec, s[34:35]
.LBB6_2280:                             ;   in Loop: Header=BB6_357 Depth=4
	s_or_b64 exec, exec, s[30:31]
.LBB6_2281:                             ;   in Loop: Header=BB6_357 Depth=4
	s_or_b64 exec, exec, s[28:29]
	v_mul_f32_e32 v0, v38, v2
	v_and_b32_e32 v1, 0x7f800000, v0
	v_mov_b32_e32 v2, v34
	v_cmp_ne_u64_e32 vcc, s[76:77], v[1:2]
	v_and_b32_e32 v33, 0x7fffff, v0
                                        ; implicit-def: $vgpr46
	s_and_saveexec_b64 s[28:29], vcc
	s_xor_b64 s[30:31], exec, s[28:29]
	s_cbranch_execz .LBB6_2295
; %bb.2282:                             ;   in Loop: Header=BB6_357 Depth=4
	v_and_b32_e32 v1, 0x7fffffff, v0
	v_mov_b32_e32 v2, v34
	v_cmp_gt_u64_e32 vcc, s[78:79], v[1:2]
	v_and_b32_sdwa v38, v0, s44 dst_sel:DWORD dst_unused:UNUSED_PAD src0_sel:BYTE_3 src1_sel:DWORD
                                        ; implicit-def: $vgpr46
	s_and_saveexec_b64 s[28:29], vcc
	s_xor_b64 s[34:35], exec, s[28:29]
	s_cbranch_execz .LBB6_2292
; %bb.2283:                             ;   in Loop: Header=BB6_357 Depth=4
	v_mov_b32_e32 v46, 0
	v_cmp_ne_u32_e32 vcc, 0, v0
	s_and_saveexec_b64 s[36:37], vcc
	s_cbranch_execz .LBB6_2291
; %bb.2284:                             ;   in Loop: Header=BB6_357 Depth=4
	v_bfe_u32 v39, v0, 23, 8
	v_cmp_gt_u32_e64 s[28:29], s45, v39
	v_sub_u32_e32 v0, 0x71, v39
	v_cmp_eq_u32_e32 vcc, 0, v39
	v_cndmask_b32_e64 v0, 0, v0, s[28:29]
	v_mov_b32_e32 v2, 0x70
	v_cndmask_b32_e32 v50, v0, v2, vcc
	v_add_u32_e32 v2, 21, v50
	v_or_b32_e32 v1, 0x800000, v33
	v_lshlrev_b64 v[46:47], v2, -1
	v_cndmask_b32_e32 v0, v1, v33, vcc
	v_mov_b32_e32 v1, v34
	v_add_u32_e32 v2, 20, v50
	v_bfi_b32 v46, v46, 0, v0
	v_lshlrev_b64 v[56:57], v2, 1
	v_lshrrev_b64 v[0:1], v50, v[0:1]
	v_bfi_b32 v47, v47, 0, 0
	v_cmp_eq_u64_e64 s[28:29], v[46:47], v[56:57]
	v_mov_b32_e32 v2, v1
	v_mov_b32_e32 v1, v0
	s_and_saveexec_b64 s[38:39], s[28:29]
; %bb.2285:                             ;   in Loop: Header=BB6_357 Depth=4
	v_bfe_u32 v1, v0, 21, 1
	v_add_co_u32_e64 v1, s[28:29], v0, v1
	v_add_co_u32_e64 v1, s[28:29], -1, v1
; %bb.2286:                             ;   in Loop: Header=BB6_357 Depth=4
	s_or_b64 exec, exec, s[38:39]
	v_add_u32_e32 v2, 0xffffff81, v39
	v_mov_b32_e32 v28, 0xffffff82
	v_cndmask_b32_e32 v2, v2, v28, vcc
	v_lshrrev_b32_e32 v28, 23, v0
	v_add3_u32 v50, v50, v2, v28
	v_add_u32_e32 v39, 14, v50
	v_and_b32_e32 v1, 0x1fffff, v1
	v_add_u32_e32 v33, v1, v0
	v_cmp_ne_u32_e32 vcc, 0, v39
                                        ; implicit-def: $vgpr0_vgpr1
                                        ; implicit-def: $vgpr2
	s_and_saveexec_b64 s[28:29], vcc
	s_xor_b64 s[28:29], exec, s[28:29]
; %bb.2287:                             ;   in Loop: Header=BB6_357 Depth=4
	v_cmp_lt_u64_e32 vcc, s[88:89], v[33:34]
	v_add_u32_e32 v0, 15, v50
	v_cndmask_b32_e32 v2, v39, v0, vcc
	v_cndmask_b32_e64 v0, 0, 1, vcc
	v_lshrrev_b64 v[0:1], v0, v[33:34]
; %bb.2288:                             ;   in Loop: Header=BB6_357 Depth=4
	s_andn2_saveexec_b64 s[28:29], s[28:29]
; %bb.2289:                             ;   in Loop: Header=BB6_357 Depth=4
	v_mov_b32_e32 v0, v33
	v_mov_b32_e32 v1, v34
	v_bfe_u32 v2, v33, 23, 1
; %bb.2290:                             ;   in Loop: Header=BB6_357 Depth=4
	s_or_b64 exec, exec, s[28:29]
	v_lshrrev_b64 v[0:1], 21, v[0:1]
	v_cmp_gt_i32_e32 vcc, 32, v2
	v_cndmask_b32_e32 v1, 0, v1, vcc
	v_cndmask_b32_e32 v0, 3, v0, vcc
	v_cmp_eq_u64_e64 s[28:29], 0, v[0:1]
	v_min_i32_e32 v1, 31, v2
	v_lshlrev_b32_e32 v1, 2, v1
	v_cmp_eq_u32_e32 vcc, 0, v2
	v_and_b32_e32 v1, 0xfc, v1
	v_and_or_b32 v0, v0, 3, v1
	s_and_b64 s[28:29], vcc, s[28:29]
	v_cndmask_b32_e64 v0, v0, 0, s[28:29]
	v_or_b32_e32 v46, v0, v38
.LBB6_2291:                             ;   in Loop: Header=BB6_357 Depth=4
	s_or_b64 exec, exec, s[36:37]
                                        ; implicit-def: $vgpr38
.LBB6_2292:                             ;   in Loop: Header=BB6_357 Depth=4
	s_andn2_saveexec_b64 s[28:29], s[34:35]
; %bb.2293:                             ;   in Loop: Header=BB6_357 Depth=4
	v_or_b32_e32 v46, 0x7b, v38
; %bb.2294:                             ;   in Loop: Header=BB6_357 Depth=4
	s_or_b64 exec, exec, s[28:29]
                                        ; implicit-def: $vgpr0
.LBB6_2295:                             ;   in Loop: Header=BB6_357 Depth=4
	s_andn2_saveexec_b64 s[28:29], s[30:31]
	s_cbranch_execz .LBB6_2301
; %bb.2296:                             ;   in Loop: Header=BB6_357 Depth=4
	v_cmp_ne_u64_e32 vcc, 0, v[33:34]
                                        ; implicit-def: $vgpr46
	s_and_saveexec_b64 s[30:31], vcc
	s_xor_b64 vcc, exec, s[30:31]
; %bb.2297:                             ;   in Loop: Header=BB6_357 Depth=4
	v_or_b32_sdwa v46, v0, s83 dst_sel:DWORD dst_unused:UNUSED_PAD src0_sel:BYTE_3 src1_sel:DWORD
                                        ; implicit-def: $vgpr0
; %bb.2298:                             ;   in Loop: Header=BB6_357 Depth=4
	s_andn2_saveexec_b64 s[30:31], vcc
; %bb.2299:                             ;   in Loop: Header=BB6_357 Depth=4
	v_cmp_lt_i32_e32 vcc, -1, v0
	v_bfrev_b32_e32 v0, 0.5
	v_mov_b32_e32 v1, 0x7c
	v_cndmask_b32_e32 v46, v0, v1, vcc
; %bb.2300:                             ;   in Loop: Header=BB6_357 Depth=4
	s_or_b64 exec, exec, s[30:31]
.LBB6_2301:                             ;   in Loop: Header=BB6_357 Depth=4
	s_or_b64 exec, exec, s[28:29]
	v_lshrrev_b32_e32 v0, 16, v13
	v_cmp_ne_u16_sdwa vcc, v0, v34 src0_sel:BYTE_0 src1_sel:DWORD
	v_mov_b32_e32 v1, 0
	v_mov_b32_e32 v2, 0
	s_and_saveexec_b64 s[28:29], vcc
	s_cbranch_execz .LBB6_2309
; %bb.2302:                             ;   in Loop: Header=BB6_357 Depth=4
	v_cmp_ne_u16_sdwa vcc, v0, s44 src0_sel:BYTE_0 src1_sel:DWORD
	v_bfrev_b32_e32 v2, 1
	s_and_saveexec_b64 s[30:31], vcc
	s_cbranch_execz .LBB6_2308
; %bb.2303:                             ;   in Loop: Header=BB6_357 Depth=4
	v_and_b32_e32 v2, 0x7c0000, v13
	v_bfe_u32 v33, v13, 16, 2
	v_cmp_ne_u32_e32 vcc, s9, v2
                                        ; implicit-def: $vgpr2
	s_and_saveexec_b64 s[34:35], vcc
	s_xor_b64 s[34:35], exec, s[34:35]
	s_cbranch_execz .LBB6_2305
; %bb.2304:                             ;   in Loop: Header=BB6_357 Depth=4
	v_ffbh_u32_e32 v28, v33
	v_min_u32_e32 v28, 32, v28
	v_subrev_u32_e32 v29, 29, v28
	v_lshlrev_b64 v[38:39], v29, v[0:1]
	v_bfe_u32 v2, v13, 18, 5
	v_sub_u32_e32 v0, 30, v28
	v_and_b32_e32 v28, 3, v38
	v_cmp_eq_u32_e32 vcc, 0, v2
	v_cndmask_b32_e32 v0, v2, v0, vcc
	v_cndmask_b32_e32 v2, v33, v28, vcc
	v_lshlrev_b32_e32 v28, 8, v13
	v_and_b32_e32 v28, 0x80000000, v28
	v_lshl_add_u32 v0, v0, 23, v28
	v_lshl_or_b32 v0, v2, 21, v0
	v_add_u32_e32 v2, 0x38000000, v0
                                        ; implicit-def: $vgpr33
                                        ; implicit-def: $vgpr0
.LBB6_2305:                             ;   in Loop: Header=BB6_357 Depth=4
	s_andn2_saveexec_b64 s[34:35], s[34:35]
; %bb.2306:                             ;   in Loop: Header=BB6_357 Depth=4
	v_mov_b32_e32 v2, -1
	v_cmp_gt_i16_sdwa vcc, sext(v0), v2 src0_sel:BYTE_0 src1_sel:DWORD
	v_mov_b32_e32 v0, 0xff800000
	v_mov_b32_e32 v2, 0x7f800000
	v_cndmask_b32_e32 v0, v0, v2, vcc
	v_cmp_eq_u32_e32 vcc, 0, v33
	v_mov_b32_e32 v2, 0x7f800001
	v_cndmask_b32_e32 v2, v2, v0, vcc
; %bb.2307:                             ;   in Loop: Header=BB6_357 Depth=4
	s_or_b64 exec, exec, s[34:35]
.LBB6_2308:                             ;   in Loop: Header=BB6_357 Depth=4
	s_or_b64 exec, exec, s[30:31]
.LBB6_2309:                             ;   in Loop: Header=BB6_357 Depth=4
	s_or_b64 exec, exec, s[28:29]
	v_lshrrev_b32_e32 v0, 16, v9
	v_cmp_ne_u16_sdwa vcc, v0, v34 src0_sel:BYTE_0 src1_sel:DWORD
	s_and_saveexec_b64 s[28:29], vcc
	s_cbranch_execz .LBB6_2317
; %bb.2310:                             ;   in Loop: Header=BB6_357 Depth=4
	v_cmp_ne_u16_sdwa vcc, v0, s44 src0_sel:BYTE_0 src1_sel:DWORD
	v_bfrev_b32_e32 v1, 1
	s_and_saveexec_b64 s[30:31], vcc
	s_cbranch_execz .LBB6_2316
; %bb.2311:                             ;   in Loop: Header=BB6_357 Depth=4
	v_and_b32_e32 v1, 0x7c0000, v9
	v_bfe_u32 v33, v9, 16, 2
	v_cmp_ne_u32_e32 vcc, s9, v1
                                        ; implicit-def: $vgpr1
	s_and_saveexec_b64 s[34:35], vcc
	s_xor_b64 s[34:35], exec, s[34:35]
	s_cbranch_execz .LBB6_2313
; %bb.2312:                             ;   in Loop: Header=BB6_357 Depth=4
	v_ffbh_u32_e32 v1, v33
	v_min_u32_e32 v29, 32, v1
	v_subrev_u32_e32 v1, 29, v29
	v_bfe_u32 v28, v9, 18, 5
	v_lshlrev_b64 v[0:1], v1, v[0:1]
	v_sub_u32_e32 v1, 30, v29
	v_cmp_eq_u32_e32 vcc, 0, v28
	v_cndmask_b32_e32 v1, v28, v1, vcc
	v_lshlrev_b32_e32 v28, 8, v9
	v_and_b32_e32 v0, 3, v0
	v_and_b32_e32 v28, 0x80000000, v28
	v_cndmask_b32_e32 v0, v33, v0, vcc
	v_lshl_add_u32 v1, v1, 23, v28
	v_lshl_or_b32 v0, v0, 21, v1
	v_add_u32_e32 v1, 0x38000000, v0
                                        ; implicit-def: $vgpr33
                                        ; implicit-def: $vgpr0
.LBB6_2313:                             ;   in Loop: Header=BB6_357 Depth=4
	s_andn2_saveexec_b64 s[34:35], s[34:35]
; %bb.2314:                             ;   in Loop: Header=BB6_357 Depth=4
	v_mov_b32_e32 v1, -1
	v_cmp_gt_i16_sdwa vcc, sext(v0), v1 src0_sel:BYTE_0 src1_sel:DWORD
	v_mov_b32_e32 v0, 0xff800000
	v_mov_b32_e32 v1, 0x7f800000
	v_cndmask_b32_e32 v0, v0, v1, vcc
	v_cmp_eq_u32_e32 vcc, 0, v33
	v_mov_b32_e32 v1, 0x7f800001
	v_cndmask_b32_e32 v1, v1, v0, vcc
; %bb.2315:                             ;   in Loop: Header=BB6_357 Depth=4
	s_or_b64 exec, exec, s[34:35]
.LBB6_2316:                             ;   in Loop: Header=BB6_357 Depth=4
	s_or_b64 exec, exec, s[30:31]
.LBB6_2317:                             ;   in Loop: Header=BB6_357 Depth=4
	s_or_b64 exec, exec, s[28:29]
	v_mul_f32_e32 v0, v2, v1
	v_and_b32_e32 v1, 0x7f800000, v0
	v_mov_b32_e32 v2, v34
	v_cmp_ne_u64_e32 vcc, s[76:77], v[1:2]
	v_and_b32_e32 v33, 0x7fffff, v0
                                        ; implicit-def: $vgpr47
	s_and_saveexec_b64 s[28:29], vcc
	s_xor_b64 s[30:31], exec, s[28:29]
	s_cbranch_execz .LBB6_2331
; %bb.2318:                             ;   in Loop: Header=BB6_357 Depth=4
	v_and_b32_e32 v1, 0x7fffffff, v0
	v_mov_b32_e32 v2, v34
	v_cmp_gt_u64_e32 vcc, s[78:79], v[1:2]
	v_and_b32_sdwa v38, v0, s44 dst_sel:DWORD dst_unused:UNUSED_PAD src0_sel:BYTE_3 src1_sel:DWORD
                                        ; implicit-def: $vgpr47
	s_and_saveexec_b64 s[28:29], vcc
	s_xor_b64 s[34:35], exec, s[28:29]
	s_cbranch_execz .LBB6_2328
; %bb.2319:                             ;   in Loop: Header=BB6_357 Depth=4
	v_mov_b32_e32 v47, 0
	v_cmp_ne_u32_e32 vcc, 0, v0
	s_and_saveexec_b64 s[36:37], vcc
	s_cbranch_execz .LBB6_2327
; %bb.2320:                             ;   in Loop: Header=BB6_357 Depth=4
	v_bfe_u32 v39, v0, 23, 8
	v_cmp_gt_u32_e64 s[28:29], s45, v39
	v_sub_u32_e32 v0, 0x71, v39
	v_cmp_eq_u32_e32 vcc, 0, v39
	v_cndmask_b32_e64 v0, 0, v0, s[28:29]
	v_mov_b32_e32 v2, 0x70
	v_cndmask_b32_e32 v50, v0, v2, vcc
	v_add_u32_e32 v2, 21, v50
	v_or_b32_e32 v1, 0x800000, v33
	v_lshlrev_b64 v[56:57], v2, -1
	v_cndmask_b32_e32 v0, v1, v33, vcc
	v_mov_b32_e32 v1, v34
	v_add_u32_e32 v2, 20, v50
	v_bfi_b32 v56, v56, 0, v0
	v_lshlrev_b64 v[32:33], v2, 1
	v_lshrrev_b64 v[0:1], v50, v[0:1]
	v_bfi_b32 v57, v57, 0, 0
	v_cmp_eq_u64_e64 s[28:29], v[56:57], v[32:33]
	v_mov_b32_e32 v2, v1
	v_mov_b32_e32 v1, v0
	s_and_saveexec_b64 s[38:39], s[28:29]
; %bb.2321:                             ;   in Loop: Header=BB6_357 Depth=4
	v_bfe_u32 v1, v0, 21, 1
	v_add_co_u32_e64 v1, s[28:29], v0, v1
	v_add_co_u32_e64 v1, s[28:29], -1, v1
; %bb.2322:                             ;   in Loop: Header=BB6_357 Depth=4
	s_or_b64 exec, exec, s[38:39]
	v_add_u32_e32 v2, 0xffffff81, v39
	v_mov_b32_e32 v28, 0xffffff82
	v_cndmask_b32_e32 v2, v2, v28, vcc
	v_lshrrev_b32_e32 v28, 23, v0
	v_add3_u32 v50, v50, v2, v28
	v_add_u32_e32 v39, 14, v50
	v_and_b32_e32 v1, 0x1fffff, v1
	v_add_u32_e32 v33, v1, v0
	v_cmp_ne_u32_e32 vcc, 0, v39
                                        ; implicit-def: $vgpr0_vgpr1
                                        ; implicit-def: $vgpr2
	s_and_saveexec_b64 s[28:29], vcc
	s_xor_b64 s[28:29], exec, s[28:29]
; %bb.2323:                             ;   in Loop: Header=BB6_357 Depth=4
	v_cmp_lt_u64_e32 vcc, s[88:89], v[33:34]
	v_add_u32_e32 v0, 15, v50
	v_cndmask_b32_e32 v2, v39, v0, vcc
	v_cndmask_b32_e64 v0, 0, 1, vcc
	v_lshrrev_b64 v[0:1], v0, v[33:34]
; %bb.2324:                             ;   in Loop: Header=BB6_357 Depth=4
	s_andn2_saveexec_b64 s[28:29], s[28:29]
; %bb.2325:                             ;   in Loop: Header=BB6_357 Depth=4
	v_mov_b32_e32 v0, v33
	v_mov_b32_e32 v1, v34
	v_bfe_u32 v2, v33, 23, 1
; %bb.2326:                             ;   in Loop: Header=BB6_357 Depth=4
	s_or_b64 exec, exec, s[28:29]
	v_lshrrev_b64 v[0:1], 21, v[0:1]
	v_cmp_gt_i32_e32 vcc, 32, v2
	v_cndmask_b32_e32 v1, 0, v1, vcc
	v_cndmask_b32_e32 v0, 3, v0, vcc
	v_cmp_eq_u64_e64 s[28:29], 0, v[0:1]
	v_min_i32_e32 v1, 31, v2
	v_lshlrev_b32_e32 v1, 2, v1
	v_cmp_eq_u32_e32 vcc, 0, v2
	v_and_b32_e32 v1, 0xfc, v1
	v_and_or_b32 v0, v0, 3, v1
	s_and_b64 s[28:29], vcc, s[28:29]
	v_cndmask_b32_e64 v0, v0, 0, s[28:29]
	v_or_b32_e32 v47, v0, v38
.LBB6_2327:                             ;   in Loop: Header=BB6_357 Depth=4
	s_or_b64 exec, exec, s[36:37]
                                        ; implicit-def: $vgpr38
.LBB6_2328:                             ;   in Loop: Header=BB6_357 Depth=4
	s_andn2_saveexec_b64 s[28:29], s[34:35]
; %bb.2329:                             ;   in Loop: Header=BB6_357 Depth=4
	v_or_b32_e32 v47, 0x7b, v38
; %bb.2330:                             ;   in Loop: Header=BB6_357 Depth=4
	s_or_b64 exec, exec, s[28:29]
                                        ; implicit-def: $vgpr0
.LBB6_2331:                             ;   in Loop: Header=BB6_357 Depth=4
	s_andn2_saveexec_b64 s[28:29], s[30:31]
	s_cbranch_execz .LBB6_2337
; %bb.2332:                             ;   in Loop: Header=BB6_357 Depth=4
	v_cmp_ne_u64_e32 vcc, 0, v[33:34]
                                        ; implicit-def: $vgpr47
	s_and_saveexec_b64 s[30:31], vcc
	s_xor_b64 vcc, exec, s[30:31]
; %bb.2333:                             ;   in Loop: Header=BB6_357 Depth=4
	v_or_b32_sdwa v47, v0, s83 dst_sel:DWORD dst_unused:UNUSED_PAD src0_sel:BYTE_3 src1_sel:DWORD
                                        ; implicit-def: $vgpr0
; %bb.2334:                             ;   in Loop: Header=BB6_357 Depth=4
	s_andn2_saveexec_b64 s[30:31], vcc
; %bb.2335:                             ;   in Loop: Header=BB6_357 Depth=4
	v_cmp_lt_i32_e32 vcc, -1, v0
	v_bfrev_b32_e32 v0, 0.5
	v_mov_b32_e32 v1, 0x7c
	v_cndmask_b32_e32 v47, v0, v1, vcc
; %bb.2336:                             ;   in Loop: Header=BB6_357 Depth=4
	s_or_b64 exec, exec, s[30:31]
.LBB6_2337:                             ;   in Loop: Header=BB6_357 Depth=4
	s_or_b64 exec, exec, s[28:29]
	v_cmp_lt_u64_e32 vcc, s[56:57], v[12:13]
	v_mov_b32_e32 v1, 0
	v_mov_b32_e32 v2, 0
	s_and_saveexec_b64 s[28:29], vcc
	s_cbranch_execz .LBB6_2345
; %bb.2338:                             ;   in Loop: Header=BB6_357 Depth=4
	v_lshrrev_b32_e32 v0, 24, v13
	v_cmp_ne_u32_e32 vcc, s44, v0
	v_bfrev_b32_e32 v2, 1
	s_and_saveexec_b64 s[30:31], vcc
	s_cbranch_execz .LBB6_2344
; %bb.2339:                             ;   in Loop: Header=BB6_357 Depth=4
	v_and_b32_e32 v2, 0x7c000000, v13
	v_bfe_u32 v33, v13, 24, 2
	v_cmp_ne_u32_e32 vcc, s8, v2
                                        ; implicit-def: $vgpr2
	s_and_saveexec_b64 s[34:35], vcc
	s_xor_b64 s[34:35], exec, s[34:35]
	s_cbranch_execz .LBB6_2341
; %bb.2340:                             ;   in Loop: Header=BB6_357 Depth=4
	v_ffbh_u32_e32 v28, v33
	v_min_u32_e32 v28, 32, v28
	v_subrev_u32_e32 v29, 29, v28
	v_lshlrev_b64 v[38:39], v29, v[0:1]
	v_bfe_u32 v2, v13, 26, 5
	v_sub_u32_e32 v0, 30, v28
	v_and_b32_e32 v28, 3, v38
	v_cmp_eq_u32_e32 vcc, 0, v2
	v_cndmask_b32_e32 v0, v2, v0, vcc
	v_cndmask_b32_e32 v2, v33, v28, vcc
	v_and_b32_e32 v28, 0x80000000, v13
	v_lshl_add_u32 v0, v0, 23, v28
	v_lshl_or_b32 v0, v2, 21, v0
	v_add_u32_e32 v2, 0x38000000, v0
                                        ; implicit-def: $vgpr33
.LBB6_2341:                             ;   in Loop: Header=BB6_357 Depth=4
	s_andn2_saveexec_b64 s[34:35], s[34:35]
; %bb.2342:                             ;   in Loop: Header=BB6_357 Depth=4
	v_cmp_lt_i64_e32 vcc, -1, v[12:13]
	v_mov_b32_e32 v0, 0xff800000
	v_mov_b32_e32 v2, 0x7f800000
	v_cndmask_b32_e32 v0, v0, v2, vcc
	v_cmp_eq_u32_e32 vcc, 0, v33
	v_mov_b32_e32 v2, 0x7f800001
	v_cndmask_b32_e32 v2, v2, v0, vcc
; %bb.2343:                             ;   in Loop: Header=BB6_357 Depth=4
	s_or_b64 exec, exec, s[34:35]
.LBB6_2344:                             ;   in Loop: Header=BB6_357 Depth=4
	s_or_b64 exec, exec, s[30:31]
.LBB6_2345:                             ;   in Loop: Header=BB6_357 Depth=4
	s_or_b64 exec, exec, s[28:29]
	v_cmp_lt_u64_e32 vcc, s[56:57], v[8:9]
	s_and_saveexec_b64 s[28:29], vcc
	s_cbranch_execz .LBB6_2353
; %bb.2346:                             ;   in Loop: Header=BB6_357 Depth=4
	v_lshrrev_b32_e32 v0, 24, v9
	v_cmp_ne_u32_e32 vcc, s44, v0
	v_bfrev_b32_e32 v1, 1
	s_and_saveexec_b64 s[30:31], vcc
	s_cbranch_execz .LBB6_2352
; %bb.2347:                             ;   in Loop: Header=BB6_357 Depth=4
	v_and_b32_e32 v1, 0x7c000000, v9
	v_bfe_u32 v12, v9, 24, 2
	v_cmp_ne_u32_e32 vcc, s8, v1
                                        ; implicit-def: $vgpr1
	s_and_saveexec_b64 s[34:35], vcc
	s_xor_b64 s[34:35], exec, s[34:35]
	s_cbranch_execz .LBB6_2349
; %bb.2348:                             ;   in Loop: Header=BB6_357 Depth=4
	v_ffbh_u32_e32 v1, v12
	v_min_u32_e32 v28, 32, v1
	v_subrev_u32_e32 v1, 29, v28
	v_lshlrev_b64 v[0:1], v1, v[0:1]
	v_bfe_u32 v13, v9, 26, 5
	v_sub_u32_e32 v1, 30, v28
	v_and_b32_e32 v0, 3, v0
	v_cmp_eq_u32_e32 vcc, 0, v13
	v_cndmask_b32_e32 v1, v13, v1, vcc
	v_cndmask_b32_e32 v0, v12, v0, vcc
	v_and_b32_e32 v12, 0x80000000, v9
	v_lshl_add_u32 v1, v1, 23, v12
	v_lshl_or_b32 v0, v0, 21, v1
	v_add_u32_e32 v1, 0x38000000, v0
                                        ; implicit-def: $vgpr12
.LBB6_2349:                             ;   in Loop: Header=BB6_357 Depth=4
	s_andn2_saveexec_b64 s[34:35], s[34:35]
; %bb.2350:                             ;   in Loop: Header=BB6_357 Depth=4
	v_cmp_lt_i64_e32 vcc, -1, v[8:9]
	v_mov_b32_e32 v0, 0xff800000
	v_mov_b32_e32 v1, 0x7f800000
	v_cndmask_b32_e32 v0, v0, v1, vcc
	v_cmp_eq_u32_e32 vcc, 0, v12
	v_mov_b32_e32 v1, 0x7f800001
	v_cndmask_b32_e32 v1, v1, v0, vcc
; %bb.2351:                             ;   in Loop: Header=BB6_357 Depth=4
	s_or_b64 exec, exec, s[34:35]
.LBB6_2352:                             ;   in Loop: Header=BB6_357 Depth=4
	s_or_b64 exec, exec, s[30:31]
.LBB6_2353:                             ;   in Loop: Header=BB6_357 Depth=4
	s_or_b64 exec, exec, s[28:29]
	v_mul_f32_e32 v0, v2, v1
	v_and_b32_e32 v1, 0x7f800000, v0
	v_mov_b32_e32 v2, v34
	v_cmp_ne_u64_e32 vcc, s[76:77], v[1:2]
	v_and_b32_e32 v33, 0x7fffff, v0
                                        ; implicit-def: $vgpr8
	s_and_saveexec_b64 s[28:29], vcc
	s_xor_b64 s[30:31], exec, s[28:29]
	s_cbranch_execz .LBB6_2367
; %bb.2354:                             ;   in Loop: Header=BB6_357 Depth=4
	v_and_b32_e32 v1, 0x7fffffff, v0
	v_mov_b32_e32 v2, v34
	v_cmp_gt_u64_e32 vcc, s[78:79], v[1:2]
	v_and_b32_sdwa v9, v0, s44 dst_sel:DWORD dst_unused:UNUSED_PAD src0_sel:BYTE_3 src1_sel:DWORD
                                        ; implicit-def: $vgpr8
	s_and_saveexec_b64 s[28:29], vcc
	s_xor_b64 s[34:35], exec, s[28:29]
	s_cbranch_execz .LBB6_2364
; %bb.2355:                             ;   in Loop: Header=BB6_357 Depth=4
	v_mov_b32_e32 v8, 0
	v_cmp_ne_u32_e32 vcc, 0, v0
	s_and_saveexec_b64 s[36:37], vcc
	s_cbranch_execz .LBB6_2363
; %bb.2356:                             ;   in Loop: Header=BB6_357 Depth=4
	v_bfe_u32 v8, v0, 23, 8
	v_cmp_gt_u32_e64 s[28:29], s45, v8
	v_sub_u32_e32 v0, 0x71, v8
	v_cmp_eq_u32_e32 vcc, 0, v8
	v_cndmask_b32_e64 v0, 0, v0, s[28:29]
	v_mov_b32_e32 v2, 0x70
	v_cndmask_b32_e32 v12, v0, v2, vcc
	v_or_b32_e32 v1, 0x800000, v33
	v_add_u32_e32 v2, 21, v12
	v_cndmask_b32_e32 v0, v1, v33, vcc
	v_lshlrev_b64 v[32:33], v2, -1
	v_mov_b32_e32 v1, v34
	v_add_u32_e32 v2, 20, v12
	v_bfi_b32 v32, v32, 0, v0
	v_lshlrev_b64 v[38:39], v2, 1
	v_lshrrev_b64 v[0:1], v12, v[0:1]
	v_bfi_b32 v33, v33, 0, 0
	v_cmp_eq_u64_e64 s[28:29], v[32:33], v[38:39]
	v_mov_b32_e32 v2, v1
	v_mov_b32_e32 v1, v0
	s_and_saveexec_b64 s[38:39], s[28:29]
; %bb.2357:                             ;   in Loop: Header=BB6_357 Depth=4
	v_bfe_u32 v1, v0, 21, 1
	v_add_co_u32_e64 v1, s[28:29], v0, v1
	v_add_co_u32_e64 v1, s[28:29], -1, v1
; %bb.2358:                             ;   in Loop: Header=BB6_357 Depth=4
	s_or_b64 exec, exec, s[38:39]
	v_add_u32_e32 v2, 0xffffff81, v8
	v_mov_b32_e32 v8, 0xffffff82
	v_cndmask_b32_e32 v2, v2, v8, vcc
	v_lshrrev_b32_e32 v8, 23, v0
	v_add3_u32 v12, v12, v2, v8
	v_add_u32_e32 v8, 14, v12
	v_and_b32_e32 v1, 0x1fffff, v1
	v_add_u32_e32 v33, v1, v0
	v_cmp_ne_u32_e32 vcc, 0, v8
                                        ; implicit-def: $vgpr0_vgpr1
                                        ; implicit-def: $vgpr2
	s_and_saveexec_b64 s[28:29], vcc
	s_xor_b64 s[28:29], exec, s[28:29]
; %bb.2359:                             ;   in Loop: Header=BB6_357 Depth=4
	v_cmp_lt_u64_e32 vcc, s[88:89], v[33:34]
	v_add_u32_e32 v0, 15, v12
	v_cndmask_b32_e32 v2, v8, v0, vcc
	v_cndmask_b32_e64 v0, 0, 1, vcc
	v_lshrrev_b64 v[0:1], v0, v[33:34]
; %bb.2360:                             ;   in Loop: Header=BB6_357 Depth=4
	s_andn2_saveexec_b64 s[28:29], s[28:29]
; %bb.2361:                             ;   in Loop: Header=BB6_357 Depth=4
	v_mov_b32_e32 v0, v33
	v_mov_b32_e32 v1, v34
	v_bfe_u32 v2, v33, 23, 1
; %bb.2362:                             ;   in Loop: Header=BB6_357 Depth=4
	s_or_b64 exec, exec, s[28:29]
	v_lshrrev_b64 v[0:1], 21, v[0:1]
	v_cmp_gt_i32_e32 vcc, 32, v2
	v_cndmask_b32_e32 v1, 0, v1, vcc
	v_cndmask_b32_e32 v0, 3, v0, vcc
	v_cmp_eq_u64_e64 s[28:29], 0, v[0:1]
	v_min_i32_e32 v1, 31, v2
	v_lshlrev_b32_e32 v1, 2, v1
	v_cmp_eq_u32_e32 vcc, 0, v2
	v_and_b32_e32 v1, 0xfc, v1
	v_and_or_b32 v0, v0, 3, v1
	s_and_b64 s[28:29], vcc, s[28:29]
	v_cndmask_b32_e64 v0, v0, 0, s[28:29]
	v_or_b32_e32 v8, v0, v9
.LBB6_2363:                             ;   in Loop: Header=BB6_357 Depth=4
	s_or_b64 exec, exec, s[36:37]
                                        ; implicit-def: $vgpr9
.LBB6_2364:                             ;   in Loop: Header=BB6_357 Depth=4
	s_andn2_saveexec_b64 s[28:29], s[34:35]
; %bb.2365:                             ;   in Loop: Header=BB6_357 Depth=4
	v_or_b32_e32 v8, 0x7b, v9
; %bb.2366:                             ;   in Loop: Header=BB6_357 Depth=4
	s_or_b64 exec, exec, s[28:29]
                                        ; implicit-def: $vgpr0
.LBB6_2367:                             ;   in Loop: Header=BB6_357 Depth=4
	s_andn2_saveexec_b64 s[28:29], s[30:31]
	s_cbranch_execz .LBB6_2373
; %bb.2368:                             ;   in Loop: Header=BB6_357 Depth=4
	v_cmp_ne_u64_e32 vcc, 0, v[33:34]
                                        ; implicit-def: $vgpr8
	s_and_saveexec_b64 s[30:31], vcc
	s_xor_b64 vcc, exec, s[30:31]
; %bb.2369:                             ;   in Loop: Header=BB6_357 Depth=4
	v_or_b32_sdwa v8, v0, s83 dst_sel:DWORD dst_unused:UNUSED_PAD src0_sel:BYTE_3 src1_sel:DWORD
                                        ; implicit-def: $vgpr0
; %bb.2370:                             ;   in Loop: Header=BB6_357 Depth=4
	s_andn2_saveexec_b64 s[30:31], vcc
; %bb.2371:                             ;   in Loop: Header=BB6_357 Depth=4
	v_cmp_lt_i32_e32 vcc, -1, v0
	v_bfrev_b32_e32 v0, 0.5
	v_mov_b32_e32 v1, 0x7c
	v_cndmask_b32_e32 v8, v0, v1, vcc
; %bb.2372:                             ;   in Loop: Header=BB6_357 Depth=4
	s_or_b64 exec, exec, s[30:31]
.LBB6_2373:                             ;   in Loop: Header=BB6_357 Depth=4
	s_or_b64 exec, exec, s[28:29]
	v_cmp_ne_u16_sdwa vcc, v14, v34 src0_sel:BYTE_0 src1_sel:DWORD
	v_mov_b32_e32 v0, 0
	v_mov_b32_e32 v1, 0
	s_and_saveexec_b64 s[28:29], vcc
	s_cbranch_execz .LBB6_2381
; %bb.2374:                             ;   in Loop: Header=BB6_357 Depth=4
	v_cmp_ne_u16_sdwa vcc, sext(v14), s80 src0_sel:BYTE_0 src1_sel:DWORD
	v_bfrev_b32_e32 v1, 1
	s_and_saveexec_b64 s[30:31], vcc
	s_cbranch_execz .LBB6_2380
; %bb.2375:                             ;   in Loop: Header=BB6_357 Depth=4
	v_and_b32_e32 v1, 0x7c, v14
	v_and_b32_e32 v2, 3, v14
	v_cmp_ne_u32_e32 vcc, s81, v1
                                        ; implicit-def: $vgpr1
	s_and_saveexec_b64 s[34:35], vcc
	s_xor_b64 s[34:35], exec, s[34:35]
	s_cbranch_execz .LBB6_2377
; %bb.2376:                             ;   in Loop: Header=BB6_357 Depth=4
	v_ffbh_u32_e32 v9, v2
	v_min_u32_e32 v9, 32, v9
	v_bfe_u32 v1, v14, 2, 5
	v_subrev_u32_e32 v12, 29, v9
	v_lshlrev_b64 v[12:13], v12, v[14:15]
	v_sub_u32_e32 v9, 30, v9
	v_cmp_eq_u32_e32 vcc, 0, v1
	v_cndmask_b32_e32 v1, v1, v9, vcc
	v_lshlrev_b32_e32 v9, 24, v14
	v_and_b32_e32 v12, 3, v12
	v_and_b32_e32 v9, 0x80000000, v9
	v_cndmask_b32_e32 v2, v2, v12, vcc
	v_lshl_add_u32 v1, v1, 23, v9
	v_lshl_or_b32 v1, v2, 21, v1
	v_add_u32_e32 v1, 0x38000000, v1
                                        ; implicit-def: $vgpr2
.LBB6_2377:                             ;   in Loop: Header=BB6_357 Depth=4
	s_andn2_saveexec_b64 s[34:35], s[34:35]
; %bb.2378:                             ;   in Loop: Header=BB6_357 Depth=4
	v_mov_b32_e32 v1, -1
	v_cmp_gt_i16_sdwa vcc, sext(v14), v1 src0_sel:BYTE_0 src1_sel:DWORD
	v_mov_b32_e32 v1, 0xff800000
	v_mov_b32_e32 v9, 0x7f800000
	v_cndmask_b32_e32 v1, v1, v9, vcc
	v_cmp_eq_u32_e32 vcc, 0, v2
	v_mov_b32_e32 v2, 0x7f800001
	v_cndmask_b32_e32 v1, v2, v1, vcc
; %bb.2379:                             ;   in Loop: Header=BB6_357 Depth=4
	s_or_b64 exec, exec, s[34:35]
.LBB6_2380:                             ;   in Loop: Header=BB6_357 Depth=4
	s_or_b64 exec, exec, s[30:31]
.LBB6_2381:                             ;   in Loop: Header=BB6_357 Depth=4
	s_or_b64 exec, exec, s[28:29]
	v_cmp_ne_u16_sdwa vcc, v10, v34 src0_sel:BYTE_0 src1_sel:DWORD
	s_and_saveexec_b64 s[28:29], vcc
	s_cbranch_execz .LBB6_2389
; %bb.2382:                             ;   in Loop: Header=BB6_357 Depth=4
	v_cmp_ne_u16_sdwa vcc, sext(v10), s80 src0_sel:BYTE_0 src1_sel:DWORD
	v_bfrev_b32_e32 v0, 1
	s_and_saveexec_b64 s[30:31], vcc
	s_cbranch_execz .LBB6_2388
; %bb.2383:                             ;   in Loop: Header=BB6_357 Depth=4
	v_and_b32_e32 v0, 0x7c, v10
	v_and_b32_e32 v2, 3, v10
	v_cmp_ne_u32_e32 vcc, s81, v0
                                        ; implicit-def: $vgpr0
	s_and_saveexec_b64 s[34:35], vcc
	s_xor_b64 s[34:35], exec, s[34:35]
	s_cbranch_execz .LBB6_2385
; %bb.2384:                             ;   in Loop: Header=BB6_357 Depth=4
	v_ffbh_u32_e32 v9, v2
	v_min_u32_e32 v9, 32, v9
	v_bfe_u32 v0, v10, 2, 5
	v_subrev_u32_e32 v12, 29, v9
	v_lshlrev_b64 v[12:13], v12, v[10:11]
	v_sub_u32_e32 v9, 30, v9
	v_cmp_eq_u32_e32 vcc, 0, v0
	v_cndmask_b32_e32 v0, v0, v9, vcc
	v_lshlrev_b32_e32 v9, 24, v10
	v_and_b32_e32 v12, 3, v12
	v_and_b32_e32 v9, 0x80000000, v9
	v_cndmask_b32_e32 v2, v2, v12, vcc
	v_lshl_add_u32 v0, v0, 23, v9
	v_lshl_or_b32 v0, v2, 21, v0
	v_add_u32_e32 v0, 0x38000000, v0
                                        ; implicit-def: $vgpr2
.LBB6_2385:                             ;   in Loop: Header=BB6_357 Depth=4
	s_andn2_saveexec_b64 s[34:35], s[34:35]
; %bb.2386:                             ;   in Loop: Header=BB6_357 Depth=4
	v_mov_b32_e32 v0, -1
	v_cmp_gt_i16_sdwa vcc, sext(v10), v0 src0_sel:BYTE_0 src1_sel:DWORD
	v_mov_b32_e32 v0, 0xff800000
	v_mov_b32_e32 v9, 0x7f800000
	v_cndmask_b32_e32 v0, v0, v9, vcc
	v_cmp_eq_u32_e32 vcc, 0, v2
	v_mov_b32_e32 v2, 0x7f800001
	v_cndmask_b32_e32 v0, v2, v0, vcc
; %bb.2387:                             ;   in Loop: Header=BB6_357 Depth=4
	s_or_b64 exec, exec, s[34:35]
.LBB6_2388:                             ;   in Loop: Header=BB6_357 Depth=4
	s_or_b64 exec, exec, s[30:31]
.LBB6_2389:                             ;   in Loop: Header=BB6_357 Depth=4
	s_or_b64 exec, exec, s[28:29]
	v_mul_f32_e32 v0, v1, v0
	v_and_b32_e32 v1, 0x7f800000, v0
	v_mov_b32_e32 v2, v34
	v_cmp_ne_u64_e32 vcc, s[76:77], v[1:2]
	v_and_b32_e32 v33, 0x7fffff, v0
                                        ; implicit-def: $vgpr9
	s_and_saveexec_b64 s[28:29], vcc
	s_xor_b64 s[30:31], exec, s[28:29]
	s_cbranch_execz .LBB6_2403
; %bb.2390:                             ;   in Loop: Header=BB6_357 Depth=4
	v_and_b32_e32 v1, 0x7fffffff, v0
	v_mov_b32_e32 v2, v34
	v_cmp_gt_u64_e32 vcc, s[78:79], v[1:2]
	v_and_b32_sdwa v12, v0, s44 dst_sel:DWORD dst_unused:UNUSED_PAD src0_sel:BYTE_3 src1_sel:DWORD
                                        ; implicit-def: $vgpr9
	s_and_saveexec_b64 s[28:29], vcc
	s_xor_b64 s[34:35], exec, s[28:29]
	s_cbranch_execz .LBB6_2400
; %bb.2391:                             ;   in Loop: Header=BB6_357 Depth=4
	v_mov_b32_e32 v9, 0
	v_cmp_ne_u32_e32 vcc, 0, v0
	s_and_saveexec_b64 s[36:37], vcc
	s_cbranch_execz .LBB6_2399
; %bb.2392:                             ;   in Loop: Header=BB6_357 Depth=4
	v_bfe_u32 v9, v0, 23, 8
	v_cmp_gt_u32_e64 s[28:29], s45, v9
	v_sub_u32_e32 v0, 0x71, v9
	v_cmp_eq_u32_e32 vcc, 0, v9
	v_cndmask_b32_e64 v0, 0, v0, s[28:29]
	v_mov_b32_e32 v2, 0x70
	v_cndmask_b32_e32 v13, v0, v2, vcc
	v_or_b32_e32 v1, 0x800000, v33
	v_add_u32_e32 v2, 21, v13
	v_cndmask_b32_e32 v0, v1, v33, vcc
	v_lshlrev_b64 v[32:33], v2, -1
	v_mov_b32_e32 v1, v34
	v_add_u32_e32 v2, 20, v13
	v_bfi_b32 v32, v32, 0, v0
	v_lshlrev_b64 v[38:39], v2, 1
	v_lshrrev_b64 v[0:1], v13, v[0:1]
	v_bfi_b32 v33, v33, 0, 0
	v_cmp_eq_u64_e64 s[28:29], v[32:33], v[38:39]
	v_mov_b32_e32 v2, v1
	v_mov_b32_e32 v1, v0
	s_and_saveexec_b64 s[38:39], s[28:29]
; %bb.2393:                             ;   in Loop: Header=BB6_357 Depth=4
	v_bfe_u32 v1, v0, 21, 1
	v_add_co_u32_e64 v1, s[28:29], v0, v1
	v_add_co_u32_e64 v1, s[28:29], -1, v1
; %bb.2394:                             ;   in Loop: Header=BB6_357 Depth=4
	s_or_b64 exec, exec, s[38:39]
	v_add_u32_e32 v2, 0xffffff81, v9
	v_mov_b32_e32 v9, 0xffffff82
	v_cndmask_b32_e32 v2, v2, v9, vcc
	v_lshrrev_b32_e32 v9, 23, v0
	v_add3_u32 v13, v13, v2, v9
	v_add_u32_e32 v9, 14, v13
	v_and_b32_e32 v1, 0x1fffff, v1
	v_add_u32_e32 v33, v1, v0
	v_cmp_ne_u32_e32 vcc, 0, v9
                                        ; implicit-def: $vgpr0_vgpr1
                                        ; implicit-def: $vgpr2
	s_and_saveexec_b64 s[28:29], vcc
	s_xor_b64 s[28:29], exec, s[28:29]
; %bb.2395:                             ;   in Loop: Header=BB6_357 Depth=4
	v_cmp_lt_u64_e32 vcc, s[88:89], v[33:34]
	v_add_u32_e32 v0, 15, v13
	v_cndmask_b32_e32 v2, v9, v0, vcc
	v_cndmask_b32_e64 v0, 0, 1, vcc
	v_lshrrev_b64 v[0:1], v0, v[33:34]
; %bb.2396:                             ;   in Loop: Header=BB6_357 Depth=4
	s_andn2_saveexec_b64 s[28:29], s[28:29]
; %bb.2397:                             ;   in Loop: Header=BB6_357 Depth=4
	v_mov_b32_e32 v0, v33
	v_mov_b32_e32 v1, v34
	v_bfe_u32 v2, v33, 23, 1
; %bb.2398:                             ;   in Loop: Header=BB6_357 Depth=4
	s_or_b64 exec, exec, s[28:29]
	v_lshrrev_b64 v[0:1], 21, v[0:1]
	v_cmp_gt_i32_e32 vcc, 32, v2
	v_cndmask_b32_e32 v1, 0, v1, vcc
	v_cndmask_b32_e32 v0, 3, v0, vcc
	v_cmp_eq_u64_e64 s[28:29], 0, v[0:1]
	v_min_i32_e32 v1, 31, v2
	v_lshlrev_b32_e32 v1, 2, v1
	v_cmp_eq_u32_e32 vcc, 0, v2
	v_and_b32_e32 v1, 0xfc, v1
	v_and_or_b32 v0, v0, 3, v1
	s_and_b64 s[28:29], vcc, s[28:29]
	v_cndmask_b32_e64 v0, v0, 0, s[28:29]
	v_or_b32_e32 v9, v0, v12
.LBB6_2399:                             ;   in Loop: Header=BB6_357 Depth=4
	s_or_b64 exec, exec, s[36:37]
                                        ; implicit-def: $vgpr12
.LBB6_2400:                             ;   in Loop: Header=BB6_357 Depth=4
	s_andn2_saveexec_b64 s[28:29], s[34:35]
; %bb.2401:                             ;   in Loop: Header=BB6_357 Depth=4
	v_or_b32_e32 v9, 0x7b, v12
; %bb.2402:                             ;   in Loop: Header=BB6_357 Depth=4
	s_or_b64 exec, exec, s[28:29]
                                        ; implicit-def: $vgpr0
.LBB6_2403:                             ;   in Loop: Header=BB6_357 Depth=4
	s_andn2_saveexec_b64 s[28:29], s[30:31]
	s_cbranch_execz .LBB6_2409
; %bb.2404:                             ;   in Loop: Header=BB6_357 Depth=4
	v_cmp_ne_u64_e32 vcc, 0, v[33:34]
                                        ; implicit-def: $vgpr9
	s_and_saveexec_b64 s[30:31], vcc
	s_xor_b64 vcc, exec, s[30:31]
; %bb.2405:                             ;   in Loop: Header=BB6_357 Depth=4
	v_or_b32_sdwa v9, v0, s83 dst_sel:DWORD dst_unused:UNUSED_PAD src0_sel:BYTE_3 src1_sel:DWORD
                                        ; implicit-def: $vgpr0
; %bb.2406:                             ;   in Loop: Header=BB6_357 Depth=4
	s_andn2_saveexec_b64 s[30:31], vcc
; %bb.2407:                             ;   in Loop: Header=BB6_357 Depth=4
	v_cmp_lt_i32_e32 vcc, -1, v0
	v_bfrev_b32_e32 v0, 0.5
	v_mov_b32_e32 v1, 0x7c
	v_cndmask_b32_e32 v9, v0, v1, vcc
; %bb.2408:                             ;   in Loop: Header=BB6_357 Depth=4
	s_or_b64 exec, exec, s[30:31]
.LBB6_2409:                             ;   in Loop: Header=BB6_357 Depth=4
	s_or_b64 exec, exec, s[28:29]
	v_lshrrev_b16_e32 v0, 8, v14
	v_cmp_ne_u16_e32 vcc, 0, v0
	v_mov_b32_e32 v2, 0
	v_mov_b32_e32 v12, 0
	s_and_saveexec_b64 s[28:29], vcc
	s_cbranch_execz .LBB6_2417
; %bb.2410:                             ;   in Loop: Header=BB6_357 Depth=4
	v_cmp_ne_u16_e32 vcc, s44, v0
	v_bfrev_b32_e32 v12, 1
	s_and_saveexec_b64 s[30:31], vcc
	s_cbranch_execz .LBB6_2416
; %bb.2411:                             ;   in Loop: Header=BB6_357 Depth=4
	v_and_b32_e32 v1, 0x7c, v0
	v_and_b32_e32 v13, 3, v0
	v_cmp_ne_u32_e32 vcc, s81, v1
                                        ; implicit-def: $vgpr12
	s_and_saveexec_b64 s[34:35], vcc
	s_xor_b64 s[34:35], exec, s[34:35]
	s_cbranch_execz .LBB6_2413
; %bb.2412:                             ;   in Loop: Header=BB6_357 Depth=4
	v_ffbh_u32_e32 v28, v13
	v_min_u32_e32 v28, 32, v28
	v_mov_b32_e32 v1, v34
	v_subrev_u32_e32 v29, 29, v28
	v_bfe_u32 v12, v0, 2, 5
	v_lshlrev_b64 v[0:1], v29, v[0:1]
	v_sub_u32_e32 v1, 30, v28
	v_cmp_eq_u32_e32 vcc, 0, v12
	v_cndmask_b32_e32 v1, v12, v1, vcc
	v_lshlrev_b32_e32 v12, 16, v14
	v_and_b32_e32 v0, 3, v0
	v_and_b32_e32 v12, 0x80000000, v12
	v_cndmask_b32_e32 v0, v13, v0, vcc
	v_lshl_add_u32 v1, v1, 23, v12
	v_lshl_or_b32 v0, v0, 21, v1
	v_add_u32_e32 v12, 0x38000000, v0
                                        ; implicit-def: $vgpr13
.LBB6_2413:                             ;   in Loop: Header=BB6_357 Depth=4
	s_andn2_saveexec_b64 s[34:35], s[34:35]
; %bb.2414:                             ;   in Loop: Header=BB6_357 Depth=4
	v_cmp_lt_i16_e32 vcc, -1, v14
	v_mov_b32_e32 v0, 0xff800000
	v_mov_b32_e32 v1, 0x7f800000
	v_cndmask_b32_e32 v0, v0, v1, vcc
	v_cmp_eq_u32_e32 vcc, 0, v13
	v_mov_b32_e32 v1, 0x7f800001
	v_cndmask_b32_e32 v12, v1, v0, vcc
; %bb.2415:                             ;   in Loop: Header=BB6_357 Depth=4
	s_or_b64 exec, exec, s[34:35]
.LBB6_2416:                             ;   in Loop: Header=BB6_357 Depth=4
	s_or_b64 exec, exec, s[30:31]
.LBB6_2417:                             ;   in Loop: Header=BB6_357 Depth=4
	s_or_b64 exec, exec, s[28:29]
	v_lshrrev_b16_e32 v0, 8, v10
	v_cmp_ne_u16_e32 vcc, 0, v0
	s_and_saveexec_b64 s[28:29], vcc
	s_cbranch_execz .LBB6_2425
; %bb.2418:                             ;   in Loop: Header=BB6_357 Depth=4
	v_cmp_ne_u16_e32 vcc, s44, v0
	v_bfrev_b32_e32 v2, 1
	s_and_saveexec_b64 s[30:31], vcc
	s_cbranch_execz .LBB6_2424
; %bb.2419:                             ;   in Loop: Header=BB6_357 Depth=4
	v_and_b32_e32 v1, 0x7c, v0
	v_and_b32_e32 v13, 3, v0
	v_cmp_ne_u32_e32 vcc, s81, v1
                                        ; implicit-def: $vgpr2
	s_and_saveexec_b64 s[34:35], vcc
	s_xor_b64 s[34:35], exec, s[34:35]
	s_cbranch_execz .LBB6_2421
; %bb.2420:                             ;   in Loop: Header=BB6_357 Depth=4
	v_ffbh_u32_e32 v28, v13
	v_min_u32_e32 v28, 32, v28
	v_mov_b32_e32 v1, v34
	v_subrev_u32_e32 v29, 29, v28
	v_bfe_u32 v2, v0, 2, 5
	v_lshlrev_b64 v[0:1], v29, v[0:1]
	v_sub_u32_e32 v1, 30, v28
	v_cmp_eq_u32_e32 vcc, 0, v2
	v_cndmask_b32_e32 v1, v2, v1, vcc
	v_lshlrev_b32_e32 v2, 16, v10
	v_and_b32_e32 v0, 3, v0
	v_and_b32_e32 v2, 0x80000000, v2
	v_cndmask_b32_e32 v0, v13, v0, vcc
	v_lshl_add_u32 v1, v1, 23, v2
	v_lshl_or_b32 v0, v0, 21, v1
	v_add_u32_e32 v2, 0x38000000, v0
                                        ; implicit-def: $vgpr13
.LBB6_2421:                             ;   in Loop: Header=BB6_357 Depth=4
	s_andn2_saveexec_b64 s[34:35], s[34:35]
; %bb.2422:                             ;   in Loop: Header=BB6_357 Depth=4
	v_cmp_lt_i16_e32 vcc, -1, v10
	v_mov_b32_e32 v0, 0xff800000
	v_mov_b32_e32 v1, 0x7f800000
	v_cndmask_b32_e32 v0, v0, v1, vcc
	v_cmp_eq_u32_e32 vcc, 0, v13
	v_mov_b32_e32 v1, 0x7f800001
	v_cndmask_b32_e32 v2, v1, v0, vcc
; %bb.2423:                             ;   in Loop: Header=BB6_357 Depth=4
	s_or_b64 exec, exec, s[34:35]
.LBB6_2424:                             ;   in Loop: Header=BB6_357 Depth=4
	s_or_b64 exec, exec, s[30:31]
.LBB6_2425:                             ;   in Loop: Header=BB6_357 Depth=4
	s_or_b64 exec, exec, s[28:29]
	v_mul_f32_e32 v0, v12, v2
	v_and_b32_e32 v1, 0x7f800000, v0
	v_mov_b32_e32 v2, v34
	v_cmp_ne_u64_e32 vcc, s[76:77], v[1:2]
	v_and_b32_e32 v33, 0x7fffff, v0
                                        ; implicit-def: $vgpr12
	s_and_saveexec_b64 s[28:29], vcc
	s_xor_b64 s[30:31], exec, s[28:29]
	s_cbranch_execz .LBB6_2439
; %bb.2426:                             ;   in Loop: Header=BB6_357 Depth=4
	v_and_b32_e32 v1, 0x7fffffff, v0
	v_mov_b32_e32 v2, v34
	v_cmp_gt_u64_e32 vcc, s[78:79], v[1:2]
	v_and_b32_sdwa v13, v0, s44 dst_sel:DWORD dst_unused:UNUSED_PAD src0_sel:BYTE_3 src1_sel:DWORD
                                        ; implicit-def: $vgpr12
	s_and_saveexec_b64 s[28:29], vcc
	s_xor_b64 s[34:35], exec, s[28:29]
	s_cbranch_execz .LBB6_2436
; %bb.2427:                             ;   in Loop: Header=BB6_357 Depth=4
	v_mov_b32_e32 v12, 0
	v_cmp_ne_u32_e32 vcc, 0, v0
	s_and_saveexec_b64 s[36:37], vcc
	s_cbranch_execz .LBB6_2435
; %bb.2428:                             ;   in Loop: Header=BB6_357 Depth=4
	v_bfe_u32 v12, v0, 23, 8
	v_cmp_gt_u32_e64 s[28:29], s45, v12
	v_sub_u32_e32 v0, 0x71, v12
	v_cmp_eq_u32_e32 vcc, 0, v12
	v_cndmask_b32_e64 v0, 0, v0, s[28:29]
	v_mov_b32_e32 v2, 0x70
	v_cndmask_b32_e32 v38, v0, v2, vcc
	v_or_b32_e32 v1, 0x800000, v33
	v_add_u32_e32 v2, 21, v38
	v_cndmask_b32_e32 v0, v1, v33, vcc
	v_lshlrev_b64 v[32:33], v2, -1
	v_mov_b32_e32 v1, v34
	v_add_u32_e32 v2, 20, v38
	v_bfi_b32 v32, v32, 0, v0
	v_lshlrev_b64 v[50:51], v2, 1
	v_lshrrev_b64 v[0:1], v38, v[0:1]
	v_bfi_b32 v33, v33, 0, 0
	v_cmp_eq_u64_e64 s[28:29], v[32:33], v[50:51]
	v_mov_b32_e32 v2, v1
	v_mov_b32_e32 v1, v0
	s_and_saveexec_b64 s[38:39], s[28:29]
; %bb.2429:                             ;   in Loop: Header=BB6_357 Depth=4
	v_bfe_u32 v1, v0, 21, 1
	v_add_co_u32_e64 v1, s[28:29], v0, v1
	v_add_co_u32_e64 v1, s[28:29], -1, v1
; %bb.2430:                             ;   in Loop: Header=BB6_357 Depth=4
	s_or_b64 exec, exec, s[38:39]
	v_add_u32_e32 v2, 0xffffff81, v12
	v_mov_b32_e32 v12, 0xffffff82
	v_cndmask_b32_e32 v2, v2, v12, vcc
	v_lshrrev_b32_e32 v12, 23, v0
	v_add3_u32 v38, v38, v2, v12
	v_add_u32_e32 v12, 14, v38
	v_and_b32_e32 v1, 0x1fffff, v1
	v_add_u32_e32 v33, v1, v0
	v_cmp_ne_u32_e32 vcc, 0, v12
                                        ; implicit-def: $vgpr0_vgpr1
                                        ; implicit-def: $vgpr2
	s_and_saveexec_b64 s[28:29], vcc
	s_xor_b64 s[28:29], exec, s[28:29]
; %bb.2431:                             ;   in Loop: Header=BB6_357 Depth=4
	v_cmp_lt_u64_e32 vcc, s[88:89], v[33:34]
	v_add_u32_e32 v0, 15, v38
	v_cndmask_b32_e32 v2, v12, v0, vcc
	v_cndmask_b32_e64 v0, 0, 1, vcc
	v_lshrrev_b64 v[0:1], v0, v[33:34]
; %bb.2432:                             ;   in Loop: Header=BB6_357 Depth=4
	s_andn2_saveexec_b64 s[28:29], s[28:29]
; %bb.2433:                             ;   in Loop: Header=BB6_357 Depth=4
	v_mov_b32_e32 v0, v33
	v_mov_b32_e32 v1, v34
	v_bfe_u32 v2, v33, 23, 1
; %bb.2434:                             ;   in Loop: Header=BB6_357 Depth=4
	s_or_b64 exec, exec, s[28:29]
	v_lshrrev_b64 v[0:1], 21, v[0:1]
	v_cmp_gt_i32_e32 vcc, 32, v2
	v_cndmask_b32_e32 v1, 0, v1, vcc
	v_cndmask_b32_e32 v0, 3, v0, vcc
	v_cmp_eq_u64_e64 s[28:29], 0, v[0:1]
	v_min_i32_e32 v1, 31, v2
	v_lshlrev_b32_e32 v1, 2, v1
	v_cmp_eq_u32_e32 vcc, 0, v2
	v_and_b32_e32 v1, 0xfc, v1
	v_and_or_b32 v0, v0, 3, v1
	s_and_b64 s[28:29], vcc, s[28:29]
	v_cndmask_b32_e64 v0, v0, 0, s[28:29]
	v_or_b32_e32 v12, v0, v13
.LBB6_2435:                             ;   in Loop: Header=BB6_357 Depth=4
	s_or_b64 exec, exec, s[36:37]
                                        ; implicit-def: $vgpr13
.LBB6_2436:                             ;   in Loop: Header=BB6_357 Depth=4
	s_andn2_saveexec_b64 s[28:29], s[34:35]
; %bb.2437:                             ;   in Loop: Header=BB6_357 Depth=4
	v_or_b32_e32 v12, 0x7b, v13
; %bb.2438:                             ;   in Loop: Header=BB6_357 Depth=4
	s_or_b64 exec, exec, s[28:29]
                                        ; implicit-def: $vgpr0
.LBB6_2439:                             ;   in Loop: Header=BB6_357 Depth=4
	s_andn2_saveexec_b64 s[28:29], s[30:31]
	s_cbranch_execz .LBB6_2445
; %bb.2440:                             ;   in Loop: Header=BB6_357 Depth=4
	v_cmp_ne_u64_e32 vcc, 0, v[33:34]
                                        ; implicit-def: $vgpr12
	s_and_saveexec_b64 s[30:31], vcc
	s_xor_b64 vcc, exec, s[30:31]
; %bb.2441:                             ;   in Loop: Header=BB6_357 Depth=4
	v_or_b32_sdwa v12, v0, s83 dst_sel:DWORD dst_unused:UNUSED_PAD src0_sel:BYTE_3 src1_sel:DWORD
                                        ; implicit-def: $vgpr0
; %bb.2442:                             ;   in Loop: Header=BB6_357 Depth=4
	s_andn2_saveexec_b64 s[30:31], vcc
; %bb.2443:                             ;   in Loop: Header=BB6_357 Depth=4
	v_cmp_lt_i32_e32 vcc, -1, v0
	v_bfrev_b32_e32 v0, 0.5
	v_mov_b32_e32 v1, 0x7c
	v_cndmask_b32_e32 v12, v0, v1, vcc
; %bb.2444:                             ;   in Loop: Header=BB6_357 Depth=4
	s_or_b64 exec, exec, s[30:31]
.LBB6_2445:                             ;   in Loop: Header=BB6_357 Depth=4
	s_or_b64 exec, exec, s[28:29]
	v_lshrrev_b32_e32 v0, 16, v14
	v_cmp_ne_u16_sdwa vcc, v0, v34 src0_sel:BYTE_0 src1_sel:DWORD
	v_mov_b32_e32 v1, 0
	v_mov_b32_e32 v2, 0
	s_and_saveexec_b64 s[28:29], vcc
	s_cbranch_execz .LBB6_2453
; %bb.2446:                             ;   in Loop: Header=BB6_357 Depth=4
	v_cmp_ne_u16_sdwa vcc, v0, s44 src0_sel:BYTE_0 src1_sel:DWORD
	v_bfrev_b32_e32 v2, 1
	s_and_saveexec_b64 s[30:31], vcc
	s_cbranch_execz .LBB6_2452
; %bb.2447:                             ;   in Loop: Header=BB6_357 Depth=4
	v_and_b32_e32 v2, 0x7c0000, v14
	v_bfe_u32 v13, v14, 16, 2
	v_cmp_ne_u32_e32 vcc, s9, v2
                                        ; implicit-def: $vgpr2
	s_and_saveexec_b64 s[34:35], vcc
	s_xor_b64 s[34:35], exec, s[34:35]
	s_cbranch_execz .LBB6_2449
; %bb.2448:                             ;   in Loop: Header=BB6_357 Depth=4
	v_ffbh_u32_e32 v28, v13
	v_min_u32_e32 v28, 32, v28
	v_subrev_u32_e32 v29, 29, v28
	v_lshlrev_b64 v[32:33], v29, v[0:1]
	v_bfe_u32 v2, v14, 18, 5
	v_sub_u32_e32 v0, 30, v28
	v_and_b32_e32 v28, 3, v32
	v_cmp_eq_u32_e32 vcc, 0, v2
	v_cndmask_b32_e32 v0, v2, v0, vcc
	v_cndmask_b32_e32 v2, v13, v28, vcc
	v_lshlrev_b32_e32 v13, 8, v14
	v_and_b32_e32 v13, 0x80000000, v13
	v_lshl_add_u32 v0, v0, 23, v13
	v_lshl_or_b32 v0, v2, 21, v0
	v_add_u32_e32 v2, 0x38000000, v0
                                        ; implicit-def: $vgpr13
                                        ; implicit-def: $vgpr0
.LBB6_2449:                             ;   in Loop: Header=BB6_357 Depth=4
	s_andn2_saveexec_b64 s[34:35], s[34:35]
; %bb.2450:                             ;   in Loop: Header=BB6_357 Depth=4
	v_mov_b32_e32 v2, -1
	v_cmp_gt_i16_sdwa vcc, sext(v0), v2 src0_sel:BYTE_0 src1_sel:DWORD
	v_mov_b32_e32 v0, 0xff800000
	v_mov_b32_e32 v2, 0x7f800000
	v_cndmask_b32_e32 v0, v0, v2, vcc
	v_cmp_eq_u32_e32 vcc, 0, v13
	v_mov_b32_e32 v2, 0x7f800001
	v_cndmask_b32_e32 v2, v2, v0, vcc
; %bb.2451:                             ;   in Loop: Header=BB6_357 Depth=4
	s_or_b64 exec, exec, s[34:35]
.LBB6_2452:                             ;   in Loop: Header=BB6_357 Depth=4
	s_or_b64 exec, exec, s[30:31]
.LBB6_2453:                             ;   in Loop: Header=BB6_357 Depth=4
	s_or_b64 exec, exec, s[28:29]
	v_lshrrev_b32_e32 v0, 16, v10
	v_cmp_ne_u16_sdwa vcc, v0, v34 src0_sel:BYTE_0 src1_sel:DWORD
	s_and_saveexec_b64 s[28:29], vcc
	s_cbranch_execz .LBB6_2461
; %bb.2454:                             ;   in Loop: Header=BB6_357 Depth=4
	v_cmp_ne_u16_sdwa vcc, v0, s44 src0_sel:BYTE_0 src1_sel:DWORD
	v_bfrev_b32_e32 v1, 1
	s_and_saveexec_b64 s[30:31], vcc
	s_cbranch_execz .LBB6_2460
; %bb.2455:                             ;   in Loop: Header=BB6_357 Depth=4
	v_and_b32_e32 v1, 0x7c0000, v10
	v_bfe_u32 v13, v10, 16, 2
	v_cmp_ne_u32_e32 vcc, s9, v1
                                        ; implicit-def: $vgpr1
	s_and_saveexec_b64 s[34:35], vcc
	s_xor_b64 s[34:35], exec, s[34:35]
	s_cbranch_execz .LBB6_2457
; %bb.2456:                             ;   in Loop: Header=BB6_357 Depth=4
	v_ffbh_u32_e32 v1, v13
	v_min_u32_e32 v29, 32, v1
	v_subrev_u32_e32 v1, 29, v29
	v_lshlrev_b64 v[0:1], v1, v[0:1]
	v_bfe_u32 v28, v10, 18, 5
	v_and_b32_e32 v0, 3, v0
	v_cmp_eq_u32_e32 vcc, 0, v28
	v_sub_u32_e32 v1, 30, v29
	v_cndmask_b32_e32 v0, v13, v0, vcc
	v_lshlrev_b32_e32 v13, 8, v10
	v_cndmask_b32_e32 v1, v28, v1, vcc
	v_and_b32_e32 v13, 0x80000000, v13
	v_lshl_add_u32 v1, v1, 23, v13
	v_lshl_or_b32 v0, v0, 21, v1
	v_add_u32_e32 v1, 0x38000000, v0
                                        ; implicit-def: $vgpr13
                                        ; implicit-def: $vgpr0
.LBB6_2457:                             ;   in Loop: Header=BB6_357 Depth=4
	s_andn2_saveexec_b64 s[34:35], s[34:35]
; %bb.2458:                             ;   in Loop: Header=BB6_357 Depth=4
	v_mov_b32_e32 v1, -1
	v_cmp_gt_i16_sdwa vcc, sext(v0), v1 src0_sel:BYTE_0 src1_sel:DWORD
	v_mov_b32_e32 v0, 0xff800000
	v_mov_b32_e32 v1, 0x7f800000
	v_cndmask_b32_e32 v0, v0, v1, vcc
	v_cmp_eq_u32_e32 vcc, 0, v13
	v_mov_b32_e32 v1, 0x7f800001
	v_cndmask_b32_e32 v1, v1, v0, vcc
; %bb.2459:                             ;   in Loop: Header=BB6_357 Depth=4
	s_or_b64 exec, exec, s[34:35]
.LBB6_2460:                             ;   in Loop: Header=BB6_357 Depth=4
	s_or_b64 exec, exec, s[30:31]
.LBB6_2461:                             ;   in Loop: Header=BB6_357 Depth=4
	s_or_b64 exec, exec, s[28:29]
	v_mul_f32_e32 v0, v2, v1
	v_and_b32_e32 v1, 0x7f800000, v0
	v_mov_b32_e32 v2, v34
	v_cmp_ne_u64_e32 vcc, s[76:77], v[1:2]
	v_and_b32_e32 v33, 0x7fffff, v0
                                        ; implicit-def: $vgpr13
	s_and_saveexec_b64 s[28:29], vcc
	s_xor_b64 s[30:31], exec, s[28:29]
	s_cbranch_execz .LBB6_2475
; %bb.2462:                             ;   in Loop: Header=BB6_357 Depth=4
	v_and_b32_e32 v1, 0x7fffffff, v0
	v_mov_b32_e32 v2, v34
	v_cmp_gt_u64_e32 vcc, s[78:79], v[1:2]
	v_and_b32_sdwa v38, v0, s44 dst_sel:DWORD dst_unused:UNUSED_PAD src0_sel:BYTE_3 src1_sel:DWORD
                                        ; implicit-def: $vgpr13
	s_and_saveexec_b64 s[28:29], vcc
	s_xor_b64 s[34:35], exec, s[28:29]
	s_cbranch_execz .LBB6_2472
; %bb.2463:                             ;   in Loop: Header=BB6_357 Depth=4
	v_mov_b32_e32 v13, 0
	v_cmp_ne_u32_e32 vcc, 0, v0
	s_and_saveexec_b64 s[36:37], vcc
	s_cbranch_execz .LBB6_2471
; %bb.2464:                             ;   in Loop: Header=BB6_357 Depth=4
	v_bfe_u32 v13, v0, 23, 8
	v_cmp_gt_u32_e64 s[28:29], s45, v13
	v_sub_u32_e32 v0, 0x71, v13
	v_cmp_eq_u32_e32 vcc, 0, v13
	v_cndmask_b32_e64 v0, 0, v0, s[28:29]
	v_mov_b32_e32 v2, 0x70
	v_cndmask_b32_e32 v39, v0, v2, vcc
	v_or_b32_e32 v1, 0x800000, v33
	v_add_u32_e32 v2, 21, v39
	v_cndmask_b32_e32 v0, v1, v33, vcc
	v_lshlrev_b64 v[32:33], v2, -1
	v_mov_b32_e32 v1, v34
	v_add_u32_e32 v2, 20, v39
	v_bfi_b32 v32, v32, 0, v0
	v_lshlrev_b64 v[50:51], v2, 1
	v_lshrrev_b64 v[0:1], v39, v[0:1]
	v_bfi_b32 v33, v33, 0, 0
	v_cmp_eq_u64_e64 s[28:29], v[32:33], v[50:51]
	v_mov_b32_e32 v2, v1
	v_mov_b32_e32 v1, v0
	s_and_saveexec_b64 s[38:39], s[28:29]
; %bb.2465:                             ;   in Loop: Header=BB6_357 Depth=4
	v_bfe_u32 v1, v0, 21, 1
	v_add_co_u32_e64 v1, s[28:29], v0, v1
	v_add_co_u32_e64 v1, s[28:29], -1, v1
; %bb.2466:                             ;   in Loop: Header=BB6_357 Depth=4
	s_or_b64 exec, exec, s[38:39]
	v_add_u32_e32 v2, 0xffffff81, v13
	v_mov_b32_e32 v13, 0xffffff82
	v_cndmask_b32_e32 v2, v2, v13, vcc
	v_lshrrev_b32_e32 v13, 23, v0
	v_add3_u32 v39, v39, v2, v13
	v_add_u32_e32 v13, 14, v39
	v_and_b32_e32 v1, 0x1fffff, v1
	v_add_u32_e32 v33, v1, v0
	v_cmp_ne_u32_e32 vcc, 0, v13
                                        ; implicit-def: $vgpr0_vgpr1
                                        ; implicit-def: $vgpr2
	s_and_saveexec_b64 s[28:29], vcc
	s_xor_b64 s[28:29], exec, s[28:29]
; %bb.2467:                             ;   in Loop: Header=BB6_357 Depth=4
	v_cmp_lt_u64_e32 vcc, s[88:89], v[33:34]
	v_add_u32_e32 v0, 15, v39
	v_cndmask_b32_e32 v2, v13, v0, vcc
	v_cndmask_b32_e64 v0, 0, 1, vcc
	v_lshrrev_b64 v[0:1], v0, v[33:34]
; %bb.2468:                             ;   in Loop: Header=BB6_357 Depth=4
	s_andn2_saveexec_b64 s[28:29], s[28:29]
; %bb.2469:                             ;   in Loop: Header=BB6_357 Depth=4
	v_mov_b32_e32 v0, v33
	v_mov_b32_e32 v1, v34
	v_bfe_u32 v2, v33, 23, 1
; %bb.2470:                             ;   in Loop: Header=BB6_357 Depth=4
	s_or_b64 exec, exec, s[28:29]
	v_lshrrev_b64 v[0:1], 21, v[0:1]
	v_cmp_gt_i32_e32 vcc, 32, v2
	v_cndmask_b32_e32 v1, 0, v1, vcc
	v_cndmask_b32_e32 v0, 3, v0, vcc
	v_cmp_eq_u64_e64 s[28:29], 0, v[0:1]
	v_min_i32_e32 v1, 31, v2
	v_lshlrev_b32_e32 v1, 2, v1
	v_cmp_eq_u32_e32 vcc, 0, v2
	v_and_b32_e32 v1, 0xfc, v1
	v_and_or_b32 v0, v0, 3, v1
	s_and_b64 s[28:29], vcc, s[28:29]
	v_cndmask_b32_e64 v0, v0, 0, s[28:29]
	v_or_b32_e32 v13, v0, v38
.LBB6_2471:                             ;   in Loop: Header=BB6_357 Depth=4
	s_or_b64 exec, exec, s[36:37]
                                        ; implicit-def: $vgpr38
.LBB6_2472:                             ;   in Loop: Header=BB6_357 Depth=4
	s_andn2_saveexec_b64 s[28:29], s[34:35]
; %bb.2473:                             ;   in Loop: Header=BB6_357 Depth=4
	v_or_b32_e32 v13, 0x7b, v38
; %bb.2474:                             ;   in Loop: Header=BB6_357 Depth=4
	s_or_b64 exec, exec, s[28:29]
                                        ; implicit-def: $vgpr0
.LBB6_2475:                             ;   in Loop: Header=BB6_357 Depth=4
	s_andn2_saveexec_b64 s[28:29], s[30:31]
	s_cbranch_execz .LBB6_2481
; %bb.2476:                             ;   in Loop: Header=BB6_357 Depth=4
	v_cmp_ne_u64_e32 vcc, 0, v[33:34]
                                        ; implicit-def: $vgpr13
	s_and_saveexec_b64 s[30:31], vcc
	s_xor_b64 vcc, exec, s[30:31]
; %bb.2477:                             ;   in Loop: Header=BB6_357 Depth=4
	v_or_b32_sdwa v13, v0, s83 dst_sel:DWORD dst_unused:UNUSED_PAD src0_sel:BYTE_3 src1_sel:DWORD
                                        ; implicit-def: $vgpr0
; %bb.2478:                             ;   in Loop: Header=BB6_357 Depth=4
	s_andn2_saveexec_b64 s[30:31], vcc
; %bb.2479:                             ;   in Loop: Header=BB6_357 Depth=4
	v_cmp_lt_i32_e32 vcc, -1, v0
	v_bfrev_b32_e32 v0, 0.5
	v_mov_b32_e32 v1, 0x7c
	v_cndmask_b32_e32 v13, v0, v1, vcc
; %bb.2480:                             ;   in Loop: Header=BB6_357 Depth=4
	s_or_b64 exec, exec, s[30:31]
.LBB6_2481:                             ;   in Loop: Header=BB6_357 Depth=4
	s_or_b64 exec, exec, s[28:29]
	v_cmp_lt_u32_e32 vcc, s57, v14
	v_mov_b32_e32 v1, 0
	v_mov_b32_e32 v2, 0
	s_and_saveexec_b64 s[28:29], vcc
	s_cbranch_execz .LBB6_2489
; %bb.2482:                             ;   in Loop: Header=BB6_357 Depth=4
	v_lshrrev_b32_e32 v0, 24, v14
	v_cmp_ne_u32_e32 vcc, s44, v0
	v_bfrev_b32_e32 v2, 1
	s_and_saveexec_b64 s[30:31], vcc
	s_cbranch_execz .LBB6_2488
; %bb.2483:                             ;   in Loop: Header=BB6_357 Depth=4
	v_and_b32_e32 v2, 0x7c000000, v14
	v_bfe_u32 v33, v14, 24, 2
	v_cmp_ne_u32_e32 vcc, s8, v2
                                        ; implicit-def: $vgpr2
	s_and_saveexec_b64 s[34:35], vcc
	s_xor_b64 s[34:35], exec, s[34:35]
	s_cbranch_execz .LBB6_2485
; %bb.2484:                             ;   in Loop: Header=BB6_357 Depth=4
	v_ffbh_u32_e32 v28, v33
	v_min_u32_e32 v28, 32, v28
	v_subrev_u32_e32 v29, 29, v28
	v_lshlrev_b64 v[38:39], v29, v[0:1]
	v_bfe_u32 v2, v14, 26, 5
	v_sub_u32_e32 v0, 30, v28
	v_and_b32_e32 v28, 3, v38
	v_cmp_eq_u32_e32 vcc, 0, v2
	v_cndmask_b32_e32 v0, v2, v0, vcc
	v_cndmask_b32_e32 v2, v33, v28, vcc
	v_and_b32_e32 v28, 0x80000000, v14
	v_lshl_add_u32 v0, v0, 23, v28
	v_lshl_or_b32 v0, v2, 21, v0
	v_add_u32_e32 v2, 0x38000000, v0
                                        ; implicit-def: $vgpr33
.LBB6_2485:                             ;   in Loop: Header=BB6_357 Depth=4
	s_andn2_saveexec_b64 s[34:35], s[34:35]
; %bb.2486:                             ;   in Loop: Header=BB6_357 Depth=4
	v_cmp_lt_i32_e32 vcc, -1, v14
	v_mov_b32_e32 v0, 0xff800000
	v_mov_b32_e32 v2, 0x7f800000
	v_cndmask_b32_e32 v0, v0, v2, vcc
	v_cmp_eq_u32_e32 vcc, 0, v33
	v_mov_b32_e32 v2, 0x7f800001
	v_cndmask_b32_e32 v2, v2, v0, vcc
; %bb.2487:                             ;   in Loop: Header=BB6_357 Depth=4
	s_or_b64 exec, exec, s[34:35]
.LBB6_2488:                             ;   in Loop: Header=BB6_357 Depth=4
	s_or_b64 exec, exec, s[30:31]
.LBB6_2489:                             ;   in Loop: Header=BB6_357 Depth=4
	s_or_b64 exec, exec, s[28:29]
	v_cmp_lt_u32_e32 vcc, s57, v10
	s_and_saveexec_b64 s[28:29], vcc
	s_cbranch_execz .LBB6_2497
; %bb.2490:                             ;   in Loop: Header=BB6_357 Depth=4
	v_lshrrev_b32_e32 v0, 24, v10
	v_cmp_ne_u32_e32 vcc, s44, v0
	v_bfrev_b32_e32 v1, 1
	s_and_saveexec_b64 s[30:31], vcc
	s_cbranch_execz .LBB6_2496
; %bb.2491:                             ;   in Loop: Header=BB6_357 Depth=4
	v_and_b32_e32 v1, 0x7c000000, v10
	v_bfe_u32 v33, v10, 24, 2
	v_cmp_ne_u32_e32 vcc, s8, v1
                                        ; implicit-def: $vgpr1
	s_and_saveexec_b64 s[34:35], vcc
	s_xor_b64 s[34:35], exec, s[34:35]
	s_cbranch_execz .LBB6_2493
; %bb.2492:                             ;   in Loop: Header=BB6_357 Depth=4
	v_ffbh_u32_e32 v1, v33
	v_min_u32_e32 v29, 32, v1
	v_subrev_u32_e32 v1, 29, v29
	v_bfe_u32 v28, v10, 26, 5
	v_lshlrev_b64 v[0:1], v1, v[0:1]
	v_sub_u32_e32 v1, 30, v29
	v_cmp_eq_u32_e32 vcc, 0, v28
	v_and_b32_e32 v0, 3, v0
	v_cndmask_b32_e32 v1, v28, v1, vcc
	v_and_b32_e32 v28, 0x80000000, v10
	v_cndmask_b32_e32 v0, v33, v0, vcc
	v_lshl_add_u32 v1, v1, 23, v28
	v_lshl_or_b32 v0, v0, 21, v1
	v_add_u32_e32 v1, 0x38000000, v0
                                        ; implicit-def: $vgpr33
.LBB6_2493:                             ;   in Loop: Header=BB6_357 Depth=4
	s_andn2_saveexec_b64 s[34:35], s[34:35]
; %bb.2494:                             ;   in Loop: Header=BB6_357 Depth=4
	v_cmp_lt_i32_e32 vcc, -1, v10
	v_mov_b32_e32 v0, 0xff800000
	v_mov_b32_e32 v1, 0x7f800000
	v_cndmask_b32_e32 v0, v0, v1, vcc
	v_cmp_eq_u32_e32 vcc, 0, v33
	v_mov_b32_e32 v1, 0x7f800001
	v_cndmask_b32_e32 v1, v1, v0, vcc
; %bb.2495:                             ;   in Loop: Header=BB6_357 Depth=4
	s_or_b64 exec, exec, s[34:35]
.LBB6_2496:                             ;   in Loop: Header=BB6_357 Depth=4
	s_or_b64 exec, exec, s[30:31]
.LBB6_2497:                             ;   in Loop: Header=BB6_357 Depth=4
	s_or_b64 exec, exec, s[28:29]
	v_mul_f32_e32 v0, v2, v1
	v_and_b32_e32 v1, 0x7f800000, v0
	v_mov_b32_e32 v2, v34
	v_cmp_ne_u64_e32 vcc, s[76:77], v[1:2]
	v_and_b32_e32 v33, 0x7fffff, v0
                                        ; implicit-def: $vgpr56
	s_and_saveexec_b64 s[28:29], vcc
	s_xor_b64 s[30:31], exec, s[28:29]
	s_cbranch_execz .LBB6_2511
; %bb.2498:                             ;   in Loop: Header=BB6_357 Depth=4
	v_and_b32_e32 v1, 0x7fffffff, v0
	v_mov_b32_e32 v2, v34
	v_cmp_gt_u64_e32 vcc, s[78:79], v[1:2]
	v_and_b32_sdwa v38, v0, s44 dst_sel:DWORD dst_unused:UNUSED_PAD src0_sel:BYTE_3 src1_sel:DWORD
                                        ; implicit-def: $vgpr56
	s_and_saveexec_b64 s[28:29], vcc
	s_xor_b64 s[34:35], exec, s[28:29]
	s_cbranch_execz .LBB6_2508
; %bb.2499:                             ;   in Loop: Header=BB6_357 Depth=4
	v_mov_b32_e32 v56, 0
	v_cmp_ne_u32_e32 vcc, 0, v0
	s_and_saveexec_b64 s[36:37], vcc
	s_cbranch_execz .LBB6_2507
; %bb.2500:                             ;   in Loop: Header=BB6_357 Depth=4
	v_bfe_u32 v39, v0, 23, 8
	v_cmp_gt_u32_e64 s[28:29], s45, v39
	v_sub_u32_e32 v0, 0x71, v39
	v_cmp_eq_u32_e32 vcc, 0, v39
	v_cndmask_b32_e64 v0, 0, v0, s[28:29]
	v_mov_b32_e32 v2, 0x70
	v_cndmask_b32_e32 v50, v0, v2, vcc
	v_or_b32_e32 v1, 0x800000, v33
	v_add_u32_e32 v2, 21, v50
	v_cndmask_b32_e32 v0, v1, v33, vcc
	v_lshlrev_b64 v[32:33], v2, -1
	v_mov_b32_e32 v1, v34
	v_add_u32_e32 v2, 20, v50
	v_bfi_b32 v32, v32, 0, v0
	v_lshlrev_b64 v[56:57], v2, 1
	v_lshrrev_b64 v[0:1], v50, v[0:1]
	v_bfi_b32 v33, v33, 0, 0
	v_cmp_eq_u64_e64 s[28:29], v[32:33], v[56:57]
	v_mov_b32_e32 v2, v1
	v_mov_b32_e32 v1, v0
	s_and_saveexec_b64 s[38:39], s[28:29]
; %bb.2501:                             ;   in Loop: Header=BB6_357 Depth=4
	v_bfe_u32 v1, v0, 21, 1
	v_add_co_u32_e64 v1, s[28:29], v0, v1
	v_add_co_u32_e64 v1, s[28:29], -1, v1
; %bb.2502:                             ;   in Loop: Header=BB6_357 Depth=4
	s_or_b64 exec, exec, s[38:39]
	v_add_u32_e32 v2, 0xffffff81, v39
	v_mov_b32_e32 v28, 0xffffff82
	v_cndmask_b32_e32 v2, v2, v28, vcc
	v_lshrrev_b32_e32 v28, 23, v0
	v_add3_u32 v50, v50, v2, v28
	v_add_u32_e32 v39, 14, v50
	v_and_b32_e32 v1, 0x1fffff, v1
	v_add_u32_e32 v33, v1, v0
	v_cmp_ne_u32_e32 vcc, 0, v39
                                        ; implicit-def: $vgpr0_vgpr1
                                        ; implicit-def: $vgpr2
	s_and_saveexec_b64 s[28:29], vcc
	s_xor_b64 s[28:29], exec, s[28:29]
; %bb.2503:                             ;   in Loop: Header=BB6_357 Depth=4
	v_cmp_lt_u64_e32 vcc, s[88:89], v[33:34]
	v_add_u32_e32 v0, 15, v50
	v_cndmask_b32_e32 v2, v39, v0, vcc
	v_cndmask_b32_e64 v0, 0, 1, vcc
	v_lshrrev_b64 v[0:1], v0, v[33:34]
; %bb.2504:                             ;   in Loop: Header=BB6_357 Depth=4
	s_andn2_saveexec_b64 s[28:29], s[28:29]
; %bb.2505:                             ;   in Loop: Header=BB6_357 Depth=4
	v_mov_b32_e32 v0, v33
	v_mov_b32_e32 v1, v34
	v_bfe_u32 v2, v33, 23, 1
; %bb.2506:                             ;   in Loop: Header=BB6_357 Depth=4
	s_or_b64 exec, exec, s[28:29]
	v_lshrrev_b64 v[0:1], 21, v[0:1]
	v_cmp_gt_i32_e32 vcc, 32, v2
	v_cndmask_b32_e32 v1, 0, v1, vcc
	v_cndmask_b32_e32 v0, 3, v0, vcc
	v_cmp_eq_u64_e64 s[28:29], 0, v[0:1]
	v_min_i32_e32 v1, 31, v2
	v_lshlrev_b32_e32 v1, 2, v1
	v_cmp_eq_u32_e32 vcc, 0, v2
	v_and_b32_e32 v1, 0xfc, v1
	v_and_or_b32 v0, v0, 3, v1
	s_and_b64 s[28:29], vcc, s[28:29]
	v_cndmask_b32_e64 v0, v0, 0, s[28:29]
	v_or_b32_e32 v56, v0, v38
.LBB6_2507:                             ;   in Loop: Header=BB6_357 Depth=4
	s_or_b64 exec, exec, s[36:37]
                                        ; implicit-def: $vgpr38
.LBB6_2508:                             ;   in Loop: Header=BB6_357 Depth=4
	s_andn2_saveexec_b64 s[28:29], s[34:35]
; %bb.2509:                             ;   in Loop: Header=BB6_357 Depth=4
	v_or_b32_e32 v56, 0x7b, v38
; %bb.2510:                             ;   in Loop: Header=BB6_357 Depth=4
	s_or_b64 exec, exec, s[28:29]
                                        ; implicit-def: $vgpr0
.LBB6_2511:                             ;   in Loop: Header=BB6_357 Depth=4
	s_andn2_saveexec_b64 s[28:29], s[30:31]
	s_cbranch_execz .LBB6_2517
; %bb.2512:                             ;   in Loop: Header=BB6_357 Depth=4
	v_cmp_ne_u64_e32 vcc, 0, v[33:34]
                                        ; implicit-def: $vgpr56
	s_and_saveexec_b64 s[30:31], vcc
	s_xor_b64 vcc, exec, s[30:31]
; %bb.2513:                             ;   in Loop: Header=BB6_357 Depth=4
	v_or_b32_sdwa v56, v0, s83 dst_sel:DWORD dst_unused:UNUSED_PAD src0_sel:BYTE_3 src1_sel:DWORD
                                        ; implicit-def: $vgpr0
; %bb.2514:                             ;   in Loop: Header=BB6_357 Depth=4
	s_andn2_saveexec_b64 s[30:31], vcc
; %bb.2515:                             ;   in Loop: Header=BB6_357 Depth=4
	v_cmp_lt_i32_e32 vcc, -1, v0
	v_bfrev_b32_e32 v0, 0.5
	v_mov_b32_e32 v1, 0x7c
	v_cndmask_b32_e32 v56, v0, v1, vcc
; %bb.2516:                             ;   in Loop: Header=BB6_357 Depth=4
	s_or_b64 exec, exec, s[30:31]
.LBB6_2517:                             ;   in Loop: Header=BB6_357 Depth=4
	s_or_b64 exec, exec, s[28:29]
	v_mov_b32_e32 v33, v15
	v_cmp_ne_u16_sdwa vcc, v15, v34 src0_sel:BYTE_0 src1_sel:DWORD
	v_mov_b32_e32 v1, 0
	v_mov_b32_e32 v0, 0
	s_and_saveexec_b64 s[28:29], vcc
	s_cbranch_execz .LBB6_2525
; %bb.2518:                             ;   in Loop: Header=BB6_357 Depth=4
	v_cmp_ne_u16_sdwa vcc, v15, s44 src0_sel:BYTE_0 src1_sel:DWORD
	v_bfrev_b32_e32 v0, 1
	s_and_saveexec_b64 s[30:31], vcc
	s_cbranch_execz .LBB6_2524
; %bb.2519:                             ;   in Loop: Header=BB6_357 Depth=4
	v_and_b32_e32 v0, 0x7c, v15
	v_and_b32_e32 v2, 3, v15
	v_cmp_ne_u32_e32 vcc, s81, v0
                                        ; implicit-def: $vgpr0
	s_and_saveexec_b64 s[34:35], vcc
	s_xor_b64 s[34:35], exec, s[34:35]
	s_cbranch_execz .LBB6_2521
; %bb.2520:                             ;   in Loop: Header=BB6_357 Depth=4
	v_ffbh_u32_e32 v28, v2
	v_min_u32_e32 v28, 32, v28
	v_bfe_u32 v0, v15, 2, 5
	v_subrev_u32_e32 v29, 29, v28
	v_lshlrev_b64 v[38:39], v29, v[33:34]
	v_sub_u32_e32 v28, 30, v28
	v_cmp_eq_u32_e32 vcc, 0, v0
	v_cndmask_b32_e32 v0, v0, v28, vcc
	v_lshlrev_b32_e32 v28, 24, v15
	v_and_b32_e32 v29, 3, v38
	v_and_b32_e32 v28, 0x80000000, v28
	v_cndmask_b32_e32 v2, v2, v29, vcc
	v_lshl_add_u32 v0, v0, 23, v28
	v_lshl_or_b32 v0, v2, 21, v0
	v_add_u32_e32 v0, 0x38000000, v0
                                        ; implicit-def: $vgpr2
.LBB6_2521:                             ;   in Loop: Header=BB6_357 Depth=4
	s_andn2_saveexec_b64 s[34:35], s[34:35]
; %bb.2522:                             ;   in Loop: Header=BB6_357 Depth=4
	v_mov_b32_e32 v0, -1
	v_cmp_gt_i16_sdwa vcc, sext(v15), v0 src0_sel:BYTE_0 src1_sel:DWORD
	v_mov_b32_e32 v0, 0xff800000
	v_mov_b32_e32 v28, 0x7f800000
	v_cndmask_b32_e32 v0, v0, v28, vcc
	v_cmp_eq_u32_e32 vcc, 0, v2
	v_mov_b32_e32 v2, 0x7f800001
	v_cndmask_b32_e32 v0, v2, v0, vcc
; %bb.2523:                             ;   in Loop: Header=BB6_357 Depth=4
	s_or_b64 exec, exec, s[34:35]
.LBB6_2524:                             ;   in Loop: Header=BB6_357 Depth=4
	s_or_b64 exec, exec, s[30:31]
.LBB6_2525:                             ;   in Loop: Header=BB6_357 Depth=4
	s_or_b64 exec, exec, s[28:29]
	v_cmp_ne_u16_sdwa vcc, v11, v34 src0_sel:BYTE_0 src1_sel:DWORD
	s_and_saveexec_b64 s[28:29], vcc
	s_cbranch_execz .LBB6_2533
; %bb.2526:                             ;   in Loop: Header=BB6_357 Depth=4
	v_cmp_ne_u16_sdwa vcc, v11, s44 src0_sel:BYTE_0 src1_sel:DWORD
	v_bfrev_b32_e32 v1, 1
	s_and_saveexec_b64 s[30:31], vcc
	s_cbranch_execz .LBB6_2532
; %bb.2527:                             ;   in Loop: Header=BB6_357 Depth=4
	v_and_b32_e32 v1, 0x7c, v11
	v_and_b32_e32 v2, 3, v11
	v_cmp_ne_u32_e32 vcc, s81, v1
                                        ; implicit-def: $vgpr1
	s_and_saveexec_b64 s[34:35], vcc
	s_xor_b64 s[34:35], exec, s[34:35]
	s_cbranch_execz .LBB6_2529
; %bb.2528:                             ;   in Loop: Header=BB6_357 Depth=4
	v_ffbh_u32_e32 v28, v2
	v_min_u32_e32 v28, 32, v28
	v_mov_b32_e32 v38, v11
	v_mov_b32_e32 v39, v34
	v_bfe_u32 v1, v11, 2, 5
	v_subrev_u32_e32 v29, 29, v28
	v_lshlrev_b64 v[38:39], v29, v[38:39]
	v_sub_u32_e32 v28, 30, v28
	v_cmp_eq_u32_e32 vcc, 0, v1
	v_cndmask_b32_e32 v1, v1, v28, vcc
	v_lshlrev_b32_e32 v28, 24, v11
	v_and_b32_e32 v29, 3, v38
	v_and_b32_e32 v28, 0x80000000, v28
	v_cndmask_b32_e32 v2, v2, v29, vcc
	v_lshl_add_u32 v1, v1, 23, v28
	v_lshl_or_b32 v1, v2, 21, v1
	v_add_u32_e32 v1, 0x38000000, v1
                                        ; implicit-def: $vgpr2
.LBB6_2529:                             ;   in Loop: Header=BB6_357 Depth=4
	s_andn2_saveexec_b64 s[34:35], s[34:35]
; %bb.2530:                             ;   in Loop: Header=BB6_357 Depth=4
	v_mov_b32_e32 v1, -1
	v_cmp_gt_i16_sdwa vcc, sext(v11), v1 src0_sel:BYTE_0 src1_sel:DWORD
	v_mov_b32_e32 v1, 0xff800000
	v_mov_b32_e32 v28, 0x7f800000
	v_cndmask_b32_e32 v1, v1, v28, vcc
	v_cmp_eq_u32_e32 vcc, 0, v2
	v_mov_b32_e32 v2, 0x7f800001
	v_cndmask_b32_e32 v1, v2, v1, vcc
; %bb.2531:                             ;   in Loop: Header=BB6_357 Depth=4
	s_or_b64 exec, exec, s[34:35]
.LBB6_2532:                             ;   in Loop: Header=BB6_357 Depth=4
	s_or_b64 exec, exec, s[30:31]
.LBB6_2533:                             ;   in Loop: Header=BB6_357 Depth=4
	s_or_b64 exec, exec, s[28:29]
	v_mul_f32_e32 v2, v0, v1
	v_and_b32_e32 v38, 0x7f800000, v2
	v_mov_b32_e32 v39, v34
	v_cmp_ne_u64_e32 vcc, s[76:77], v[38:39]
	v_and_b32_e32 v0, 0x7fffff, v2
	v_mov_b32_e32 v1, v34
                                        ; implicit-def: $vgpr57
	s_and_saveexec_b64 s[28:29], vcc
	s_xor_b64 s[30:31], exec, s[28:29]
	s_cbranch_execz .LBB6_2547
; %bb.2534:                             ;   in Loop: Header=BB6_357 Depth=4
	v_and_b32_e32 v38, 0x7fffffff, v2
	v_mov_b32_e32 v39, v34
	v_cmp_gt_u64_e32 vcc, s[78:79], v[38:39]
	v_and_b32_sdwa v38, v2, s44 dst_sel:DWORD dst_unused:UNUSED_PAD src0_sel:BYTE_3 src1_sel:DWORD
                                        ; implicit-def: $vgpr57
	s_and_saveexec_b64 s[28:29], vcc
	s_xor_b64 s[34:35], exec, s[28:29]
	s_cbranch_execz .LBB6_2544
; %bb.2535:                             ;   in Loop: Header=BB6_357 Depth=4
	v_mov_b32_e32 v57, 0
	v_cmp_ne_u32_e32 vcc, 0, v2
	s_and_saveexec_b64 s[36:37], vcc
	s_cbranch_execz .LBB6_2543
; %bb.2536:                             ;   in Loop: Header=BB6_357 Depth=4
	v_bfe_u32 v39, v2, 23, 8
	v_cmp_gt_u32_e64 s[28:29], s45, v39
	v_sub_u32_e32 v2, 0x71, v39
	v_cmp_eq_u32_e32 vcc, 0, v39
	v_cndmask_b32_e64 v2, 0, v2, s[28:29]
	v_mov_b32_e32 v29, 0x70
	v_cndmask_b32_e32 v50, v2, v29, vcc
	v_add_u32_e32 v2, 21, v50
	v_mov_b32_e32 v32, v58
	v_or_b32_e32 v28, 0x800000, v0
	v_lshlrev_b64 v[57:58], v2, -1
	v_cndmask_b32_e32 v0, v28, v0, vcc
	v_add_u32_e32 v2, 20, v50
	v_bfi_b32 v57, v57, 0, v0
	v_lshlrev_b64 v[28:29], v2, 1
	v_lshrrev_b64 v[0:1], v50, v[0:1]
	v_bfi_b32 v58, v58, 0, 0
	v_cmp_eq_u64_e64 s[28:29], v[57:58], v[28:29]
	v_mov_b32_e32 v2, v1
	v_mov_b32_e32 v1, v0
	s_and_saveexec_b64 s[38:39], s[28:29]
; %bb.2537:                             ;   in Loop: Header=BB6_357 Depth=4
	v_bfe_u32 v1, v0, 21, 1
	v_add_co_u32_e64 v1, s[28:29], v0, v1
	v_add_co_u32_e64 v1, s[28:29], -1, v1
; %bb.2538:                             ;   in Loop: Header=BB6_357 Depth=4
	s_or_b64 exec, exec, s[38:39]
	v_add_u32_e32 v2, 0xffffff81, v39
	v_mov_b32_e32 v28, 0xffffff82
	v_cndmask_b32_e32 v2, v2, v28, vcc
	v_lshrrev_b32_e32 v28, 23, v0
	v_add3_u32 v50, v50, v2, v28
	v_add_u32_e32 v39, 14, v50
	v_and_b32_e32 v1, 0x1fffff, v1
	v_add_u32_e32 v0, v1, v0
	v_mov_b32_e32 v1, v34
	v_cmp_ne_u32_e32 vcc, 0, v39
                                        ; implicit-def: $vgpr2
	s_and_saveexec_b64 s[28:29], vcc
	s_xor_b64 s[28:29], exec, s[28:29]
; %bb.2539:                             ;   in Loop: Header=BB6_357 Depth=4
	v_cmp_lt_u64_e32 vcc, s[88:89], v[0:1]
	v_add_u32_e32 v2, 15, v50
	v_cndmask_b32_e64 v28, 0, 1, vcc
	v_lshrrev_b64 v[0:1], v28, v[0:1]
	v_cndmask_b32_e32 v2, v39, v2, vcc
; %bb.2540:                             ;   in Loop: Header=BB6_357 Depth=4
	s_or_saveexec_b64 s[28:29], s[28:29]
	v_mov_b32_e32 v58, v32
	s_xor_b64 exec, exec, s[28:29]
; %bb.2541:                             ;   in Loop: Header=BB6_357 Depth=4
	v_bfe_u32 v2, v0, 23, 1
; %bb.2542:                             ;   in Loop: Header=BB6_357 Depth=4
	s_or_b64 exec, exec, s[28:29]
	v_lshrrev_b64 v[0:1], 21, v[0:1]
	v_cmp_gt_i32_e32 vcc, 32, v2
	v_cndmask_b32_e32 v1, 0, v1, vcc
	v_cndmask_b32_e32 v0, 3, v0, vcc
	v_cmp_eq_u64_e64 s[28:29], 0, v[0:1]
	v_min_i32_e32 v1, 31, v2
	v_lshlrev_b32_e32 v1, 2, v1
	v_cmp_eq_u32_e32 vcc, 0, v2
	v_and_b32_e32 v1, 0xfc, v1
	v_and_or_b32 v0, v0, 3, v1
	s_and_b64 s[28:29], vcc, s[28:29]
	v_cndmask_b32_e64 v0, v0, 0, s[28:29]
	v_or_b32_e32 v57, v0, v38
.LBB6_2543:                             ;   in Loop: Header=BB6_357 Depth=4
	s_or_b64 exec, exec, s[36:37]
                                        ; implicit-def: $vgpr38
.LBB6_2544:                             ;   in Loop: Header=BB6_357 Depth=4
	s_andn2_saveexec_b64 s[28:29], s[34:35]
; %bb.2545:                             ;   in Loop: Header=BB6_357 Depth=4
	v_or_b32_e32 v57, 0x7b, v38
; %bb.2546:                             ;   in Loop: Header=BB6_357 Depth=4
	s_or_b64 exec, exec, s[28:29]
                                        ; implicit-def: $vgpr2
                                        ; implicit-def: $vgpr0_vgpr1
.LBB6_2547:                             ;   in Loop: Header=BB6_357 Depth=4
	s_andn2_saveexec_b64 s[28:29], s[30:31]
	s_cbranch_execz .LBB6_2553
; %bb.2548:                             ;   in Loop: Header=BB6_357 Depth=4
	v_cmp_ne_u64_e32 vcc, 0, v[0:1]
                                        ; implicit-def: $vgpr57
	s_and_saveexec_b64 s[30:31], vcc
	s_xor_b64 vcc, exec, s[30:31]
; %bb.2549:                             ;   in Loop: Header=BB6_357 Depth=4
	v_or_b32_sdwa v57, v2, s83 dst_sel:DWORD dst_unused:UNUSED_PAD src0_sel:BYTE_3 src1_sel:DWORD
                                        ; implicit-def: $vgpr2
; %bb.2550:                             ;   in Loop: Header=BB6_357 Depth=4
	s_andn2_saveexec_b64 s[30:31], vcc
; %bb.2551:                             ;   in Loop: Header=BB6_357 Depth=4
	v_cmp_lt_i32_e32 vcc, -1, v2
	v_bfrev_b32_e32 v0, 0.5
	v_mov_b32_e32 v1, 0x7c
	v_cndmask_b32_e32 v57, v0, v1, vcc
; %bb.2552:                             ;   in Loop: Header=BB6_357 Depth=4
	s_or_b64 exec, exec, s[30:31]
.LBB6_2553:                             ;   in Loop: Header=BB6_357 Depth=4
	s_or_b64 exec, exec, s[28:29]
	v_lshrrev_b16_e32 v0, 8, v33
	v_cmp_ne_u16_e32 vcc, 0, v0
	v_mov_b32_e32 v2, 0
	v_mov_b32_e32 v38, 0
	s_and_saveexec_b64 s[28:29], vcc
	s_cbranch_execz .LBB6_2561
; %bb.2554:                             ;   in Loop: Header=BB6_357 Depth=4
	v_cmp_ne_u16_e32 vcc, s44, v0
	v_bfrev_b32_e32 v38, 1
	s_and_saveexec_b64 s[30:31], vcc
	s_cbranch_execz .LBB6_2560
; %bb.2555:                             ;   in Loop: Header=BB6_357 Depth=4
	v_and_b32_e32 v1, 0x7c, v0
	v_and_b32_e32 v39, 3, v0
	v_cmp_ne_u32_e32 vcc, s81, v1
                                        ; implicit-def: $vgpr38
	s_and_saveexec_b64 s[34:35], vcc
	s_xor_b64 s[34:35], exec, s[34:35]
	s_cbranch_execz .LBB6_2557
; %bb.2556:                             ;   in Loop: Header=BB6_357 Depth=4
	v_ffbh_u32_e32 v29, v39
	v_min_u32_e32 v29, 32, v29
	v_mov_b32_e32 v1, v34
	v_subrev_u32_e32 v32, 29, v29
	v_bfe_u32 v28, v0, 2, 5
	v_lshlrev_b64 v[0:1], v32, v[0:1]
	v_sub_u32_e32 v1, 30, v29
	v_cmp_eq_u32_e32 vcc, 0, v28
	v_cndmask_b32_e32 v1, v28, v1, vcc
	v_lshlrev_b32_e32 v28, 16, v33
	v_and_b32_e32 v0, 3, v0
	v_and_b32_e32 v28, 0x80000000, v28
	v_cndmask_b32_e32 v0, v39, v0, vcc
	v_lshl_add_u32 v1, v1, 23, v28
	v_lshl_or_b32 v0, v0, 21, v1
	v_add_u32_e32 v38, 0x38000000, v0
                                        ; implicit-def: $vgpr39
.LBB6_2557:                             ;   in Loop: Header=BB6_357 Depth=4
	s_andn2_saveexec_b64 s[34:35], s[34:35]
; %bb.2558:                             ;   in Loop: Header=BB6_357 Depth=4
	v_cmp_lt_i16_e32 vcc, -1, v33
	v_mov_b32_e32 v0, 0xff800000
	v_mov_b32_e32 v1, 0x7f800000
	v_cndmask_b32_e32 v0, v0, v1, vcc
	v_cmp_eq_u32_e32 vcc, 0, v39
	v_mov_b32_e32 v1, 0x7f800001
	v_cndmask_b32_e32 v38, v1, v0, vcc
; %bb.2559:                             ;   in Loop: Header=BB6_357 Depth=4
	s_or_b64 exec, exec, s[34:35]
.LBB6_2560:                             ;   in Loop: Header=BB6_357 Depth=4
	s_or_b64 exec, exec, s[30:31]
.LBB6_2561:                             ;   in Loop: Header=BB6_357 Depth=4
	s_or_b64 exec, exec, s[28:29]
	v_lshrrev_b16_e32 v0, 8, v11
	v_cmp_ne_u16_e32 vcc, 0, v0
	s_and_saveexec_b64 s[28:29], vcc
	s_cbranch_execz .LBB6_2569
; %bb.2562:                             ;   in Loop: Header=BB6_357 Depth=4
	v_cmp_ne_u16_e32 vcc, s44, v0
	v_bfrev_b32_e32 v2, 1
	s_and_saveexec_b64 s[30:31], vcc
	s_cbranch_execz .LBB6_2568
; %bb.2563:                             ;   in Loop: Header=BB6_357 Depth=4
	v_and_b32_e32 v1, 0x7c, v0
	v_and_b32_e32 v33, 3, v0
	v_cmp_ne_u32_e32 vcc, s81, v1
                                        ; implicit-def: $vgpr2
	s_and_saveexec_b64 s[34:35], vcc
	s_xor_b64 s[34:35], exec, s[34:35]
	s_cbranch_execz .LBB6_2565
; %bb.2564:                             ;   in Loop: Header=BB6_357 Depth=4
	v_ffbh_u32_e32 v28, v33
	v_min_u32_e32 v28, 32, v28
	v_mov_b32_e32 v1, v34
	v_subrev_u32_e32 v29, 29, v28
	v_bfe_u32 v2, v0, 2, 5
	v_lshlrev_b64 v[0:1], v29, v[0:1]
	v_sub_u32_e32 v1, 30, v28
	v_cmp_eq_u32_e32 vcc, 0, v2
	v_cndmask_b32_e32 v1, v2, v1, vcc
	v_lshlrev_b32_e32 v2, 16, v11
	v_and_b32_e32 v0, 3, v0
	v_and_b32_e32 v2, 0x80000000, v2
	v_cndmask_b32_e32 v0, v33, v0, vcc
	v_lshl_add_u32 v1, v1, 23, v2
	v_lshl_or_b32 v0, v0, 21, v1
	v_add_u32_e32 v2, 0x38000000, v0
                                        ; implicit-def: $vgpr33
.LBB6_2565:                             ;   in Loop: Header=BB6_357 Depth=4
	s_andn2_saveexec_b64 s[34:35], s[34:35]
; %bb.2566:                             ;   in Loop: Header=BB6_357 Depth=4
	v_cmp_lt_i16_e32 vcc, -1, v11
	v_mov_b32_e32 v0, 0xff800000
	v_mov_b32_e32 v1, 0x7f800000
	v_cndmask_b32_e32 v0, v0, v1, vcc
	v_cmp_eq_u32_e32 vcc, 0, v33
	v_mov_b32_e32 v1, 0x7f800001
	v_cndmask_b32_e32 v2, v1, v0, vcc
; %bb.2567:                             ;   in Loop: Header=BB6_357 Depth=4
	s_or_b64 exec, exec, s[34:35]
.LBB6_2568:                             ;   in Loop: Header=BB6_357 Depth=4
	s_or_b64 exec, exec, s[30:31]
.LBB6_2569:                             ;   in Loop: Header=BB6_357 Depth=4
	s_or_b64 exec, exec, s[28:29]
	v_mul_f32_e32 v0, v38, v2
	v_and_b32_e32 v1, 0x7f800000, v0
	v_mov_b32_e32 v2, v34
	v_cmp_ne_u64_e32 vcc, s[76:77], v[1:2]
	v_and_b32_e32 v33, 0x7fffff, v0
                                        ; implicit-def: $vgpr38
	s_and_saveexec_b64 s[28:29], vcc
	s_xor_b64 s[30:31], exec, s[28:29]
	s_cbranch_execz .LBB6_2583
; %bb.2570:                             ;   in Loop: Header=BB6_357 Depth=4
	v_and_b32_e32 v1, 0x7fffffff, v0
	v_mov_b32_e32 v2, v34
	v_cmp_gt_u64_e32 vcc, s[78:79], v[1:2]
	v_and_b32_sdwa v39, v0, s44 dst_sel:DWORD dst_unused:UNUSED_PAD src0_sel:BYTE_3 src1_sel:DWORD
                                        ; implicit-def: $vgpr38
	s_and_saveexec_b64 s[28:29], vcc
	s_xor_b64 s[34:35], exec, s[28:29]
	s_cbranch_execz .LBB6_2580
; %bb.2571:                             ;   in Loop: Header=BB6_357 Depth=4
	v_mov_b32_e32 v38, 0
	v_cmp_ne_u32_e32 vcc, 0, v0
	s_and_saveexec_b64 s[36:37], vcc
	s_cbranch_execz .LBB6_2579
; %bb.2572:                             ;   in Loop: Header=BB6_357 Depth=4
	v_bfe_u32 v38, v0, 23, 8
	v_cmp_gt_u32_e64 s[28:29], s45, v38
	v_sub_u32_e32 v0, 0x71, v38
	v_cmp_eq_u32_e32 vcc, 0, v38
	v_cndmask_b32_e64 v0, 0, v0, s[28:29]
	v_mov_b32_e32 v2, 0x70
	v_cndmask_b32_e32 v50, v0, v2, vcc
	v_add_u32_e32 v2, 21, v50
	v_or_b32_e32 v1, 0x800000, v33
	v_lshlrev_b64 v[28:29], v2, -1
	v_cndmask_b32_e32 v0, v1, v33, vcc
	v_mov_b32_e32 v1, v34
	v_add_u32_e32 v2, 20, v50
	v_bfi_b32 v28, v28, 0, v0
	v_lshlrev_b64 v[32:33], v2, 1
	v_lshrrev_b64 v[0:1], v50, v[0:1]
	v_bfi_b32 v29, v29, 0, 0
	v_cmp_eq_u64_e64 s[28:29], v[28:29], v[32:33]
	v_mov_b32_e32 v2, v1
	v_mov_b32_e32 v1, v0
	s_and_saveexec_b64 s[38:39], s[28:29]
; %bb.2573:                             ;   in Loop: Header=BB6_357 Depth=4
	v_bfe_u32 v1, v0, 21, 1
	v_add_co_u32_e64 v1, s[28:29], v0, v1
	v_add_co_u32_e64 v1, s[28:29], -1, v1
; %bb.2574:                             ;   in Loop: Header=BB6_357 Depth=4
	s_or_b64 exec, exec, s[38:39]
	v_add_u32_e32 v2, 0xffffff81, v38
	v_mov_b32_e32 v28, 0xffffff82
	v_cndmask_b32_e32 v2, v2, v28, vcc
	v_lshrrev_b32_e32 v28, 23, v0
	v_add3_u32 v50, v50, v2, v28
	v_add_u32_e32 v38, 14, v50
	v_and_b32_e32 v1, 0x1fffff, v1
	v_add_u32_e32 v33, v1, v0
	v_cmp_ne_u32_e32 vcc, 0, v38
                                        ; implicit-def: $vgpr0_vgpr1
                                        ; implicit-def: $vgpr2
	s_and_saveexec_b64 s[28:29], vcc
	s_xor_b64 s[28:29], exec, s[28:29]
; %bb.2575:                             ;   in Loop: Header=BB6_357 Depth=4
	v_cmp_lt_u64_e32 vcc, s[88:89], v[33:34]
	v_add_u32_e32 v0, 15, v50
	v_cndmask_b32_e32 v2, v38, v0, vcc
	v_cndmask_b32_e64 v0, 0, 1, vcc
	v_lshrrev_b64 v[0:1], v0, v[33:34]
; %bb.2576:                             ;   in Loop: Header=BB6_357 Depth=4
	s_andn2_saveexec_b64 s[28:29], s[28:29]
; %bb.2577:                             ;   in Loop: Header=BB6_357 Depth=4
	v_mov_b32_e32 v0, v33
	v_mov_b32_e32 v1, v34
	v_bfe_u32 v2, v33, 23, 1
; %bb.2578:                             ;   in Loop: Header=BB6_357 Depth=4
	s_or_b64 exec, exec, s[28:29]
	v_lshrrev_b64 v[0:1], 21, v[0:1]
	v_cmp_gt_i32_e32 vcc, 32, v2
	v_cndmask_b32_e32 v1, 0, v1, vcc
	v_cndmask_b32_e32 v0, 3, v0, vcc
	v_cmp_eq_u64_e64 s[28:29], 0, v[0:1]
	v_min_i32_e32 v1, 31, v2
	v_lshlrev_b32_e32 v1, 2, v1
	v_cmp_eq_u32_e32 vcc, 0, v2
	v_and_b32_e32 v1, 0xfc, v1
	v_and_or_b32 v0, v0, 3, v1
	s_and_b64 s[28:29], vcc, s[28:29]
	v_cndmask_b32_e64 v0, v0, 0, s[28:29]
	v_or_b32_e32 v38, v0, v39
.LBB6_2579:                             ;   in Loop: Header=BB6_357 Depth=4
	s_or_b64 exec, exec, s[36:37]
                                        ; implicit-def: $vgpr39
.LBB6_2580:                             ;   in Loop: Header=BB6_357 Depth=4
	s_andn2_saveexec_b64 s[28:29], s[34:35]
; %bb.2581:                             ;   in Loop: Header=BB6_357 Depth=4
	v_or_b32_e32 v38, 0x7b, v39
; %bb.2582:                             ;   in Loop: Header=BB6_357 Depth=4
	s_or_b64 exec, exec, s[28:29]
                                        ; implicit-def: $vgpr0
.LBB6_2583:                             ;   in Loop: Header=BB6_357 Depth=4
	s_andn2_saveexec_b64 s[28:29], s[30:31]
	s_cbranch_execz .LBB6_2589
; %bb.2584:                             ;   in Loop: Header=BB6_357 Depth=4
	v_cmp_ne_u64_e32 vcc, 0, v[33:34]
                                        ; implicit-def: $vgpr38
	s_and_saveexec_b64 s[30:31], vcc
	s_xor_b64 vcc, exec, s[30:31]
; %bb.2585:                             ;   in Loop: Header=BB6_357 Depth=4
	v_or_b32_sdwa v38, v0, s83 dst_sel:DWORD dst_unused:UNUSED_PAD src0_sel:BYTE_3 src1_sel:DWORD
                                        ; implicit-def: $vgpr0
; %bb.2586:                             ;   in Loop: Header=BB6_357 Depth=4
	s_andn2_saveexec_b64 s[30:31], vcc
; %bb.2587:                             ;   in Loop: Header=BB6_357 Depth=4
	v_cmp_lt_i32_e32 vcc, -1, v0
	v_bfrev_b32_e32 v0, 0.5
	v_mov_b32_e32 v1, 0x7c
	v_cndmask_b32_e32 v38, v0, v1, vcc
; %bb.2588:                             ;   in Loop: Header=BB6_357 Depth=4
	s_or_b64 exec, exec, s[30:31]
.LBB6_2589:                             ;   in Loop: Header=BB6_357 Depth=4
	s_or_b64 exec, exec, s[28:29]
	v_lshrrev_b32_e32 v0, 16, v15
	v_cmp_ne_u16_sdwa vcc, v0, v34 src0_sel:BYTE_0 src1_sel:DWORD
	v_mov_b32_e32 v1, 0
	v_mov_b32_e32 v2, 0
	s_and_saveexec_b64 s[28:29], vcc
	s_cbranch_execz .LBB6_2597
; %bb.2590:                             ;   in Loop: Header=BB6_357 Depth=4
	v_cmp_ne_u16_sdwa vcc, v0, s44 src0_sel:BYTE_0 src1_sel:DWORD
	v_bfrev_b32_e32 v2, 1
	s_and_saveexec_b64 s[30:31], vcc
	s_cbranch_execz .LBB6_2596
; %bb.2591:                             ;   in Loop: Header=BB6_357 Depth=4
	v_and_b32_e32 v2, 0x7c0000, v15
	v_bfe_u32 v33, v15, 16, 2
	v_cmp_ne_u32_e32 vcc, s9, v2
                                        ; implicit-def: $vgpr2
	s_and_saveexec_b64 s[34:35], vcc
	s_xor_b64 s[34:35], exec, s[34:35]
	s_cbranch_execz .LBB6_2593
; %bb.2592:                             ;   in Loop: Header=BB6_357 Depth=4
	v_ffbh_u32_e32 v28, v33
	v_min_u32_e32 v32, 32, v28
	v_subrev_u32_e32 v28, 29, v32
	v_lshlrev_b64 v[28:29], v28, v[0:1]
	v_bfe_u32 v2, v15, 18, 5
	v_sub_u32_e32 v0, 30, v32
	v_and_b32_e32 v28, 3, v28
	v_cmp_eq_u32_e32 vcc, 0, v2
	v_cndmask_b32_e32 v0, v2, v0, vcc
	v_cndmask_b32_e32 v2, v33, v28, vcc
	v_lshlrev_b32_e32 v28, 8, v15
	v_and_b32_e32 v28, 0x80000000, v28
	v_lshl_add_u32 v0, v0, 23, v28
	v_lshl_or_b32 v0, v2, 21, v0
	v_add_u32_e32 v2, 0x38000000, v0
                                        ; implicit-def: $vgpr33
                                        ; implicit-def: $vgpr0
.LBB6_2593:                             ;   in Loop: Header=BB6_357 Depth=4
	s_andn2_saveexec_b64 s[34:35], s[34:35]
; %bb.2594:                             ;   in Loop: Header=BB6_357 Depth=4
	v_mov_b32_e32 v2, -1
	v_cmp_gt_i16_sdwa vcc, sext(v0), v2 src0_sel:BYTE_0 src1_sel:DWORD
	v_mov_b32_e32 v0, 0xff800000
	v_mov_b32_e32 v2, 0x7f800000
	v_cndmask_b32_e32 v0, v0, v2, vcc
	v_cmp_eq_u32_e32 vcc, 0, v33
	v_mov_b32_e32 v2, 0x7f800001
	v_cndmask_b32_e32 v2, v2, v0, vcc
; %bb.2595:                             ;   in Loop: Header=BB6_357 Depth=4
	s_or_b64 exec, exec, s[34:35]
.LBB6_2596:                             ;   in Loop: Header=BB6_357 Depth=4
	s_or_b64 exec, exec, s[30:31]
.LBB6_2597:                             ;   in Loop: Header=BB6_357 Depth=4
	s_or_b64 exec, exec, s[28:29]
	v_lshrrev_b32_e32 v0, 16, v11
	v_cmp_ne_u16_sdwa vcc, v0, v34 src0_sel:BYTE_0 src1_sel:DWORD
	s_and_saveexec_b64 s[28:29], vcc
	s_cbranch_execz .LBB6_2605
; %bb.2598:                             ;   in Loop: Header=BB6_357 Depth=4
	v_cmp_ne_u16_sdwa vcc, v0, s44 src0_sel:BYTE_0 src1_sel:DWORD
	v_bfrev_b32_e32 v1, 1
	s_and_saveexec_b64 s[30:31], vcc
	s_cbranch_execz .LBB6_2604
; %bb.2599:                             ;   in Loop: Header=BB6_357 Depth=4
	v_and_b32_e32 v1, 0x7c0000, v11
	v_bfe_u32 v33, v11, 16, 2
	v_cmp_ne_u32_e32 vcc, s9, v1
                                        ; implicit-def: $vgpr1
	s_and_saveexec_b64 s[34:35], vcc
	s_xor_b64 s[34:35], exec, s[34:35]
	s_cbranch_execz .LBB6_2601
; %bb.2600:                             ;   in Loop: Header=BB6_357 Depth=4
	v_ffbh_u32_e32 v1, v33
	v_min_u32_e32 v29, 32, v1
	v_subrev_u32_e32 v1, 29, v29
	v_bfe_u32 v28, v11, 18, 5
	v_lshlrev_b64 v[0:1], v1, v[0:1]
	v_sub_u32_e32 v1, 30, v29
	v_cmp_eq_u32_e32 vcc, 0, v28
	v_cndmask_b32_e32 v1, v28, v1, vcc
	v_lshlrev_b32_e32 v28, 8, v11
	v_and_b32_e32 v0, 3, v0
	v_and_b32_e32 v28, 0x80000000, v28
	v_cndmask_b32_e32 v0, v33, v0, vcc
	v_lshl_add_u32 v1, v1, 23, v28
	v_lshl_or_b32 v0, v0, 21, v1
	v_add_u32_e32 v1, 0x38000000, v0
                                        ; implicit-def: $vgpr33
                                        ; implicit-def: $vgpr0
.LBB6_2601:                             ;   in Loop: Header=BB6_357 Depth=4
	s_andn2_saveexec_b64 s[34:35], s[34:35]
; %bb.2602:                             ;   in Loop: Header=BB6_357 Depth=4
	v_mov_b32_e32 v1, -1
	v_cmp_gt_i16_sdwa vcc, sext(v0), v1 src0_sel:BYTE_0 src1_sel:DWORD
	v_mov_b32_e32 v0, 0xff800000
	v_mov_b32_e32 v1, 0x7f800000
	v_cndmask_b32_e32 v0, v0, v1, vcc
	v_cmp_eq_u32_e32 vcc, 0, v33
	v_mov_b32_e32 v1, 0x7f800001
	v_cndmask_b32_e32 v1, v1, v0, vcc
; %bb.2603:                             ;   in Loop: Header=BB6_357 Depth=4
	s_or_b64 exec, exec, s[34:35]
.LBB6_2604:                             ;   in Loop: Header=BB6_357 Depth=4
	s_or_b64 exec, exec, s[30:31]
.LBB6_2605:                             ;   in Loop: Header=BB6_357 Depth=4
	s_or_b64 exec, exec, s[28:29]
	v_mul_f32_e32 v0, v2, v1
	v_and_b32_e32 v1, 0x7f800000, v0
	v_mov_b32_e32 v2, v34
	v_cmp_ne_u64_e32 vcc, s[76:77], v[1:2]
	v_and_b32_e32 v33, 0x7fffff, v0
                                        ; implicit-def: $vgpr39
	s_and_saveexec_b64 s[28:29], vcc
	s_xor_b64 s[30:31], exec, s[28:29]
	s_cbranch_execz .LBB6_2619
; %bb.2606:                             ;   in Loop: Header=BB6_357 Depth=4
	v_and_b32_e32 v1, 0x7fffffff, v0
	v_mov_b32_e32 v2, v34
	v_cmp_gt_u64_e32 vcc, s[78:79], v[1:2]
	v_and_b32_sdwa v50, v0, s44 dst_sel:DWORD dst_unused:UNUSED_PAD src0_sel:BYTE_3 src1_sel:DWORD
                                        ; implicit-def: $vgpr39
	s_and_saveexec_b64 s[28:29], vcc
	s_xor_b64 s[34:35], exec, s[28:29]
	s_cbranch_execz .LBB6_2616
; %bb.2607:                             ;   in Loop: Header=BB6_357 Depth=4
	v_mov_b32_e32 v39, 0
	v_cmp_ne_u32_e32 vcc, 0, v0
	s_and_saveexec_b64 s[36:37], vcc
	s_cbranch_execz .LBB6_2615
; %bb.2608:                             ;   in Loop: Header=BB6_357 Depth=4
	v_bfe_u32 v39, v0, 23, 8
	v_cmp_gt_u32_e64 s[28:29], s45, v39
	v_sub_u32_e32 v0, 0x71, v39
	v_cmp_eq_u32_e32 vcc, 0, v39
	v_cndmask_b32_e64 v0, 0, v0, s[28:29]
	v_mov_b32_e32 v2, 0x70
	v_cndmask_b32_e32 v51, v0, v2, vcc
	v_add_u32_e32 v2, 21, v51
	v_or_b32_e32 v1, 0x800000, v33
	v_lshlrev_b64 v[28:29], v2, -1
	v_cndmask_b32_e32 v0, v1, v33, vcc
	v_mov_b32_e32 v1, v34
	v_add_u32_e32 v2, 20, v51
	v_bfi_b32 v28, v28, 0, v0
	v_lshlrev_b64 v[32:33], v2, 1
	v_lshrrev_b64 v[0:1], v51, v[0:1]
	v_bfi_b32 v29, v29, 0, 0
	v_cmp_eq_u64_e64 s[28:29], v[28:29], v[32:33]
	v_mov_b32_e32 v2, v1
	v_mov_b32_e32 v1, v0
	s_and_saveexec_b64 s[38:39], s[28:29]
; %bb.2609:                             ;   in Loop: Header=BB6_357 Depth=4
	v_bfe_u32 v1, v0, 21, 1
	v_add_co_u32_e64 v1, s[28:29], v0, v1
	v_add_co_u32_e64 v1, s[28:29], -1, v1
; %bb.2610:                             ;   in Loop: Header=BB6_357 Depth=4
	s_or_b64 exec, exec, s[38:39]
	v_add_u32_e32 v2, 0xffffff81, v39
	v_mov_b32_e32 v28, 0xffffff82
	v_cndmask_b32_e32 v2, v2, v28, vcc
	v_lshrrev_b32_e32 v28, 23, v0
	v_add3_u32 v51, v51, v2, v28
	v_add_u32_e32 v39, 14, v51
	v_and_b32_e32 v1, 0x1fffff, v1
	v_add_u32_e32 v33, v1, v0
	v_cmp_ne_u32_e32 vcc, 0, v39
                                        ; implicit-def: $vgpr0_vgpr1
                                        ; implicit-def: $vgpr2
	s_and_saveexec_b64 s[28:29], vcc
	s_xor_b64 s[28:29], exec, s[28:29]
; %bb.2611:                             ;   in Loop: Header=BB6_357 Depth=4
	v_cmp_lt_u64_e32 vcc, s[88:89], v[33:34]
	v_add_u32_e32 v0, 15, v51
	v_cndmask_b32_e32 v2, v39, v0, vcc
	v_cndmask_b32_e64 v0, 0, 1, vcc
	v_lshrrev_b64 v[0:1], v0, v[33:34]
; %bb.2612:                             ;   in Loop: Header=BB6_357 Depth=4
	s_andn2_saveexec_b64 s[28:29], s[28:29]
; %bb.2613:                             ;   in Loop: Header=BB6_357 Depth=4
	v_mov_b32_e32 v0, v33
	v_mov_b32_e32 v1, v34
	v_bfe_u32 v2, v33, 23, 1
; %bb.2614:                             ;   in Loop: Header=BB6_357 Depth=4
	s_or_b64 exec, exec, s[28:29]
	v_lshrrev_b64 v[0:1], 21, v[0:1]
	v_cmp_gt_i32_e32 vcc, 32, v2
	v_cndmask_b32_e32 v1, 0, v1, vcc
	v_cndmask_b32_e32 v0, 3, v0, vcc
	v_cmp_eq_u64_e64 s[28:29], 0, v[0:1]
	v_min_i32_e32 v1, 31, v2
	v_lshlrev_b32_e32 v1, 2, v1
	v_cmp_eq_u32_e32 vcc, 0, v2
	v_and_b32_e32 v1, 0xfc, v1
	v_and_or_b32 v0, v0, 3, v1
	s_and_b64 s[28:29], vcc, s[28:29]
	v_cndmask_b32_e64 v0, v0, 0, s[28:29]
	v_or_b32_e32 v39, v0, v50
.LBB6_2615:                             ;   in Loop: Header=BB6_357 Depth=4
	s_or_b64 exec, exec, s[36:37]
                                        ; implicit-def: $vgpr50
.LBB6_2616:                             ;   in Loop: Header=BB6_357 Depth=4
	s_andn2_saveexec_b64 s[28:29], s[34:35]
; %bb.2617:                             ;   in Loop: Header=BB6_357 Depth=4
	v_or_b32_e32 v39, 0x7b, v50
; %bb.2618:                             ;   in Loop: Header=BB6_357 Depth=4
	s_or_b64 exec, exec, s[28:29]
                                        ; implicit-def: $vgpr0
.LBB6_2619:                             ;   in Loop: Header=BB6_357 Depth=4
	s_andn2_saveexec_b64 s[28:29], s[30:31]
	s_cbranch_execz .LBB6_2625
; %bb.2620:                             ;   in Loop: Header=BB6_357 Depth=4
	v_cmp_ne_u64_e32 vcc, 0, v[33:34]
                                        ; implicit-def: $vgpr39
	s_and_saveexec_b64 s[30:31], vcc
	s_xor_b64 vcc, exec, s[30:31]
; %bb.2621:                             ;   in Loop: Header=BB6_357 Depth=4
	v_or_b32_sdwa v39, v0, s83 dst_sel:DWORD dst_unused:UNUSED_PAD src0_sel:BYTE_3 src1_sel:DWORD
                                        ; implicit-def: $vgpr0
; %bb.2622:                             ;   in Loop: Header=BB6_357 Depth=4
	s_andn2_saveexec_b64 s[30:31], vcc
; %bb.2623:                             ;   in Loop: Header=BB6_357 Depth=4
	v_cmp_lt_i32_e32 vcc, -1, v0
	v_bfrev_b32_e32 v0, 0.5
	v_mov_b32_e32 v1, 0x7c
	v_cndmask_b32_e32 v39, v0, v1, vcc
; %bb.2624:                             ;   in Loop: Header=BB6_357 Depth=4
	s_or_b64 exec, exec, s[30:31]
.LBB6_2625:                             ;   in Loop: Header=BB6_357 Depth=4
	s_or_b64 exec, exec, s[28:29]
	v_cmp_lt_u64_e32 vcc, s[56:57], v[14:15]
	v_mov_b32_e32 v1, 0
	v_mov_b32_e32 v2, 0
	s_and_saveexec_b64 s[28:29], vcc
	s_cbranch_execz .LBB6_2633
; %bb.2626:                             ;   in Loop: Header=BB6_357 Depth=4
	v_lshrrev_b32_e32 v0, 24, v15
	v_cmp_ne_u32_e32 vcc, s44, v0
	v_bfrev_b32_e32 v2, 1
	s_and_saveexec_b64 s[30:31], vcc
	s_cbranch_execz .LBB6_2632
; %bb.2627:                             ;   in Loop: Header=BB6_357 Depth=4
	v_and_b32_e32 v2, 0x7c000000, v15
	v_bfe_u32 v33, v15, 24, 2
	v_cmp_ne_u32_e32 vcc, s8, v2
                                        ; implicit-def: $vgpr2
	s_and_saveexec_b64 s[34:35], vcc
	s_xor_b64 s[34:35], exec, s[34:35]
	s_cbranch_execz .LBB6_2629
; %bb.2628:                             ;   in Loop: Header=BB6_357 Depth=4
	v_ffbh_u32_e32 v14, v33
	v_min_u32_e32 v14, 32, v14
	v_subrev_u32_e32 v28, 29, v14
	v_lshlrev_b64 v[28:29], v28, v[0:1]
	v_bfe_u32 v2, v15, 26, 5
	v_sub_u32_e32 v0, 30, v14
	v_and_b32_e32 v14, 3, v28
	v_cmp_eq_u32_e32 vcc, 0, v2
	v_cndmask_b32_e32 v0, v2, v0, vcc
	v_cndmask_b32_e32 v2, v33, v14, vcc
	v_and_b32_e32 v14, 0x80000000, v15
	v_lshl_add_u32 v0, v0, 23, v14
	v_lshl_or_b32 v0, v2, 21, v0
	v_add_u32_e32 v2, 0x38000000, v0
                                        ; implicit-def: $vgpr33
                                        ; implicit-def: $vgpr14_vgpr15
.LBB6_2629:                             ;   in Loop: Header=BB6_357 Depth=4
	s_andn2_saveexec_b64 s[34:35], s[34:35]
; %bb.2630:                             ;   in Loop: Header=BB6_357 Depth=4
	v_cmp_lt_i64_e32 vcc, -1, v[14:15]
	v_mov_b32_e32 v0, 0xff800000
	v_mov_b32_e32 v2, 0x7f800000
	v_cndmask_b32_e32 v0, v0, v2, vcc
	v_cmp_eq_u32_e32 vcc, 0, v33
	v_mov_b32_e32 v2, 0x7f800001
	v_cndmask_b32_e32 v2, v2, v0, vcc
; %bb.2631:                             ;   in Loop: Header=BB6_357 Depth=4
	s_or_b64 exec, exec, s[34:35]
.LBB6_2632:                             ;   in Loop: Header=BB6_357 Depth=4
	s_or_b64 exec, exec, s[30:31]
.LBB6_2633:                             ;   in Loop: Header=BB6_357 Depth=4
	s_or_b64 exec, exec, s[28:29]
	v_cmp_lt_u64_e32 vcc, s[56:57], v[10:11]
	s_and_saveexec_b64 s[28:29], vcc
	s_cbranch_execz .LBB6_2641
; %bb.2634:                             ;   in Loop: Header=BB6_357 Depth=4
	v_lshrrev_b32_e32 v0, 24, v11
	v_cmp_ne_u32_e32 vcc, s44, v0
	v_bfrev_b32_e32 v1, 1
	s_and_saveexec_b64 s[30:31], vcc
	s_cbranch_execz .LBB6_2640
; %bb.2635:                             ;   in Loop: Header=BB6_357 Depth=4
	v_and_b32_e32 v1, 0x7c000000, v11
	v_bfe_u32 v14, v11, 24, 2
	v_cmp_ne_u32_e32 vcc, s8, v1
                                        ; implicit-def: $vgpr1
	s_and_saveexec_b64 s[34:35], vcc
	s_xor_b64 s[34:35], exec, s[34:35]
	s_cbranch_execz .LBB6_2637
; %bb.2636:                             ;   in Loop: Header=BB6_357 Depth=4
	v_ffbh_u32_e32 v1, v14
	v_min_u32_e32 v15, 32, v1
	v_subrev_u32_e32 v1, 29, v15
	v_bfe_u32 v10, v11, 26, 5
	v_lshlrev_b64 v[0:1], v1, v[0:1]
	v_sub_u32_e32 v1, 30, v15
	v_cmp_eq_u32_e32 vcc, 0, v10
	v_and_b32_e32 v0, 3, v0
	v_cndmask_b32_e32 v1, v10, v1, vcc
	v_and_b32_e32 v10, 0x80000000, v11
	v_cndmask_b32_e32 v0, v14, v0, vcc
	v_lshl_add_u32 v1, v1, 23, v10
	v_lshl_or_b32 v0, v0, 21, v1
	v_add_u32_e32 v1, 0x38000000, v0
                                        ; implicit-def: $vgpr14
                                        ; implicit-def: $vgpr10_vgpr11
.LBB6_2637:                             ;   in Loop: Header=BB6_357 Depth=4
	s_andn2_saveexec_b64 s[34:35], s[34:35]
; %bb.2638:                             ;   in Loop: Header=BB6_357 Depth=4
	v_cmp_lt_i64_e32 vcc, -1, v[10:11]
	v_mov_b32_e32 v0, 0xff800000
	v_mov_b32_e32 v1, 0x7f800000
	v_cndmask_b32_e32 v0, v0, v1, vcc
	v_cmp_eq_u32_e32 vcc, 0, v14
	v_mov_b32_e32 v1, 0x7f800001
	v_cndmask_b32_e32 v1, v1, v0, vcc
; %bb.2639:                             ;   in Loop: Header=BB6_357 Depth=4
	s_or_b64 exec, exec, s[34:35]
.LBB6_2640:                             ;   in Loop: Header=BB6_357 Depth=4
	s_or_b64 exec, exec, s[30:31]
.LBB6_2641:                             ;   in Loop: Header=BB6_357 Depth=4
	s_or_b64 exec, exec, s[28:29]
	v_mul_f32_e32 v1, v2, v1
	v_and_b32_e32 v10, 0x7f800000, v1
	v_mov_b32_e32 v11, v34
	v_cmp_ne_u64_e32 vcc, s[76:77], v[10:11]
	v_and_b32_e32 v33, 0x7fffff, v1
                                        ; implicit-def: $vgpr0
	s_and_saveexec_b64 s[28:29], vcc
	s_xor_b64 s[30:31], exec, s[28:29]
	s_cbranch_execz .LBB6_2655
; %bb.2642:                             ;   in Loop: Header=BB6_357 Depth=4
	v_and_b32_e32 v10, 0x7fffffff, v1
	v_mov_b32_e32 v11, v34
	v_cmp_gt_u64_e32 vcc, s[78:79], v[10:11]
	v_and_b32_sdwa v10, v1, s44 dst_sel:DWORD dst_unused:UNUSED_PAD src0_sel:BYTE_3 src1_sel:DWORD
                                        ; implicit-def: $vgpr0
	s_and_saveexec_b64 s[28:29], vcc
	s_xor_b64 s[34:35], exec, s[28:29]
	s_cbranch_execz .LBB6_2652
; %bb.2643:                             ;   in Loop: Header=BB6_357 Depth=4
	v_mov_b32_e32 v0, 0
	v_cmp_ne_u32_e32 vcc, 0, v1
	s_and_saveexec_b64 s[36:37], vcc
	s_cbranch_execz .LBB6_2651
; %bb.2644:                             ;   in Loop: Header=BB6_357 Depth=4
	v_bfe_u32 v11, v1, 23, 8
	v_cmp_gt_u32_e64 s[28:29], s45, v11
	v_sub_u32_e32 v0, 0x71, v11
	v_cmp_eq_u32_e32 vcc, 0, v11
	v_cndmask_b32_e64 v0, 0, v0, s[28:29]
	v_mov_b32_e32 v2, 0x70
	v_cndmask_b32_e32 v14, v0, v2, vcc
	v_add_u32_e32 v2, 21, v14
	v_or_b32_e32 v1, 0x800000, v33
	v_lshlrev_b64 v[28:29], v2, -1
	v_cndmask_b32_e32 v0, v1, v33, vcc
	v_mov_b32_e32 v1, v34
	v_add_u32_e32 v2, 20, v14
	v_bfi_b32 v28, v28, 0, v0
	v_lshlrev_b64 v[32:33], v2, 1
	v_lshrrev_b64 v[0:1], v14, v[0:1]
	v_bfi_b32 v29, v29, 0, 0
	v_cmp_eq_u64_e64 s[28:29], v[28:29], v[32:33]
	v_mov_b32_e32 v2, v1
	v_mov_b32_e32 v1, v0
	s_and_saveexec_b64 s[38:39], s[28:29]
; %bb.2645:                             ;   in Loop: Header=BB6_357 Depth=4
	v_bfe_u32 v1, v0, 21, 1
	v_add_co_u32_e64 v1, s[28:29], v0, v1
	v_add_co_u32_e64 v1, s[28:29], -1, v1
; %bb.2646:                             ;   in Loop: Header=BB6_357 Depth=4
	s_or_b64 exec, exec, s[38:39]
	v_add_u32_e32 v2, 0xffffff81, v11
	v_mov_b32_e32 v11, 0xffffff82
	v_cndmask_b32_e32 v2, v2, v11, vcc
	v_lshrrev_b32_e32 v11, 23, v0
	v_add3_u32 v14, v14, v2, v11
	v_add_u32_e32 v11, 14, v14
	v_and_b32_e32 v1, 0x1fffff, v1
	v_add_u32_e32 v33, v1, v0
	v_cmp_ne_u32_e32 vcc, 0, v11
                                        ; implicit-def: $vgpr0_vgpr1
                                        ; implicit-def: $vgpr2
	s_and_saveexec_b64 s[28:29], vcc
	s_xor_b64 s[28:29], exec, s[28:29]
; %bb.2647:                             ;   in Loop: Header=BB6_357 Depth=4
	v_cmp_lt_u64_e32 vcc, s[88:89], v[33:34]
	v_add_u32_e32 v0, 15, v14
	v_cndmask_b32_e32 v2, v11, v0, vcc
	v_cndmask_b32_e64 v0, 0, 1, vcc
	v_lshrrev_b64 v[0:1], v0, v[33:34]
; %bb.2648:                             ;   in Loop: Header=BB6_357 Depth=4
	s_andn2_saveexec_b64 s[28:29], s[28:29]
; %bb.2649:                             ;   in Loop: Header=BB6_357 Depth=4
	v_mov_b32_e32 v0, v33
	v_mov_b32_e32 v1, v34
	v_bfe_u32 v2, v33, 23, 1
; %bb.2650:                             ;   in Loop: Header=BB6_357 Depth=4
	s_or_b64 exec, exec, s[28:29]
	v_lshrrev_b64 v[0:1], 21, v[0:1]
	v_cmp_gt_i32_e32 vcc, 32, v2
	v_cndmask_b32_e32 v1, 0, v1, vcc
	v_cndmask_b32_e32 v0, 3, v0, vcc
	v_cmp_eq_u64_e64 s[28:29], 0, v[0:1]
	v_min_i32_e32 v1, 31, v2
	v_lshlrev_b32_e32 v1, 2, v1
	v_cmp_eq_u32_e32 vcc, 0, v2
	v_and_b32_e32 v1, 0xfc, v1
	v_and_or_b32 v0, v0, 3, v1
	s_and_b64 s[28:29], vcc, s[28:29]
	v_cndmask_b32_e64 v0, v0, 0, s[28:29]
	v_or_b32_e32 v0, v0, v10
.LBB6_2651:                             ;   in Loop: Header=BB6_357 Depth=4
	s_or_b64 exec, exec, s[36:37]
                                        ; implicit-def: $vgpr10
.LBB6_2652:                             ;   in Loop: Header=BB6_357 Depth=4
	s_andn2_saveexec_b64 s[28:29], s[34:35]
; %bb.2653:                             ;   in Loop: Header=BB6_357 Depth=4
	v_or_b32_e32 v0, 0x7b, v10
; %bb.2654:                             ;   in Loop: Header=BB6_357 Depth=4
	s_or_b64 exec, exec, s[28:29]
                                        ; implicit-def: $vgpr1
.LBB6_2655:                             ;   in Loop: Header=BB6_357 Depth=4
	s_andn2_saveexec_b64 s[28:29], s[30:31]
	s_cbranch_execz .LBB6_356
; %bb.2656:                             ;   in Loop: Header=BB6_357 Depth=4
	v_cmp_ne_u64_e32 vcc, 0, v[33:34]
                                        ; implicit-def: $vgpr0
	s_and_saveexec_b64 s[30:31], vcc
	s_xor_b64 vcc, exec, s[30:31]
; %bb.2657:                             ;   in Loop: Header=BB6_357 Depth=4
	v_or_b32_sdwa v0, v1, s83 dst_sel:DWORD dst_unused:UNUSED_PAD src0_sel:BYTE_3 src1_sel:DWORD
                                        ; implicit-def: $vgpr1
; %bb.2658:                             ;   in Loop: Header=BB6_357 Depth=4
	s_andn2_saveexec_b64 s[30:31], vcc
	s_cbranch_execz .LBB6_355
; %bb.2659:                             ;   in Loop: Header=BB6_357 Depth=4
	v_cmp_lt_i32_e32 vcc, -1, v1
	v_bfrev_b32_e32 v0, 0.5
	v_mov_b32_e32 v1, 0x7c
	v_cndmask_b32_e32 v0, v0, v1, vcc
	s_branch .LBB6_355
.LBB6_2660:                             ;   in Loop: Header=BB6_274 Depth=3
	s_or_b64 exec, exec, s[42:43]
	buffer_load_dword v50, off, s[0:3], s33 offset:400 ; 4-byte Folded Reload
	buffer_load_dword v51, off, s[0:3], s33 offset:376 ; 4-byte Folded Reload
	;; [unrolled: 1-line block ×12, first 2 shown]
.LBB6_2661:                             ;   in Loop: Header=BB6_274 Depth=3
	s_or_b64 exec, exec, s[40:41]
	s_waitcnt vmcnt(0)
	v_lshlrev_b32_e32 v4, 12, v1
	v_cmp_ne_u32_e32 vcc, v52, v4
	s_mov_b64 s[28:29], 0
	v_mov_b32_e32 v3, 0
                                        ; implicit-def: $vgpr8
                                        ; implicit-def: $vgpr2
                                        ; implicit-def: $vgpr0
	s_and_saveexec_b64 s[30:31], vcc
	s_cbranch_execz .LBB6_3213
; %bb.2662:                             ;   in Loop: Header=BB6_274 Depth=3
	buffer_load_dword v2, off, s[0:3], s33 offset:460 ; 4-byte Folded Reload
	v_lshlrev_b32_e32 v0, 6, v31
	v_sub_u32_e32 v1, v52, v4
	s_waitcnt vmcnt(0)
	v_sub_u32_e32 v0, v2, v0
	v_ashrrev_i32_e32 v2, 31, v0
	v_lshrrev_b32_e32 v2, 26, v2
	v_add_u32_e32 v2, v0, v2
	v_ashrrev_i32_e32 v3, 6, v2
	v_and_b32_e32 v2, 0xffffffc0, v2
	v_sub_u32_e32 v5, v0, v2
	v_ashrrev_i32_e32 v2, 31, v1
	v_lshrrev_b32_e32 v2, 22, v2
	v_add_u32_e32 v2, v1, v2
	v_and_b32_e32 v6, 0xfffffc00, v2
	v_lshlrev_b32_e32 v0, 4, v5
	v_sub_u32_e32 v22, v1, v6
	v_lshl_add_u32 v0, v3, 10, v0
	v_ashrrev_i32_e32 v7, 10, v2
	v_cmp_lt_i32_e32 vcc, 15, v22
	v_sub_u32_e32 v23, v1, v0
	v_addc_co_u32_e64 v1, s[28:29], 0, v7, vcc
	v_sub_u32_e32 v7, v1, v3
	v_cmp_lt_i32_e64 s[28:29], 15, v23
	s_and_saveexec_b64 s[34:35], s[28:29]
	s_cbranch_execz .LBB6_3210
; %bb.2663:                             ;   in Loop: Header=BB6_274 Depth=3
	v_add_u32_e32 v2, v0, v4
	s_trap 2
	ds_read_b64 v[0:1], v0
	v_ashrrev_i32_e32 v3, 31, v2
	v_add_co_u32_e64 v16, s[28:29], v2, v42
	v_addc_co_u32_e64 v17, s[28:29], v3, v43, s[28:29]
	s_waitcnt lgkmcnt(0)
	v_add_co_u32_e64 v18, s[28:29], v0, v2
	v_addc_co_u32_e64 v19, s[28:29], v1, v3, s[28:29]
	v_add_co_u32_e64 v20, s[28:29], v2, v40
	v_addc_co_u32_e64 v21, s[28:29], v3, v41, s[28:29]
	s_mov_b64 s[36:37], 0
	s_branch .LBB6_2666
.LBB6_2664:                             ;   in Loop: Header=BB6_2666 Depth=4
	s_or_b64 exec, exec, s[42:43]
.LBB6_2665:                             ;   in Loop: Header=BB6_2666 Depth=4
	s_or_b64 exec, exec, s[40:41]
	v_lshl_or_b32 v1, v29, 8, v28
	v_lshlrev_b32_e32 v2, 16, v30
	v_lshlrev_b32_e32 v8, 24, v8
	v_or3_b32 v11, v1, v2, v8
	v_lshl_or_b32 v1, v25, 8, v24
	v_lshlrev_b32_e32 v2, 16, v26
	v_lshlrev_b32_e32 v8, 24, v27
	v_or3_b32 v10, v1, v2, v8
	;; [unrolled: 4-line block ×3, first 2 shown]
	v_lshlrev_b32_e32 v0, 24, v0
	v_lshlrev_b32_e32 v1, 16, v35
	v_lshl_or_b32 v2, v32, 8, v3
	v_or3_b32 v13, v2, v1, v0
	buffer_load_dword v0, off, s[0:3], s33 offset:316 ; 4-byte Folded Reload
	s_waitcnt vmcnt(1)
	v_sub_u32_e32 v7, v7, v39
	global_store_dwordx4 v[20:21], v[10:13], off glc slc
	s_waitcnt vmcnt(1)
	v_add_co_u32_e64 v16, s[28:29], v16, v0
	v_addc_co_u32_e64 v17, s[28:29], 0, v17, s[28:29]
	v_add_co_u32_e64 v18, s[28:29], v18, v0
	v_addc_co_u32_e64 v19, s[28:29], 0, v19, s[28:29]
	;; [unrolled: 2-line block ×3, first 2 shown]
	v_sub_u32_e32 v23, v23, v0
	v_cmp_gt_i32_e64 s[28:29], 16, v23
	s_or_b64 s[36:37], s[28:29], s[36:37]
	s_andn2_b64 exec, exec, s[36:37]
	s_cbranch_execz .LBB6_3209
.LBB6_2666:                             ;   Parent Loop BB6_47 Depth=1
                                        ;     Parent Loop BB6_271 Depth=2
                                        ;       Parent Loop BB6_274 Depth=3
                                        ; =>      This Inner Loop Header: Depth=4
	global_load_dwordx4 v[12:15], v[16:17], off glc slc
	global_load_dwordx4 v[8:11], v[18:19], off glc slc
	v_mov_b32_e32 v0, 0
	s_waitcnt vmcnt(1)
	v_cmp_ne_u16_sdwa s[28:29], v12, v34 src0_sel:BYTE_0 src1_sel:DWORD
	s_and_saveexec_b64 s[40:41], s[28:29]
	s_cbranch_execz .LBB6_2674
; %bb.2667:                             ;   in Loop: Header=BB6_2666 Depth=4
	v_cmp_ne_u16_sdwa s[28:29], sext(v12), s80 src0_sel:BYTE_0 src1_sel:DWORD
	v_bfrev_b32_e32 v0, 1
	s_and_saveexec_b64 s[42:43], s[28:29]
	s_cbranch_execz .LBB6_2673
; %bb.2668:                             ;   in Loop: Header=BB6_2666 Depth=4
	v_and_b32_e32 v0, 0x7c, v12
	v_and_b32_e32 v1, 3, v12
	v_cmp_ne_u32_e64 s[28:29], s81, v0
                                        ; implicit-def: $vgpr0
	s_and_saveexec_b64 s[38:39], s[28:29]
	s_xor_b64 s[38:39], exec, s[38:39]
	s_cbranch_execz .LBB6_2670
; %bb.2669:                             ;   in Loop: Header=BB6_2666 Depth=4
	v_ffbh_u32_e32 v2, v1
	v_min_u32_e32 v24, 32, v2
	v_subrev_u32_e32 v2, 29, v24
	v_lshlrev_b64 v[2:3], v2, v[12:13]
	v_bfe_u32 v0, v12, 2, 5
	v_and_b32_e32 v2, 3, v2
	v_cmp_eq_u32_e64 s[28:29], 0, v0
	v_sub_u32_e32 v3, 30, v24
	v_cndmask_b32_e64 v1, v1, v2, s[28:29]
	v_lshlrev_b32_e32 v2, 24, v12
	v_cndmask_b32_e64 v0, v0, v3, s[28:29]
	v_and_b32_e32 v2, 0x80000000, v2
	v_lshl_add_u32 v0, v0, 23, v2
	v_lshl_or_b32 v0, v1, 21, v0
	v_add_u32_e32 v0, 0x38000000, v0
                                        ; implicit-def: $vgpr1
.LBB6_2670:                             ;   in Loop: Header=BB6_2666 Depth=4
	s_andn2_saveexec_b64 s[38:39], s[38:39]
; %bb.2671:                             ;   in Loop: Header=BB6_2666 Depth=4
	v_mov_b32_e32 v0, -1
	v_cmp_gt_i16_sdwa s[28:29], sext(v12), v0 src0_sel:BYTE_0 src1_sel:DWORD
	v_mov_b32_e32 v0, 0xff800000
	v_mov_b32_e32 v2, 0x7f800000
	v_cndmask_b32_e64 v0, v0, v2, s[28:29]
	v_cmp_eq_u32_e64 s[28:29], 0, v1
	v_mov_b32_e32 v1, 0x7f800001
	v_cndmask_b32_e64 v0, v1, v0, s[28:29]
; %bb.2672:                             ;   in Loop: Header=BB6_2666 Depth=4
	s_or_b64 exec, exec, s[38:39]
.LBB6_2673:                             ;   in Loop: Header=BB6_2666 Depth=4
	s_or_b64 exec, exec, s[42:43]
.LBB6_2674:                             ;   in Loop: Header=BB6_2666 Depth=4
	s_or_b64 exec, exec, s[40:41]
	s_waitcnt vmcnt(0)
	v_cmp_gt_i16_sdwa s[40:41], v8, s83 src0_sel:BYTE_0 src1_sel:DWORD
	s_mov_b64 s[28:29], 0
	s_and_saveexec_b64 s[42:43], s[40:41]
	s_xor_b64 s[40:41], exec, s[42:43]
	s_cbranch_execz .LBB6_3189
; %bb.2675:                             ;   in Loop: Header=BB6_2666 Depth=4
	v_cmp_eq_u16_sdwa s[38:39], v8, s44 src0_sel:BYTE_0 src1_sel:DWORD
	s_mov_b64 s[28:29], -1
	s_and_saveexec_b64 s[42:43], s[38:39]
; %bb.2676:                             ;   in Loop: Header=BB6_2666 Depth=4
	s_xor_b64 s[28:29], exec, -1
; %bb.2677:                             ;   in Loop: Header=BB6_2666 Depth=4
	s_or_b64 exec, exec, s[42:43]
	s_and_b64 s[28:29], s[28:29], exec
	s_or_saveexec_b64 s[40:41], s[40:41]
	v_bfrev_b32_e32 v1, 1
	s_xor_b64 exec, exec, s[40:41]
	s_cbranch_execnz .LBB6_3190
.LBB6_2678:                             ;   in Loop: Header=BB6_2666 Depth=4
	s_or_b64 exec, exec, s[40:41]
	s_and_saveexec_b64 s[38:39], s[28:29]
	s_cbranch_execz .LBB6_2680
.LBB6_2679:                             ;   in Loop: Header=BB6_2666 Depth=4
	v_and_b32_e32 v3, 3, v8
	v_and_b32_e32 v1, 0x7c, v8
	v_cmp_eq_u32_e64 s[28:29], s81, v1
	v_ffbh_u32_e32 v1, v3
	v_min_u32_e32 v25, 32, v1
	v_subrev_u32_e32 v1, 29, v25
	v_bfe_u32 v24, v8, 2, 5
	v_lshlrev_b64 v[1:2], v1, v[8:9]
	v_cmp_eq_u32_e64 s[40:41], 0, v24
	v_sub_u32_e32 v2, 30, v25
	v_cndmask_b32_e64 v2, v24, v2, s[40:41]
	v_lshlrev_b32_e32 v24, 24, v8
	v_and_b32_e32 v1, 3, v1
	v_and_b32_e32 v24, 0x80000000, v24
	v_cndmask_b32_e64 v1, v3, v1, s[40:41]
	v_lshl_add_u32 v2, v2, 23, v24
	v_lshl_or_b32 v1, v1, 21, v2
	v_mov_b32_e32 v2, -1
	v_cmp_eq_u32_e64 s[40:41], 0, v3
	v_cmp_gt_i16_sdwa s[42:43], sext(v8), v2 src0_sel:BYTE_0 src1_sel:DWORD
	v_mov_b32_e32 v2, 0xff800000
	v_mov_b32_e32 v3, 0x7f800000
	v_cndmask_b32_e64 v2, v2, v3, s[42:43]
	v_mov_b32_e32 v3, 0x7f800001
	v_add_u32_e32 v1, 0x38000000, v1
	v_cndmask_b32_e64 v2, v3, v2, s[40:41]
	v_cndmask_b32_e64 v1, v1, v2, s[28:29]
.LBB6_2680:                             ;   in Loop: Header=BB6_2666 Depth=4
	s_or_b64 exec, exec, s[38:39]
	v_mul_f32_e32 v0, v0, v1
	v_and_b32_e32 v1, 0x7f800000, v0
	v_mov_b32_e32 v2, v34
	v_cmp_ne_u64_e64 s[28:29], s[76:77], v[1:2]
	v_and_b32_e32 v33, 0x7fffff, v0
                                        ; implicit-def: $vgpr24
	s_and_saveexec_b64 s[40:41], s[28:29]
	s_xor_b64 s[42:43], exec, s[40:41]
	s_cbranch_execz .LBB6_2694
; %bb.2681:                             ;   in Loop: Header=BB6_2666 Depth=4
	v_and_b32_e32 v1, 0x7fffffff, v0
	v_mov_b32_e32 v2, v34
	v_cmp_gt_u64_e64 s[28:29], s[78:79], v[1:2]
	v_and_b32_sdwa v3, v0, s44 dst_sel:DWORD dst_unused:UNUSED_PAD src0_sel:BYTE_3 src1_sel:DWORD
                                        ; implicit-def: $vgpr24
	s_and_saveexec_b64 s[40:41], s[28:29]
	s_xor_b64 s[38:39], exec, s[40:41]
	s_cbranch_execz .LBB6_2691
; %bb.2682:                             ;   in Loop: Header=BB6_2666 Depth=4
	v_mov_b32_e32 v24, 0
	v_cmp_ne_u32_e64 s[28:29], 0, v0
	s_and_saveexec_b64 s[48:49], s[28:29]
	s_cbranch_execz .LBB6_2690
; %bb.2683:                             ;   in Loop: Header=BB6_2666 Depth=4
	v_bfe_u32 v24, v0, 23, 8
	v_cmp_gt_u32_e64 s[40:41], s45, v24
	v_sub_u32_e32 v0, 0x71, v24
	v_cmp_eq_u32_e64 s[28:29], 0, v24
	v_cndmask_b32_e64 v0, 0, v0, s[40:41]
	v_mov_b32_e32 v2, 0x70
	v_cndmask_b32_e64 v25, v0, v2, s[28:29]
	v_add_u32_e32 v2, 21, v25
	v_or_b32_e32 v1, 0x800000, v33
	v_lshlrev_b64 v[26:27], v2, -1
	v_cndmask_b32_e64 v0, v1, v33, s[28:29]
	v_mov_b32_e32 v1, v34
	v_add_u32_e32 v2, 20, v25
	v_bfi_b32 v26, v26, 0, v0
	v_lshlrev_b64 v[28:29], v2, 1
	v_lshrrev_b64 v[0:1], v25, v[0:1]
	v_bfi_b32 v27, v27, 0, 0
	v_cmp_eq_u64_e64 s[40:41], v[26:27], v[28:29]
	v_mov_b32_e32 v2, v1
	v_mov_b32_e32 v1, v0
	s_and_saveexec_b64 s[50:51], s[40:41]
; %bb.2684:                             ;   in Loop: Header=BB6_2666 Depth=4
	v_bfe_u32 v1, v0, 21, 1
	v_add_co_u32_e64 v1, s[40:41], v0, v1
	v_add_co_u32_e64 v1, s[40:41], -1, v1
; %bb.2685:                             ;   in Loop: Header=BB6_2666 Depth=4
	s_or_b64 exec, exec, s[50:51]
	v_add_u32_e32 v2, 0xffffff81, v24
	v_mov_b32_e32 v24, 0xffffff82
	v_cndmask_b32_e64 v2, v2, v24, s[28:29]
	v_lshrrev_b32_e32 v24, 23, v0
	v_add3_u32 v25, v25, v2, v24
	v_add_u32_e32 v24, 14, v25
	v_and_b32_e32 v1, 0x1fffff, v1
	v_add_u32_e32 v33, v1, v0
	v_cmp_ne_u32_e64 s[28:29], 0, v24
                                        ; implicit-def: $vgpr0_vgpr1
                                        ; implicit-def: $vgpr2
	s_and_saveexec_b64 s[40:41], s[28:29]
	s_xor_b64 s[40:41], exec, s[40:41]
; %bb.2686:                             ;   in Loop: Header=BB6_2666 Depth=4
	v_cmp_lt_u64_e64 s[28:29], s[88:89], v[33:34]
	v_add_u32_e32 v0, 15, v25
	v_cndmask_b32_e64 v2, v24, v0, s[28:29]
	v_cndmask_b32_e64 v0, 0, 1, s[28:29]
	v_lshrrev_b64 v[0:1], v0, v[33:34]
; %bb.2687:                             ;   in Loop: Header=BB6_2666 Depth=4
	s_andn2_saveexec_b64 s[28:29], s[40:41]
; %bb.2688:                             ;   in Loop: Header=BB6_2666 Depth=4
	v_mov_b32_e32 v0, v33
	v_mov_b32_e32 v1, v34
	v_bfe_u32 v2, v33, 23, 1
; %bb.2689:                             ;   in Loop: Header=BB6_2666 Depth=4
	s_or_b64 exec, exec, s[28:29]
	v_lshrrev_b64 v[0:1], 21, v[0:1]
	v_cmp_gt_i32_e64 s[28:29], 32, v2
	v_cndmask_b32_e64 v1, 0, v1, s[28:29]
	v_cndmask_b32_e64 v0, 3, v0, s[28:29]
	v_cmp_eq_u64_e64 s[40:41], 0, v[0:1]
	v_min_i32_e32 v1, 31, v2
	v_lshlrev_b32_e32 v1, 2, v1
	v_cmp_eq_u32_e64 s[28:29], 0, v2
	v_and_b32_e32 v1, 0xfc, v1
	v_and_or_b32 v0, v0, 3, v1
	s_and_b64 s[28:29], s[28:29], s[40:41]
	v_cndmask_b32_e64 v0, v0, 0, s[28:29]
	v_or_b32_e32 v24, v0, v3
.LBB6_2690:                             ;   in Loop: Header=BB6_2666 Depth=4
	s_or_b64 exec, exec, s[48:49]
                                        ; implicit-def: $vgpr3
.LBB6_2691:                             ;   in Loop: Header=BB6_2666 Depth=4
	s_andn2_saveexec_b64 s[28:29], s[38:39]
; %bb.2692:                             ;   in Loop: Header=BB6_2666 Depth=4
	v_or_b32_e32 v24, 0x7b, v3
; %bb.2693:                             ;   in Loop: Header=BB6_2666 Depth=4
	s_or_b64 exec, exec, s[28:29]
                                        ; implicit-def: $vgpr0
.LBB6_2694:                             ;   in Loop: Header=BB6_2666 Depth=4
	s_andn2_saveexec_b64 s[40:41], s[42:43]
	s_cbranch_execz .LBB6_2700
; %bb.2695:                             ;   in Loop: Header=BB6_2666 Depth=4
	v_cmp_ne_u64_e64 s[28:29], 0, v[33:34]
                                        ; implicit-def: $vgpr24
	s_and_saveexec_b64 s[42:43], s[28:29]
	s_xor_b64 s[28:29], exec, s[42:43]
; %bb.2696:                             ;   in Loop: Header=BB6_2666 Depth=4
	v_or_b32_sdwa v24, v0, s83 dst_sel:DWORD dst_unused:UNUSED_PAD src0_sel:BYTE_3 src1_sel:DWORD
                                        ; implicit-def: $vgpr0
; %bb.2697:                             ;   in Loop: Header=BB6_2666 Depth=4
	s_andn2_saveexec_b64 s[42:43], s[28:29]
; %bb.2698:                             ;   in Loop: Header=BB6_2666 Depth=4
	v_cmp_lt_i32_e64 s[28:29], -1, v0
	v_bfrev_b32_e32 v0, 0.5
	v_mov_b32_e32 v1, 0x7c
	v_cndmask_b32_e64 v24, v0, v1, s[28:29]
; %bb.2699:                             ;   in Loop: Header=BB6_2666 Depth=4
	s_or_b64 exec, exec, s[42:43]
.LBB6_2700:                             ;   in Loop: Header=BB6_2666 Depth=4
	s_or_b64 exec, exec, s[40:41]
	v_lshrrev_b16_e32 v0, 8, v12
	v_cmp_ne_u16_e64 s[28:29], 0, v0
	v_mov_b32_e32 v2, 0
	s_and_saveexec_b64 s[40:41], s[28:29]
	s_cbranch_execz .LBB6_2708
; %bb.2701:                             ;   in Loop: Header=BB6_2666 Depth=4
	v_cmp_ne_u16_e64 s[28:29], s44, v0
	v_bfrev_b32_e32 v2, 1
	s_and_saveexec_b64 s[42:43], s[28:29]
	s_cbranch_execz .LBB6_2707
; %bb.2702:                             ;   in Loop: Header=BB6_2666 Depth=4
	v_and_b32_e32 v1, 0x7c, v0
	v_and_b32_e32 v3, 3, v0
	v_cmp_ne_u32_e64 s[28:29], s81, v1
                                        ; implicit-def: $vgpr2
	s_and_saveexec_b64 s[38:39], s[28:29]
	s_xor_b64 s[38:39], exec, s[38:39]
	s_cbranch_execz .LBB6_2704
; %bb.2703:                             ;   in Loop: Header=BB6_2666 Depth=4
	v_ffbh_u32_e32 v25, v3
	v_min_u32_e32 v25, 32, v25
	v_mov_b32_e32 v1, v34
	v_subrev_u32_e32 v26, 29, v25
	v_bfe_u32 v2, v0, 2, 5
	v_lshlrev_b64 v[0:1], v26, v[0:1]
	v_sub_u32_e32 v1, 30, v25
	v_cmp_eq_u32_e64 s[28:29], 0, v2
	v_cndmask_b32_e64 v1, v2, v1, s[28:29]
	v_lshlrev_b32_e32 v2, 16, v12
	v_and_b32_e32 v0, 3, v0
	v_and_b32_e32 v2, 0x80000000, v2
	v_cndmask_b32_e64 v0, v3, v0, s[28:29]
	v_lshl_add_u32 v1, v1, 23, v2
	v_lshl_or_b32 v0, v0, 21, v1
	v_add_u32_e32 v2, 0x38000000, v0
                                        ; implicit-def: $vgpr3
.LBB6_2704:                             ;   in Loop: Header=BB6_2666 Depth=4
	s_andn2_saveexec_b64 s[38:39], s[38:39]
; %bb.2705:                             ;   in Loop: Header=BB6_2666 Depth=4
	v_cmp_lt_i16_e64 s[28:29], -1, v12
	v_mov_b32_e32 v0, 0xff800000
	v_mov_b32_e32 v1, 0x7f800000
	v_cndmask_b32_e64 v0, v0, v1, s[28:29]
	v_cmp_eq_u32_e64 s[28:29], 0, v3
	v_mov_b32_e32 v1, 0x7f800001
	v_cndmask_b32_e64 v2, v1, v0, s[28:29]
; %bb.2706:                             ;   in Loop: Header=BB6_2666 Depth=4
	s_or_b64 exec, exec, s[38:39]
.LBB6_2707:                             ;   in Loop: Header=BB6_2666 Depth=4
	s_or_b64 exec, exec, s[42:43]
.LBB6_2708:                             ;   in Loop: Header=BB6_2666 Depth=4
	s_or_b64 exec, exec, s[40:41]
	v_lshrrev_b16_e32 v0, 8, v8
	v_cmp_lt_i16_e64 s[28:29], s83, v0
	s_mov_b64 s[40:41], 0
	s_and_saveexec_b64 s[42:43], s[28:29]
	s_xor_b64 s[42:43], exec, s[42:43]
	s_cbranch_execz .LBB6_3191
; %bb.2709:                             ;   in Loop: Header=BB6_2666 Depth=4
	v_cmp_eq_u16_e64 s[28:29], s44, v0
	s_mov_b64 s[40:41], -1
	s_and_saveexec_b64 s[38:39], s[28:29]
; %bb.2710:                             ;   in Loop: Header=BB6_2666 Depth=4
	s_xor_b64 s[40:41], exec, -1
; %bb.2711:                             ;   in Loop: Header=BB6_2666 Depth=4
	s_or_b64 exec, exec, s[38:39]
	s_and_b64 s[40:41], s[40:41], exec
	s_or_saveexec_b64 s[42:43], s[42:43]
	v_bfrev_b32_e32 v1, 1
	s_xor_b64 exec, exec, s[42:43]
	s_cbranch_execnz .LBB6_3192
.LBB6_2712:                             ;   in Loop: Header=BB6_2666 Depth=4
	s_or_b64 exec, exec, s[42:43]
	s_and_saveexec_b64 s[38:39], s[40:41]
	s_cbranch_execz .LBB6_2714
.LBB6_2713:                             ;   in Loop: Header=BB6_2666 Depth=4
	v_and_b32_e32 v3, 3, v0
	v_and_b32_e32 v25, 0x7c, v0
	v_cmp_eq_u32_e64 s[28:29], s81, v25
	v_ffbh_u32_e32 v25, v3
	v_min_u32_e32 v28, 32, v25
	v_mov_b32_e32 v1, v34
	v_subrev_u32_e32 v25, 29, v28
	v_bfe_u32 v27, v0, 2, 5
	v_lshlrev_b64 v[25:26], v25, v[0:1]
	v_cmp_eq_u32_e64 s[40:41], 0, v27
	v_sub_u32_e32 v1, 30, v28
	v_lshlrev_b32_e32 v0, 24, v0
	v_and_b32_e32 v25, 3, v25
	v_cndmask_b32_e64 v1, v27, v1, s[40:41]
	v_and_b32_e32 v0, 0x80000000, v0
	v_cndmask_b32_e64 v25, v3, v25, s[40:41]
	v_lshl_add_u32 v0, v1, 23, v0
	v_cmp_eq_u32_e64 s[40:41], 0, v3
	v_cmp_lt_i16_e64 s[42:43], -1, v8
	v_mov_b32_e32 v1, 0xff800000
	v_mov_b32_e32 v3, 0x7f800000
	v_lshl_or_b32 v0, v25, 21, v0
	v_cndmask_b32_e64 v1, v1, v3, s[42:43]
	v_mov_b32_e32 v3, 0x7f800001
	v_add_u32_e32 v0, 0x38000000, v0
	v_cndmask_b32_e64 v1, v3, v1, s[40:41]
	v_cndmask_b32_e64 v1, v0, v1, s[28:29]
.LBB6_2714:                             ;   in Loop: Header=BB6_2666 Depth=4
	s_or_b64 exec, exec, s[38:39]
	v_mul_f32_e32 v0, v2, v1
	v_and_b32_e32 v1, 0x7f800000, v0
	v_mov_b32_e32 v2, v34
	v_cmp_ne_u64_e64 s[28:29], s[76:77], v[1:2]
	v_and_b32_e32 v33, 0x7fffff, v0
                                        ; implicit-def: $vgpr25
	s_and_saveexec_b64 s[40:41], s[28:29]
	s_xor_b64 s[42:43], exec, s[40:41]
	s_cbranch_execz .LBB6_2728
; %bb.2715:                             ;   in Loop: Header=BB6_2666 Depth=4
	v_and_b32_e32 v1, 0x7fffffff, v0
	v_mov_b32_e32 v2, v34
	v_cmp_gt_u64_e64 s[28:29], s[78:79], v[1:2]
	v_and_b32_sdwa v3, v0, s44 dst_sel:DWORD dst_unused:UNUSED_PAD src0_sel:BYTE_3 src1_sel:DWORD
                                        ; implicit-def: $vgpr25
	s_and_saveexec_b64 s[40:41], s[28:29]
	s_xor_b64 s[38:39], exec, s[40:41]
	s_cbranch_execz .LBB6_2725
; %bb.2716:                             ;   in Loop: Header=BB6_2666 Depth=4
	v_mov_b32_e32 v25, 0
	v_cmp_ne_u32_e64 s[28:29], 0, v0
	s_and_saveexec_b64 s[48:49], s[28:29]
	s_cbranch_execz .LBB6_2724
; %bb.2717:                             ;   in Loop: Header=BB6_2666 Depth=4
	v_bfe_u32 v25, v0, 23, 8
	v_cmp_gt_u32_e64 s[40:41], s45, v25
	v_sub_u32_e32 v0, 0x71, v25
	v_cmp_eq_u32_e64 s[28:29], 0, v25
	v_cndmask_b32_e64 v0, 0, v0, s[40:41]
	v_mov_b32_e32 v2, 0x70
	v_cndmask_b32_e64 v26, v0, v2, s[28:29]
	v_add_u32_e32 v2, 21, v26
	v_or_b32_e32 v1, 0x800000, v33
	v_lshlrev_b64 v[27:28], v2, -1
	v_cndmask_b32_e64 v0, v1, v33, s[28:29]
	v_mov_b32_e32 v1, v34
	v_add_u32_e32 v2, 20, v26
	v_bfi_b32 v27, v27, 0, v0
	v_lshlrev_b64 v[29:30], v2, 1
	v_lshrrev_b64 v[0:1], v26, v[0:1]
	v_bfi_b32 v28, v28, 0, 0
	v_cmp_eq_u64_e64 s[40:41], v[27:28], v[29:30]
	v_mov_b32_e32 v2, v1
	v_mov_b32_e32 v1, v0
	s_and_saveexec_b64 s[50:51], s[40:41]
; %bb.2718:                             ;   in Loop: Header=BB6_2666 Depth=4
	v_bfe_u32 v1, v0, 21, 1
	v_add_co_u32_e64 v1, s[40:41], v0, v1
	v_add_co_u32_e64 v1, s[40:41], -1, v1
; %bb.2719:                             ;   in Loop: Header=BB6_2666 Depth=4
	s_or_b64 exec, exec, s[50:51]
	v_add_u32_e32 v2, 0xffffff81, v25
	v_mov_b32_e32 v25, 0xffffff82
	v_cndmask_b32_e64 v2, v2, v25, s[28:29]
	v_lshrrev_b32_e32 v25, 23, v0
	v_add3_u32 v26, v26, v2, v25
	v_add_u32_e32 v25, 14, v26
	v_and_b32_e32 v1, 0x1fffff, v1
	v_add_u32_e32 v33, v1, v0
	v_cmp_ne_u32_e64 s[28:29], 0, v25
                                        ; implicit-def: $vgpr0_vgpr1
                                        ; implicit-def: $vgpr2
	s_and_saveexec_b64 s[40:41], s[28:29]
	s_xor_b64 s[40:41], exec, s[40:41]
; %bb.2720:                             ;   in Loop: Header=BB6_2666 Depth=4
	v_cmp_lt_u64_e64 s[28:29], s[88:89], v[33:34]
	v_add_u32_e32 v0, 15, v26
	v_cndmask_b32_e64 v2, v25, v0, s[28:29]
	v_cndmask_b32_e64 v0, 0, 1, s[28:29]
	v_lshrrev_b64 v[0:1], v0, v[33:34]
; %bb.2721:                             ;   in Loop: Header=BB6_2666 Depth=4
	s_andn2_saveexec_b64 s[28:29], s[40:41]
; %bb.2722:                             ;   in Loop: Header=BB6_2666 Depth=4
	v_mov_b32_e32 v0, v33
	v_mov_b32_e32 v1, v34
	v_bfe_u32 v2, v33, 23, 1
; %bb.2723:                             ;   in Loop: Header=BB6_2666 Depth=4
	s_or_b64 exec, exec, s[28:29]
	v_lshrrev_b64 v[0:1], 21, v[0:1]
	v_cmp_gt_i32_e64 s[28:29], 32, v2
	v_cndmask_b32_e64 v1, 0, v1, s[28:29]
	v_cndmask_b32_e64 v0, 3, v0, s[28:29]
	v_cmp_eq_u64_e64 s[40:41], 0, v[0:1]
	v_min_i32_e32 v1, 31, v2
	v_lshlrev_b32_e32 v1, 2, v1
	v_cmp_eq_u32_e64 s[28:29], 0, v2
	v_and_b32_e32 v1, 0xfc, v1
	v_and_or_b32 v0, v0, 3, v1
	s_and_b64 s[28:29], s[28:29], s[40:41]
	v_cndmask_b32_e64 v0, v0, 0, s[28:29]
	v_or_b32_e32 v25, v0, v3
.LBB6_2724:                             ;   in Loop: Header=BB6_2666 Depth=4
	s_or_b64 exec, exec, s[48:49]
                                        ; implicit-def: $vgpr3
.LBB6_2725:                             ;   in Loop: Header=BB6_2666 Depth=4
	s_andn2_saveexec_b64 s[28:29], s[38:39]
; %bb.2726:                             ;   in Loop: Header=BB6_2666 Depth=4
	v_or_b32_e32 v25, 0x7b, v3
; %bb.2727:                             ;   in Loop: Header=BB6_2666 Depth=4
	s_or_b64 exec, exec, s[28:29]
                                        ; implicit-def: $vgpr0
.LBB6_2728:                             ;   in Loop: Header=BB6_2666 Depth=4
	s_andn2_saveexec_b64 s[40:41], s[42:43]
	s_cbranch_execz .LBB6_2734
; %bb.2729:                             ;   in Loop: Header=BB6_2666 Depth=4
	v_cmp_ne_u64_e64 s[28:29], 0, v[33:34]
                                        ; implicit-def: $vgpr25
	s_and_saveexec_b64 s[42:43], s[28:29]
	s_xor_b64 s[28:29], exec, s[42:43]
; %bb.2730:                             ;   in Loop: Header=BB6_2666 Depth=4
	v_or_b32_sdwa v25, v0, s83 dst_sel:DWORD dst_unused:UNUSED_PAD src0_sel:BYTE_3 src1_sel:DWORD
                                        ; implicit-def: $vgpr0
; %bb.2731:                             ;   in Loop: Header=BB6_2666 Depth=4
	s_andn2_saveexec_b64 s[42:43], s[28:29]
; %bb.2732:                             ;   in Loop: Header=BB6_2666 Depth=4
	v_cmp_lt_i32_e64 s[28:29], -1, v0
	v_bfrev_b32_e32 v0, 0.5
	v_mov_b32_e32 v1, 0x7c
	v_cndmask_b32_e64 v25, v0, v1, s[28:29]
; %bb.2733:                             ;   in Loop: Header=BB6_2666 Depth=4
	s_or_b64 exec, exec, s[42:43]
.LBB6_2734:                             ;   in Loop: Header=BB6_2666 Depth=4
	s_or_b64 exec, exec, s[40:41]
	v_lshrrev_b32_e32 v0, 16, v12
	v_cmp_ne_u16_sdwa s[28:29], v0, v34 src0_sel:BYTE_0 src1_sel:DWORD
	v_mov_b32_e32 v1, 0
	s_and_saveexec_b64 s[40:41], s[28:29]
	s_cbranch_execz .LBB6_2742
; %bb.2735:                             ;   in Loop: Header=BB6_2666 Depth=4
	v_cmp_ne_u16_sdwa s[28:29], v0, s44 src0_sel:BYTE_0 src1_sel:DWORD
	v_bfrev_b32_e32 v1, 1
	s_and_saveexec_b64 s[42:43], s[28:29]
	s_cbranch_execz .LBB6_2741
; %bb.2736:                             ;   in Loop: Header=BB6_2666 Depth=4
	v_and_b32_e32 v1, 0x7c0000, v12
	v_bfe_u32 v2, v12, 16, 2
	v_cmp_ne_u32_e64 s[28:29], s9, v1
                                        ; implicit-def: $vgpr1
	s_and_saveexec_b64 s[38:39], s[28:29]
	s_xor_b64 s[38:39], exec, s[38:39]
	s_cbranch_execz .LBB6_2738
; %bb.2737:                             ;   in Loop: Header=BB6_2666 Depth=4
	v_ffbh_u32_e32 v1, v2
	v_min_u32_e32 v26, 32, v1
	v_subrev_u32_e32 v1, 29, v26
	v_lshlrev_b64 v[0:1], v1, v[0:1]
	v_bfe_u32 v3, v12, 18, 5
	v_and_b32_e32 v0, 3, v0
	v_cmp_eq_u32_e64 s[28:29], 0, v3
	v_sub_u32_e32 v1, 30, v26
	v_cndmask_b32_e64 v0, v2, v0, s[28:29]
	v_lshlrev_b32_e32 v2, 8, v12
	v_cndmask_b32_e64 v1, v3, v1, s[28:29]
	v_and_b32_e32 v2, 0x80000000, v2
	v_lshl_add_u32 v1, v1, 23, v2
	v_lshl_or_b32 v0, v0, 21, v1
	v_add_u32_e32 v1, 0x38000000, v0
                                        ; implicit-def: $vgpr2
                                        ; implicit-def: $vgpr0
.LBB6_2738:                             ;   in Loop: Header=BB6_2666 Depth=4
	s_andn2_saveexec_b64 s[38:39], s[38:39]
; %bb.2739:                             ;   in Loop: Header=BB6_2666 Depth=4
	v_mov_b32_e32 v1, -1
	v_cmp_gt_i16_sdwa s[28:29], sext(v0), v1 src0_sel:BYTE_0 src1_sel:DWORD
	v_mov_b32_e32 v0, 0xff800000
	v_mov_b32_e32 v1, 0x7f800000
	v_cndmask_b32_e64 v0, v0, v1, s[28:29]
	v_cmp_eq_u32_e64 s[28:29], 0, v2
	v_mov_b32_e32 v1, 0x7f800001
	v_cndmask_b32_e64 v1, v1, v0, s[28:29]
; %bb.2740:                             ;   in Loop: Header=BB6_2666 Depth=4
	s_or_b64 exec, exec, s[38:39]
.LBB6_2741:                             ;   in Loop: Header=BB6_2666 Depth=4
	s_or_b64 exec, exec, s[42:43]
.LBB6_2742:                             ;   in Loop: Header=BB6_2666 Depth=4
	s_or_b64 exec, exec, s[40:41]
	v_lshrrev_b32_e32 v0, 16, v8
	v_cmp_gt_i16_sdwa s[40:41], v0, s83 src0_sel:BYTE_0 src1_sel:DWORD
	s_mov_b64 s[28:29], 0
	s_and_saveexec_b64 s[42:43], s[40:41]
	s_xor_b64 s[40:41], exec, s[42:43]
	s_cbranch_execz .LBB6_3193
; %bb.2743:                             ;   in Loop: Header=BB6_2666 Depth=4
	v_cmp_eq_u16_sdwa s[38:39], v0, s44 src0_sel:BYTE_0 src1_sel:DWORD
	s_mov_b64 s[28:29], -1
	s_and_saveexec_b64 s[42:43], s[38:39]
; %bb.2744:                             ;   in Loop: Header=BB6_2666 Depth=4
	s_xor_b64 s[28:29], exec, -1
; %bb.2745:                             ;   in Loop: Header=BB6_2666 Depth=4
	s_or_b64 exec, exec, s[42:43]
	s_and_b64 s[28:29], s[28:29], exec
	s_or_saveexec_b64 s[40:41], s[40:41]
	v_bfrev_b32_e32 v2, 1
	s_xor_b64 exec, exec, s[40:41]
	s_cbranch_execnz .LBB6_3194
.LBB6_2746:                             ;   in Loop: Header=BB6_2666 Depth=4
	s_or_b64 exec, exec, s[40:41]
	s_and_saveexec_b64 s[38:39], s[28:29]
	s_cbranch_execz .LBB6_2748
.LBB6_2747:                             ;   in Loop: Header=BB6_2666 Depth=4
	v_and_b32_e32 v26, 3, v0
	v_and_b32_e32 v2, 0x7c0000, v8
	v_cmp_eq_u32_e64 s[28:29], s9, v2
	v_ffbh_u32_e32 v2, v26
	v_min_u32_e32 v28, 32, v2
	v_subrev_u32_e32 v2, 29, v28
	v_bfe_u32 v27, v8, 18, 5
	v_lshlrev_b64 v[2:3], v2, v[0:1]
	v_cmp_eq_u32_e64 s[40:41], 0, v27
	v_sub_u32_e32 v3, 30, v28
	v_cndmask_b32_e64 v3, v27, v3, s[40:41]
	v_lshlrev_b32_e32 v27, 24, v0
	v_and_b32_e32 v2, 3, v2
	v_and_b32_e32 v27, 0x80000000, v27
	v_cndmask_b32_e64 v2, v26, v2, s[40:41]
	v_lshl_add_u32 v3, v3, 23, v27
	v_lshl_or_b32 v2, v2, 21, v3
	v_mov_b32_e32 v3, -1
	v_cmp_gt_i16_sdwa s[42:43], sext(v0), v3 src0_sel:BYTE_0 src1_sel:DWORD
	v_mov_b32_e32 v0, 0xff800000
	v_mov_b32_e32 v3, 0x7f800000
	v_cmp_eq_u32_e64 s[40:41], 0, v26
	v_cndmask_b32_e64 v0, v0, v3, s[42:43]
	v_mov_b32_e32 v3, 0x7f800001
	v_add_u32_e32 v2, 0x38000000, v2
	v_cndmask_b32_e64 v0, v3, v0, s[40:41]
	v_cndmask_b32_e64 v2, v2, v0, s[28:29]
.LBB6_2748:                             ;   in Loop: Header=BB6_2666 Depth=4
	s_or_b64 exec, exec, s[38:39]
	v_mul_f32_e32 v0, v1, v2
	v_and_b32_e32 v1, 0x7f800000, v0
	v_mov_b32_e32 v2, v34
	v_cmp_ne_u64_e64 s[28:29], s[76:77], v[1:2]
	v_and_b32_e32 v33, 0x7fffff, v0
                                        ; implicit-def: $vgpr26
	s_and_saveexec_b64 s[40:41], s[28:29]
	s_xor_b64 s[42:43], exec, s[40:41]
	s_cbranch_execz .LBB6_2762
; %bb.2749:                             ;   in Loop: Header=BB6_2666 Depth=4
	v_and_b32_e32 v1, 0x7fffffff, v0
	v_mov_b32_e32 v2, v34
	v_cmp_gt_u64_e64 s[28:29], s[78:79], v[1:2]
	v_and_b32_sdwa v3, v0, s44 dst_sel:DWORD dst_unused:UNUSED_PAD src0_sel:BYTE_3 src1_sel:DWORD
                                        ; implicit-def: $vgpr26
	s_and_saveexec_b64 s[40:41], s[28:29]
	s_xor_b64 s[38:39], exec, s[40:41]
	s_cbranch_execz .LBB6_2759
; %bb.2750:                             ;   in Loop: Header=BB6_2666 Depth=4
	v_mov_b32_e32 v26, 0
	v_cmp_ne_u32_e64 s[28:29], 0, v0
	s_and_saveexec_b64 s[48:49], s[28:29]
	s_cbranch_execz .LBB6_2758
; %bb.2751:                             ;   in Loop: Header=BB6_2666 Depth=4
	v_bfe_u32 v26, v0, 23, 8
	v_cmp_gt_u32_e64 s[40:41], s45, v26
	v_sub_u32_e32 v0, 0x71, v26
	v_cmp_eq_u32_e64 s[28:29], 0, v26
	v_cndmask_b32_e64 v0, 0, v0, s[40:41]
	v_mov_b32_e32 v2, 0x70
	v_cndmask_b32_e64 v27, v0, v2, s[28:29]
	v_add_u32_e32 v2, 21, v27
	v_or_b32_e32 v1, 0x800000, v33
	v_lshlrev_b64 v[28:29], v2, -1
	v_cndmask_b32_e64 v0, v1, v33, s[28:29]
	v_mov_b32_e32 v1, v34
	v_add_u32_e32 v2, 20, v27
	v_bfi_b32 v28, v28, 0, v0
	v_lshlrev_b64 v[30:31], v2, 1
	v_lshrrev_b64 v[0:1], v27, v[0:1]
	v_bfi_b32 v29, v29, 0, 0
	v_cmp_eq_u64_e64 s[40:41], v[28:29], v[30:31]
	v_mov_b32_e32 v2, v1
	v_mov_b32_e32 v1, v0
	s_and_saveexec_b64 s[50:51], s[40:41]
; %bb.2752:                             ;   in Loop: Header=BB6_2666 Depth=4
	v_bfe_u32 v1, v0, 21, 1
	v_add_co_u32_e64 v1, s[40:41], v0, v1
	v_add_co_u32_e64 v1, s[40:41], -1, v1
; %bb.2753:                             ;   in Loop: Header=BB6_2666 Depth=4
	s_or_b64 exec, exec, s[50:51]
	v_add_u32_e32 v2, 0xffffff81, v26
	v_mov_b32_e32 v26, 0xffffff82
	v_cndmask_b32_e64 v2, v2, v26, s[28:29]
	v_lshrrev_b32_e32 v26, 23, v0
	v_add3_u32 v27, v27, v2, v26
	v_add_u32_e32 v26, 14, v27
	v_and_b32_e32 v1, 0x1fffff, v1
	v_add_u32_e32 v33, v1, v0
	v_cmp_ne_u32_e64 s[28:29], 0, v26
                                        ; implicit-def: $vgpr0_vgpr1
                                        ; implicit-def: $vgpr2
	s_and_saveexec_b64 s[40:41], s[28:29]
	s_xor_b64 s[40:41], exec, s[40:41]
; %bb.2754:                             ;   in Loop: Header=BB6_2666 Depth=4
	v_cmp_lt_u64_e64 s[28:29], s[88:89], v[33:34]
	v_add_u32_e32 v0, 15, v27
	v_cndmask_b32_e64 v2, v26, v0, s[28:29]
	v_cndmask_b32_e64 v0, 0, 1, s[28:29]
	v_lshrrev_b64 v[0:1], v0, v[33:34]
; %bb.2755:                             ;   in Loop: Header=BB6_2666 Depth=4
	s_andn2_saveexec_b64 s[28:29], s[40:41]
; %bb.2756:                             ;   in Loop: Header=BB6_2666 Depth=4
	v_mov_b32_e32 v0, v33
	v_mov_b32_e32 v1, v34
	v_bfe_u32 v2, v33, 23, 1
; %bb.2757:                             ;   in Loop: Header=BB6_2666 Depth=4
	s_or_b64 exec, exec, s[28:29]
	v_lshrrev_b64 v[0:1], 21, v[0:1]
	v_cmp_gt_i32_e64 s[28:29], 32, v2
	v_cndmask_b32_e64 v1, 0, v1, s[28:29]
	v_cndmask_b32_e64 v0, 3, v0, s[28:29]
	v_cmp_eq_u64_e64 s[40:41], 0, v[0:1]
	v_min_i32_e32 v1, 31, v2
	v_lshlrev_b32_e32 v1, 2, v1
	v_cmp_eq_u32_e64 s[28:29], 0, v2
	v_and_b32_e32 v1, 0xfc, v1
	v_and_or_b32 v0, v0, 3, v1
	s_and_b64 s[28:29], s[28:29], s[40:41]
	v_cndmask_b32_e64 v0, v0, 0, s[28:29]
	v_or_b32_e32 v26, v0, v3
.LBB6_2758:                             ;   in Loop: Header=BB6_2666 Depth=4
	s_or_b64 exec, exec, s[48:49]
                                        ; implicit-def: $vgpr3
.LBB6_2759:                             ;   in Loop: Header=BB6_2666 Depth=4
	s_andn2_saveexec_b64 s[28:29], s[38:39]
; %bb.2760:                             ;   in Loop: Header=BB6_2666 Depth=4
	v_or_b32_e32 v26, 0x7b, v3
; %bb.2761:                             ;   in Loop: Header=BB6_2666 Depth=4
	s_or_b64 exec, exec, s[28:29]
                                        ; implicit-def: $vgpr0
.LBB6_2762:                             ;   in Loop: Header=BB6_2666 Depth=4
	s_andn2_saveexec_b64 s[40:41], s[42:43]
	s_cbranch_execz .LBB6_2768
; %bb.2763:                             ;   in Loop: Header=BB6_2666 Depth=4
	v_cmp_ne_u64_e64 s[28:29], 0, v[33:34]
                                        ; implicit-def: $vgpr26
	s_and_saveexec_b64 s[42:43], s[28:29]
	s_xor_b64 s[28:29], exec, s[42:43]
; %bb.2764:                             ;   in Loop: Header=BB6_2666 Depth=4
	v_or_b32_sdwa v26, v0, s83 dst_sel:DWORD dst_unused:UNUSED_PAD src0_sel:BYTE_3 src1_sel:DWORD
                                        ; implicit-def: $vgpr0
; %bb.2765:                             ;   in Loop: Header=BB6_2666 Depth=4
	s_andn2_saveexec_b64 s[42:43], s[28:29]
; %bb.2766:                             ;   in Loop: Header=BB6_2666 Depth=4
	v_cmp_lt_i32_e64 s[28:29], -1, v0
	v_bfrev_b32_e32 v0, 0.5
	v_mov_b32_e32 v1, 0x7c
	v_cndmask_b32_e64 v26, v0, v1, s[28:29]
; %bb.2767:                             ;   in Loop: Header=BB6_2666 Depth=4
	s_or_b64 exec, exec, s[42:43]
.LBB6_2768:                             ;   in Loop: Header=BB6_2666 Depth=4
	s_or_b64 exec, exec, s[40:41]
	v_cmp_lt_u32_e64 s[28:29], s57, v12
	v_mov_b32_e32 v1, 0
	s_and_saveexec_b64 s[40:41], s[28:29]
	s_cbranch_execz .LBB6_2776
; %bb.2769:                             ;   in Loop: Header=BB6_2666 Depth=4
	v_lshrrev_b32_e32 v0, 24, v12
	v_cmp_ne_u32_e64 s[28:29], s44, v0
	v_bfrev_b32_e32 v1, 1
	s_and_saveexec_b64 s[42:43], s[28:29]
	s_cbranch_execz .LBB6_2775
; %bb.2770:                             ;   in Loop: Header=BB6_2666 Depth=4
	v_and_b32_e32 v1, 0x7c000000, v12
	v_bfe_u32 v2, v12, 24, 2
	v_cmp_ne_u32_e64 s[28:29], s8, v1
                                        ; implicit-def: $vgpr1
	s_and_saveexec_b64 s[38:39], s[28:29]
	s_xor_b64 s[38:39], exec, s[38:39]
	s_cbranch_execz .LBB6_2772
; %bb.2771:                             ;   in Loop: Header=BB6_2666 Depth=4
	v_ffbh_u32_e32 v1, v2
	v_min_u32_e32 v27, 32, v1
	v_subrev_u32_e32 v1, 29, v27
	v_lshlrev_b64 v[0:1], v1, v[0:1]
	v_bfe_u32 v3, v12, 26, 5
	v_sub_u32_e32 v1, 30, v27
	v_and_b32_e32 v0, 3, v0
	v_cmp_eq_u32_e64 s[28:29], 0, v3
	v_cndmask_b32_e64 v1, v3, v1, s[28:29]
	v_cndmask_b32_e64 v0, v2, v0, s[28:29]
	v_and_b32_e32 v2, 0x80000000, v12
	v_lshl_add_u32 v1, v1, 23, v2
	v_lshl_or_b32 v0, v0, 21, v1
	v_add_u32_e32 v1, 0x38000000, v0
                                        ; implicit-def: $vgpr2
.LBB6_2772:                             ;   in Loop: Header=BB6_2666 Depth=4
	s_andn2_saveexec_b64 s[38:39], s[38:39]
; %bb.2773:                             ;   in Loop: Header=BB6_2666 Depth=4
	v_cmp_lt_i32_e64 s[28:29], -1, v12
	v_mov_b32_e32 v0, 0xff800000
	v_mov_b32_e32 v1, 0x7f800000
	v_cndmask_b32_e64 v0, v0, v1, s[28:29]
	v_cmp_eq_u32_e64 s[28:29], 0, v2
	v_mov_b32_e32 v1, 0x7f800001
	v_cndmask_b32_e64 v1, v1, v0, s[28:29]
; %bb.2774:                             ;   in Loop: Header=BB6_2666 Depth=4
	s_or_b64 exec, exec, s[38:39]
.LBB6_2775:                             ;   in Loop: Header=BB6_2666 Depth=4
	s_or_b64 exec, exec, s[42:43]
.LBB6_2776:                             ;   in Loop: Header=BB6_2666 Depth=4
	s_or_b64 exec, exec, s[40:41]
	v_bfe_u32 v27, v8, 24, 2
	v_and_b32_e32 v2, 0x7c000000, v8
	v_cmp_eq_u32_e64 s[28:29], s8, v2
	v_ffbh_u32_e32 v2, v27
	v_min_u32_e32 v29, 32, v2
	v_lshrrev_b32_e32 v0, 24, v8
	v_subrev_u32_e32 v2, 29, v29
	v_bfe_u32 v28, v8, 26, 5
	v_lshlrev_b64 v[2:3], v2, v[0:1]
	v_cmp_eq_u32_e64 s[40:41], 0, v28
	v_sub_u32_e32 v3, 30, v29
	v_and_b32_e32 v2, 3, v2
	v_cndmask_b32_e64 v3, v28, v3, s[40:41]
	v_and_b32_e32 v28, 0x80000000, v8
	v_cndmask_b32_e64 v2, v27, v2, s[40:41]
	v_lshl_add_u32 v3, v3, 23, v28
	v_lshl_or_b32 v2, v2, 21, v3
	v_cmp_eq_u32_e64 s[40:41], 0, v27
	v_cmp_lt_i32_e64 s[42:43], -1, v8
	v_mov_b32_e32 v3, 0xff800000
	v_mov_b32_e32 v27, 0x7f800000
	v_cndmask_b32_e64 v3, v3, v27, s[42:43]
	v_mov_b32_e32 v27, 0x7f800001
	v_add_u32_e32 v2, 0x38000000, v2
	v_cndmask_b32_e64 v3, v27, v3, s[40:41]
	v_cndmask_b32_e64 v2, v2, v3, s[28:29]
	v_cmp_ne_u32_e64 s[28:29], s44, v0
	v_bfrev_b32_e32 v0, 1
	v_cndmask_b32_e64 v0, v0, v2, s[28:29]
	v_cmp_lt_u32_e64 s[28:29], s57, v8
	v_cndmask_b32_e64 v0, 0, v0, s[28:29]
	v_mul_f32_e32 v0, v0, v1
	v_and_b32_e32 v1, 0x7f800000, v0
	v_mov_b32_e32 v2, v34
	v_cmp_ne_u64_e64 s[28:29], s[76:77], v[1:2]
	v_and_b32_e32 v33, 0x7fffff, v0
                                        ; implicit-def: $vgpr27
	s_and_saveexec_b64 s[40:41], s[28:29]
	s_xor_b64 s[42:43], exec, s[40:41]
	s_cbranch_execz .LBB6_2790
; %bb.2777:                             ;   in Loop: Header=BB6_2666 Depth=4
	v_and_b32_e32 v1, 0x7fffffff, v0
	v_mov_b32_e32 v2, v34
	v_cmp_gt_u64_e64 s[28:29], s[78:79], v[1:2]
	v_and_b32_sdwa v3, v0, s44 dst_sel:DWORD dst_unused:UNUSED_PAD src0_sel:BYTE_3 src1_sel:DWORD
                                        ; implicit-def: $vgpr27
	s_and_saveexec_b64 s[40:41], s[28:29]
	s_xor_b64 s[38:39], exec, s[40:41]
	s_cbranch_execz .LBB6_2787
; %bb.2778:                             ;   in Loop: Header=BB6_2666 Depth=4
	v_mov_b32_e32 v27, 0
	v_cmp_ne_u32_e64 s[28:29], 0, v0
	s_and_saveexec_b64 s[48:49], s[28:29]
	s_cbranch_execz .LBB6_2786
; %bb.2779:                             ;   in Loop: Header=BB6_2666 Depth=4
	v_bfe_u32 v27, v0, 23, 8
	v_cmp_gt_u32_e64 s[40:41], s45, v27
	v_sub_u32_e32 v0, 0x71, v27
	v_cmp_eq_u32_e64 s[28:29], 0, v27
	v_cndmask_b32_e64 v0, 0, v0, s[40:41]
	v_mov_b32_e32 v2, 0x70
	v_cndmask_b32_e64 v28, v0, v2, s[28:29]
	v_add_u32_e32 v2, 21, v28
	v_or_b32_e32 v1, 0x800000, v33
	v_lshlrev_b64 v[29:30], v2, -1
	v_cndmask_b32_e64 v0, v1, v33, s[28:29]
	v_mov_b32_e32 v1, v34
	v_add_u32_e32 v2, 20, v28
	v_bfi_b32 v29, v29, 0, v0
	v_lshlrev_b64 v[31:32], v2, 1
	v_lshrrev_b64 v[0:1], v28, v[0:1]
	v_bfi_b32 v30, v30, 0, 0
	v_cmp_eq_u64_e64 s[40:41], v[29:30], v[31:32]
	v_mov_b32_e32 v2, v1
	v_mov_b32_e32 v1, v0
	s_and_saveexec_b64 s[50:51], s[40:41]
; %bb.2780:                             ;   in Loop: Header=BB6_2666 Depth=4
	v_bfe_u32 v1, v0, 21, 1
	v_add_co_u32_e64 v1, s[40:41], v0, v1
	v_add_co_u32_e64 v1, s[40:41], -1, v1
; %bb.2781:                             ;   in Loop: Header=BB6_2666 Depth=4
	s_or_b64 exec, exec, s[50:51]
	v_add_u32_e32 v2, 0xffffff81, v27
	v_mov_b32_e32 v27, 0xffffff82
	v_cndmask_b32_e64 v2, v2, v27, s[28:29]
	v_lshrrev_b32_e32 v27, 23, v0
	v_add3_u32 v28, v28, v2, v27
	v_add_u32_e32 v27, 14, v28
	v_and_b32_e32 v1, 0x1fffff, v1
	v_add_u32_e32 v33, v1, v0
	v_cmp_ne_u32_e64 s[28:29], 0, v27
                                        ; implicit-def: $vgpr0_vgpr1
                                        ; implicit-def: $vgpr2
	s_and_saveexec_b64 s[40:41], s[28:29]
	s_xor_b64 s[40:41], exec, s[40:41]
; %bb.2782:                             ;   in Loop: Header=BB6_2666 Depth=4
	v_cmp_lt_u64_e64 s[28:29], s[88:89], v[33:34]
	v_add_u32_e32 v0, 15, v28
	v_cndmask_b32_e64 v2, v27, v0, s[28:29]
	v_cndmask_b32_e64 v0, 0, 1, s[28:29]
	v_lshrrev_b64 v[0:1], v0, v[33:34]
; %bb.2783:                             ;   in Loop: Header=BB6_2666 Depth=4
	s_andn2_saveexec_b64 s[28:29], s[40:41]
; %bb.2784:                             ;   in Loop: Header=BB6_2666 Depth=4
	v_mov_b32_e32 v0, v33
	v_mov_b32_e32 v1, v34
	v_bfe_u32 v2, v33, 23, 1
; %bb.2785:                             ;   in Loop: Header=BB6_2666 Depth=4
	s_or_b64 exec, exec, s[28:29]
	v_lshrrev_b64 v[0:1], 21, v[0:1]
	v_cmp_gt_i32_e64 s[28:29], 32, v2
	v_cndmask_b32_e64 v1, 0, v1, s[28:29]
	v_cndmask_b32_e64 v0, 3, v0, s[28:29]
	v_cmp_eq_u64_e64 s[40:41], 0, v[0:1]
	v_min_i32_e32 v1, 31, v2
	v_lshlrev_b32_e32 v1, 2, v1
	v_cmp_eq_u32_e64 s[28:29], 0, v2
	v_and_b32_e32 v1, 0xfc, v1
	v_and_or_b32 v0, v0, 3, v1
	s_and_b64 s[28:29], s[28:29], s[40:41]
	v_cndmask_b32_e64 v0, v0, 0, s[28:29]
	v_or_b32_e32 v27, v0, v3
.LBB6_2786:                             ;   in Loop: Header=BB6_2666 Depth=4
	s_or_b64 exec, exec, s[48:49]
                                        ; implicit-def: $vgpr3
.LBB6_2787:                             ;   in Loop: Header=BB6_2666 Depth=4
	s_andn2_saveexec_b64 s[28:29], s[38:39]
; %bb.2788:                             ;   in Loop: Header=BB6_2666 Depth=4
	v_or_b32_e32 v27, 0x7b, v3
; %bb.2789:                             ;   in Loop: Header=BB6_2666 Depth=4
	s_or_b64 exec, exec, s[28:29]
                                        ; implicit-def: $vgpr0
.LBB6_2790:                             ;   in Loop: Header=BB6_2666 Depth=4
	s_andn2_saveexec_b64 s[40:41], s[42:43]
	s_cbranch_execz .LBB6_2796
; %bb.2791:                             ;   in Loop: Header=BB6_2666 Depth=4
	v_cmp_ne_u64_e64 s[28:29], 0, v[33:34]
                                        ; implicit-def: $vgpr27
	s_and_saveexec_b64 s[42:43], s[28:29]
	s_xor_b64 s[28:29], exec, s[42:43]
; %bb.2792:                             ;   in Loop: Header=BB6_2666 Depth=4
	v_or_b32_sdwa v27, v0, s83 dst_sel:DWORD dst_unused:UNUSED_PAD src0_sel:BYTE_3 src1_sel:DWORD
                                        ; implicit-def: $vgpr0
; %bb.2793:                             ;   in Loop: Header=BB6_2666 Depth=4
	s_andn2_saveexec_b64 s[42:43], s[28:29]
; %bb.2794:                             ;   in Loop: Header=BB6_2666 Depth=4
	v_cmp_lt_i32_e64 s[28:29], -1, v0
	v_bfrev_b32_e32 v0, 0.5
	v_mov_b32_e32 v1, 0x7c
	v_cndmask_b32_e64 v27, v0, v1, s[28:29]
; %bb.2795:                             ;   in Loop: Header=BB6_2666 Depth=4
	s_or_b64 exec, exec, s[42:43]
.LBB6_2796:                             ;   in Loop: Header=BB6_2666 Depth=4
	s_or_b64 exec, exec, s[40:41]
	v_mov_b32_e32 v33, v13
	v_cmp_ne_u16_sdwa s[28:29], v13, v34 src0_sel:BYTE_0 src1_sel:DWORD
	v_mov_b32_e32 v2, 0
	s_and_saveexec_b64 s[40:41], s[28:29]
	s_cbranch_execz .LBB6_2804
; %bb.2797:                             ;   in Loop: Header=BB6_2666 Depth=4
	v_cmp_ne_u16_sdwa s[28:29], v13, s44 src0_sel:BYTE_0 src1_sel:DWORD
	v_bfrev_b32_e32 v2, 1
	s_and_saveexec_b64 s[42:43], s[28:29]
	s_cbranch_execz .LBB6_2803
; %bb.2798:                             ;   in Loop: Header=BB6_2666 Depth=4
	v_and_b32_e32 v1, 0x7c, v13
	v_and_b32_e32 v0, 3, v13
	v_cmp_ne_u32_e64 s[28:29], s81, v1
                                        ; implicit-def: $vgpr2
	s_and_saveexec_b64 s[38:39], s[28:29]
	s_xor_b64 s[38:39], exec, s[38:39]
	s_cbranch_execz .LBB6_2800
; %bb.2799:                             ;   in Loop: Header=BB6_2666 Depth=4
	v_ffbh_u32_e32 v1, v0
	v_min_u32_e32 v28, 32, v1
	v_subrev_u32_e32 v1, 29, v28
	v_lshlrev_b64 v[1:2], v1, v[33:34]
	v_bfe_u32 v3, v13, 2, 5
	v_and_b32_e32 v1, 3, v1
	v_cmp_eq_u32_e64 s[28:29], 0, v3
	v_sub_u32_e32 v2, 30, v28
	v_cndmask_b32_e64 v0, v0, v1, s[28:29]
	v_lshlrev_b32_e32 v1, 24, v13
	v_cndmask_b32_e64 v2, v3, v2, s[28:29]
	v_and_b32_e32 v1, 0x80000000, v1
	v_lshl_add_u32 v1, v2, 23, v1
	v_lshl_or_b32 v0, v0, 21, v1
	v_add_u32_e32 v2, 0x38000000, v0
                                        ; implicit-def: $vgpr0
.LBB6_2800:                             ;   in Loop: Header=BB6_2666 Depth=4
	s_andn2_saveexec_b64 s[38:39], s[38:39]
; %bb.2801:                             ;   in Loop: Header=BB6_2666 Depth=4
	v_mov_b32_e32 v1, -1
	v_cmp_gt_i16_sdwa s[28:29], sext(v13), v1 src0_sel:BYTE_0 src1_sel:DWORD
	v_mov_b32_e32 v1, 0xff800000
	v_mov_b32_e32 v2, 0x7f800000
	v_cndmask_b32_e64 v1, v1, v2, s[28:29]
	v_cmp_eq_u32_e64 s[28:29], 0, v0
	v_mov_b32_e32 v0, 0x7f800001
	v_cndmask_b32_e64 v2, v0, v1, s[28:29]
; %bb.2802:                             ;   in Loop: Header=BB6_2666 Depth=4
	s_or_b64 exec, exec, s[38:39]
.LBB6_2803:                             ;   in Loop: Header=BB6_2666 Depth=4
	s_or_b64 exec, exec, s[42:43]
.LBB6_2804:                             ;   in Loop: Header=BB6_2666 Depth=4
	s_or_b64 exec, exec, s[40:41]
	v_cmp_gt_i16_sdwa s[40:41], v9, s83 src0_sel:BYTE_0 src1_sel:DWORD
	s_mov_b64 s[28:29], 0
	s_and_saveexec_b64 s[42:43], s[40:41]
	s_xor_b64 s[40:41], exec, s[42:43]
	s_cbranch_execz .LBB6_2808
; %bb.2805:                             ;   in Loop: Header=BB6_2666 Depth=4
	v_cmp_eq_u16_sdwa s[38:39], v9, s44 src0_sel:BYTE_0 src1_sel:DWORD
	s_mov_b64 s[28:29], -1
	s_and_saveexec_b64 s[42:43], s[38:39]
; %bb.2806:                             ;   in Loop: Header=BB6_2666 Depth=4
	s_xor_b64 s[28:29], exec, -1
; %bb.2807:                             ;   in Loop: Header=BB6_2666 Depth=4
	s_or_b64 exec, exec, s[42:43]
	s_and_b64 s[28:29], s[28:29], exec
.LBB6_2808:                             ;   in Loop: Header=BB6_2666 Depth=4
	s_or_saveexec_b64 s[40:41], s[40:41]
	v_bfrev_b32_e32 v3, 1
	s_xor_b64 exec, exec, s[40:41]
; %bb.2809:                             ;   in Loop: Header=BB6_2666 Depth=4
	v_cmp_ne_u16_sdwa s[42:43], v9, v34 src0_sel:BYTE_0 src1_sel:DWORD
	s_andn2_b64 s[28:29], s[28:29], exec
	s_and_b64 s[42:43], s[42:43], exec
	v_mov_b32_e32 v3, 0
	s_or_b64 s[28:29], s[28:29], s[42:43]
; %bb.2810:                             ;   in Loop: Header=BB6_2666 Depth=4
	s_or_b64 exec, exec, s[40:41]
	v_mov_b32_e32 v0, v9
	v_mov_b32_e32 v1, v34
	s_and_saveexec_b64 s[38:39], s[28:29]
	s_cbranch_execz .LBB6_2812
; %bb.2811:                             ;   in Loop: Header=BB6_2666 Depth=4
	v_and_b32_e32 v3, 3, v9
	v_and_b32_e32 v28, 0x7c, v9
	v_cmp_eq_u32_e64 s[28:29], s81, v28
	v_ffbh_u32_e32 v28, v3
	v_min_u32_e32 v31, 32, v28
	v_subrev_u32_e32 v28, 29, v31
	v_bfe_u32 v30, v9, 2, 5
	v_lshlrev_b64 v[28:29], v28, v[0:1]
	v_cmp_eq_u32_e64 s[40:41], 0, v30
	v_sub_u32_e32 v1, 30, v31
	v_lshlrev_b32_e32 v29, 24, v9
	v_and_b32_e32 v28, 3, v28
	v_cndmask_b32_e64 v1, v30, v1, s[40:41]
	v_and_b32_e32 v29, 0x80000000, v29
	v_cndmask_b32_e64 v28, v3, v28, s[40:41]
	v_lshl_add_u32 v1, v1, 23, v29
	v_cmp_eq_u32_e64 s[40:41], 0, v3
	v_mov_b32_e32 v3, -1
	v_lshl_or_b32 v1, v28, 21, v1
	v_cmp_gt_i16_sdwa s[42:43], sext(v9), v3 src0_sel:BYTE_0 src1_sel:DWORD
	v_mov_b32_e32 v3, 0xff800000
	v_mov_b32_e32 v28, 0x7f800000
	v_cndmask_b32_e64 v3, v3, v28, s[42:43]
	v_mov_b32_e32 v28, 0x7f800001
	v_add_u32_e32 v1, 0x38000000, v1
	v_cndmask_b32_e64 v3, v28, v3, s[40:41]
	v_cndmask_b32_e64 v3, v1, v3, s[28:29]
.LBB6_2812:                             ;   in Loop: Header=BB6_2666 Depth=4
	s_or_b64 exec, exec, s[38:39]
	v_mul_f32_e32 v3, v2, v3
	v_and_b32_e32 v28, 0x7f800000, v3
	v_mov_b32_e32 v29, v34
	v_cmp_ne_u64_e64 s[28:29], s[76:77], v[28:29]
	v_and_b32_e32 v1, 0x7fffff, v3
	v_mov_b32_e32 v2, v34
                                        ; implicit-def: $vgpr28
	s_and_saveexec_b64 s[40:41], s[28:29]
	s_xor_b64 s[42:43], exec, s[40:41]
	s_cbranch_execz .LBB6_2826
; %bb.2813:                             ;   in Loop: Header=BB6_2666 Depth=4
	v_and_b32_e32 v28, 0x7fffffff, v3
	v_mov_b32_e32 v29, v34
	v_cmp_gt_u64_e64 s[28:29], s[78:79], v[28:29]
	v_and_b32_sdwa v29, v3, s44 dst_sel:DWORD dst_unused:UNUSED_PAD src0_sel:BYTE_3 src1_sel:DWORD
                                        ; implicit-def: $vgpr28
	s_and_saveexec_b64 s[40:41], s[28:29]
	s_xor_b64 s[38:39], exec, s[40:41]
	s_cbranch_execz .LBB6_2823
; %bb.2814:                             ;   in Loop: Header=BB6_2666 Depth=4
	v_mov_b32_e32 v28, 0
	v_cmp_ne_u32_e64 s[28:29], 0, v3
	s_and_saveexec_b64 s[48:49], s[28:29]
	s_cbranch_execz .LBB6_2822
; %bb.2815:                             ;   in Loop: Header=BB6_2666 Depth=4
	v_bfe_u32 v28, v3, 23, 8
	v_cmp_gt_u32_e64 s[40:41], s45, v28
	v_sub_u32_e32 v3, 0x71, v28
	v_cmp_eq_u32_e64 s[28:29], 0, v28
	v_cndmask_b32_e64 v3, 0, v3, s[40:41]
	v_mov_b32_e32 v30, 0x70
	v_cndmask_b32_e64 v30, v3, v30, s[28:29]
	v_or_b32_e32 v31, 0x800000, v1
	v_add_u32_e32 v3, 21, v30
	v_cndmask_b32_e64 v1, v31, v1, s[28:29]
	v_lshlrev_b64 v[31:32], v3, -1
	v_add_u32_e32 v3, 20, v30
	v_bfi_b32 v31, v31, 0, v1
	v_lshlrev_b64 v[35:36], v3, 1
	v_lshrrev_b64 v[1:2], v30, v[1:2]
	v_bfi_b32 v32, v32, 0, 0
	v_cmp_eq_u64_e64 s[40:41], v[31:32], v[35:36]
	v_mov_b32_e32 v3, v2
	v_mov_b32_e32 v2, v1
	s_and_saveexec_b64 s[50:51], s[40:41]
; %bb.2816:                             ;   in Loop: Header=BB6_2666 Depth=4
	v_bfe_u32 v2, v1, 21, 1
	v_add_co_u32_e64 v2, s[40:41], v1, v2
	v_add_co_u32_e64 v2, s[40:41], -1, v2
; %bb.2817:                             ;   in Loop: Header=BB6_2666 Depth=4
	s_or_b64 exec, exec, s[50:51]
	v_add_u32_e32 v3, 0xffffff81, v28
	v_mov_b32_e32 v28, 0xffffff82
	v_cndmask_b32_e64 v3, v3, v28, s[28:29]
	v_lshrrev_b32_e32 v28, 23, v1
	v_add3_u32 v30, v30, v3, v28
	v_add_u32_e32 v28, 14, v30
	v_and_b32_e32 v2, 0x1fffff, v2
	v_add_u32_e32 v1, v2, v1
	v_mov_b32_e32 v2, v34
	v_cmp_ne_u32_e64 s[28:29], 0, v28
                                        ; implicit-def: $vgpr3
	s_and_saveexec_b64 s[40:41], s[28:29]
	s_xor_b64 s[40:41], exec, s[40:41]
; %bb.2818:                             ;   in Loop: Header=BB6_2666 Depth=4
	v_cmp_lt_u64_e64 s[28:29], s[88:89], v[1:2]
	v_add_u32_e32 v3, 15, v30
	v_cndmask_b32_e64 v3, v28, v3, s[28:29]
	v_cndmask_b32_e64 v28, 0, 1, s[28:29]
	v_lshrrev_b64 v[1:2], v28, v[1:2]
; %bb.2819:                             ;   in Loop: Header=BB6_2666 Depth=4
	s_andn2_saveexec_b64 s[28:29], s[40:41]
; %bb.2820:                             ;   in Loop: Header=BB6_2666 Depth=4
	v_bfe_u32 v3, v1, 23, 1
; %bb.2821:                             ;   in Loop: Header=BB6_2666 Depth=4
	s_or_b64 exec, exec, s[28:29]
	v_lshrrev_b64 v[1:2], 21, v[1:2]
	v_cmp_gt_i32_e64 s[28:29], 32, v3
	v_cndmask_b32_e64 v2, 0, v2, s[28:29]
	v_cndmask_b32_e64 v1, 3, v1, s[28:29]
	v_cmp_eq_u64_e64 s[40:41], 0, v[1:2]
	v_min_i32_e32 v2, 31, v3
	v_lshlrev_b32_e32 v2, 2, v2
	v_cmp_eq_u32_e64 s[28:29], 0, v3
	v_and_b32_e32 v2, 0xfc, v2
	v_and_or_b32 v1, v1, 3, v2
	s_and_b64 s[28:29], s[28:29], s[40:41]
	v_cndmask_b32_e64 v1, v1, 0, s[28:29]
	v_or_b32_e32 v28, v1, v29
.LBB6_2822:                             ;   in Loop: Header=BB6_2666 Depth=4
	s_or_b64 exec, exec, s[48:49]
                                        ; implicit-def: $vgpr29
.LBB6_2823:                             ;   in Loop: Header=BB6_2666 Depth=4
	s_andn2_saveexec_b64 s[28:29], s[38:39]
; %bb.2824:                             ;   in Loop: Header=BB6_2666 Depth=4
	v_or_b32_e32 v28, 0x7b, v29
; %bb.2825:                             ;   in Loop: Header=BB6_2666 Depth=4
	s_or_b64 exec, exec, s[28:29]
                                        ; implicit-def: $vgpr3
                                        ; implicit-def: $vgpr1_vgpr2
.LBB6_2826:                             ;   in Loop: Header=BB6_2666 Depth=4
	s_andn2_saveexec_b64 s[40:41], s[42:43]
	s_cbranch_execz .LBB6_2832
; %bb.2827:                             ;   in Loop: Header=BB6_2666 Depth=4
	v_cmp_ne_u64_e64 s[28:29], 0, v[1:2]
                                        ; implicit-def: $vgpr28
	s_and_saveexec_b64 s[42:43], s[28:29]
	s_xor_b64 s[28:29], exec, s[42:43]
; %bb.2828:                             ;   in Loop: Header=BB6_2666 Depth=4
	v_or_b32_sdwa v28, v3, s83 dst_sel:DWORD dst_unused:UNUSED_PAD src0_sel:BYTE_3 src1_sel:DWORD
                                        ; implicit-def: $vgpr3
; %bb.2829:                             ;   in Loop: Header=BB6_2666 Depth=4
	s_andn2_saveexec_b64 s[42:43], s[28:29]
; %bb.2830:                             ;   in Loop: Header=BB6_2666 Depth=4
	v_cmp_lt_i32_e64 s[28:29], -1, v3
	v_bfrev_b32_e32 v1, 0.5
	v_mov_b32_e32 v2, 0x7c
	v_cndmask_b32_e64 v28, v1, v2, s[28:29]
; %bb.2831:                             ;   in Loop: Header=BB6_2666 Depth=4
	s_or_b64 exec, exec, s[42:43]
.LBB6_2832:                             ;   in Loop: Header=BB6_2666 Depth=4
	s_or_b64 exec, exec, s[40:41]
	v_lshrrev_b16_e32 v1, 8, v33
	v_cmp_ne_u16_e64 s[28:29], 0, v1
	v_mov_b32_e32 v3, 0
	s_and_saveexec_b64 s[40:41], s[28:29]
	s_cbranch_execz .LBB6_2840
; %bb.2833:                             ;   in Loop: Header=BB6_2666 Depth=4
	v_cmp_ne_u16_e64 s[28:29], s44, v1
	v_bfrev_b32_e32 v3, 1
	s_and_saveexec_b64 s[42:43], s[28:29]
	s_cbranch_execz .LBB6_2839
; %bb.2834:                             ;   in Loop: Header=BB6_2666 Depth=4
	v_and_b32_e32 v2, 0x7c, v1
	v_and_b32_e32 v29, 3, v1
	v_cmp_ne_u32_e64 s[28:29], s81, v2
                                        ; implicit-def: $vgpr3
	s_and_saveexec_b64 s[38:39], s[28:29]
	s_xor_b64 s[38:39], exec, s[38:39]
	s_cbranch_execz .LBB6_2836
; %bb.2835:                             ;   in Loop: Header=BB6_2666 Depth=4
	v_ffbh_u32_e32 v30, v29
	v_min_u32_e32 v30, 32, v30
	v_mov_b32_e32 v2, v34
	v_subrev_u32_e32 v31, 29, v30
	v_bfe_u32 v3, v1, 2, 5
	v_lshlrev_b64 v[1:2], v31, v[1:2]
	v_sub_u32_e32 v2, 30, v30
	v_cmp_eq_u32_e64 s[28:29], 0, v3
	v_cndmask_b32_e64 v2, v3, v2, s[28:29]
	v_lshlrev_b32_e32 v3, 16, v33
	v_and_b32_e32 v1, 3, v1
	v_and_b32_e32 v3, 0x80000000, v3
	v_cndmask_b32_e64 v1, v29, v1, s[28:29]
	v_lshl_add_u32 v2, v2, 23, v3
	v_lshl_or_b32 v1, v1, 21, v2
	v_add_u32_e32 v3, 0x38000000, v1
                                        ; implicit-def: $vgpr29
.LBB6_2836:                             ;   in Loop: Header=BB6_2666 Depth=4
	s_andn2_saveexec_b64 s[38:39], s[38:39]
; %bb.2837:                             ;   in Loop: Header=BB6_2666 Depth=4
	v_cmp_lt_i16_e64 s[28:29], -1, v33
	v_mov_b32_e32 v1, 0xff800000
	v_mov_b32_e32 v2, 0x7f800000
	v_cndmask_b32_e64 v1, v1, v2, s[28:29]
	v_cmp_eq_u32_e64 s[28:29], 0, v29
	v_mov_b32_e32 v2, 0x7f800001
	v_cndmask_b32_e64 v3, v2, v1, s[28:29]
; %bb.2838:                             ;   in Loop: Header=BB6_2666 Depth=4
	s_or_b64 exec, exec, s[38:39]
.LBB6_2839:                             ;   in Loop: Header=BB6_2666 Depth=4
	s_or_b64 exec, exec, s[42:43]
.LBB6_2840:                             ;   in Loop: Header=BB6_2666 Depth=4
	s_or_b64 exec, exec, s[40:41]
	v_lshrrev_b16_e32 v1, 8, v0
	v_cmp_lt_i16_e64 s[28:29], s83, v1
	s_mov_b64 s[40:41], 0
	s_and_saveexec_b64 s[42:43], s[28:29]
	s_xor_b64 s[42:43], exec, s[42:43]
	s_cbranch_execz .LBB6_3195
; %bb.2841:                             ;   in Loop: Header=BB6_2666 Depth=4
	v_cmp_eq_u16_e64 s[28:29], s44, v1
	s_mov_b64 s[40:41], -1
	s_and_saveexec_b64 s[38:39], s[28:29]
; %bb.2842:                             ;   in Loop: Header=BB6_2666 Depth=4
	s_xor_b64 s[40:41], exec, -1
; %bb.2843:                             ;   in Loop: Header=BB6_2666 Depth=4
	s_or_b64 exec, exec, s[38:39]
	s_and_b64 s[40:41], s[40:41], exec
	s_or_saveexec_b64 s[42:43], s[42:43]
	v_bfrev_b32_e32 v2, 1
	s_xor_b64 exec, exec, s[42:43]
	s_cbranch_execnz .LBB6_3196
.LBB6_2844:                             ;   in Loop: Header=BB6_2666 Depth=4
	s_or_b64 exec, exec, s[42:43]
	s_and_saveexec_b64 s[38:39], s[40:41]
	s_cbranch_execz .LBB6_2846
.LBB6_2845:                             ;   in Loop: Header=BB6_2666 Depth=4
	v_and_b32_e32 v31, 3, v1
	v_and_b32_e32 v29, 0x7c, v1
	v_cmp_eq_u32_e64 s[28:29], s81, v29
	v_ffbh_u32_e32 v29, v31
	v_min_u32_e32 v33, 32, v29
	v_mov_b32_e32 v2, v34
	v_subrev_u32_e32 v29, 29, v33
	v_bfe_u32 v32, v1, 2, 5
	v_lshlrev_b64 v[29:30], v29, v[1:2]
	v_cmp_eq_u32_e64 s[40:41], 0, v32
	v_sub_u32_e32 v2, 30, v33
	v_lshlrev_b32_e32 v1, 24, v1
	v_and_b32_e32 v29, 3, v29
	v_cndmask_b32_e64 v2, v32, v2, s[40:41]
	v_and_b32_e32 v1, 0x80000000, v1
	v_cndmask_b32_e64 v29, v31, v29, s[40:41]
	v_lshl_add_u32 v1, v2, 23, v1
	v_cmp_lt_i16_e64 s[42:43], -1, v0
	v_mov_b32_e32 v0, 0xff800000
	v_mov_b32_e32 v2, 0x7f800000
	v_lshl_or_b32 v1, v29, 21, v1
	v_cmp_eq_u32_e64 s[40:41], 0, v31
	v_cndmask_b32_e64 v0, v0, v2, s[42:43]
	v_mov_b32_e32 v2, 0x7f800001
	v_add_u32_e32 v1, 0x38000000, v1
	v_cndmask_b32_e64 v0, v2, v0, s[40:41]
	v_cndmask_b32_e64 v2, v1, v0, s[28:29]
.LBB6_2846:                             ;   in Loop: Header=BB6_2666 Depth=4
	s_or_b64 exec, exec, s[38:39]
	v_mul_f32_e32 v0, v3, v2
	v_and_b32_e32 v1, 0x7f800000, v0
	v_mov_b32_e32 v2, v34
	v_cmp_ne_u64_e64 s[28:29], s[76:77], v[1:2]
	v_and_b32_e32 v33, 0x7fffff, v0
                                        ; implicit-def: $vgpr29
	s_and_saveexec_b64 s[40:41], s[28:29]
	s_xor_b64 s[42:43], exec, s[40:41]
	s_cbranch_execz .LBB6_2860
; %bb.2847:                             ;   in Loop: Header=BB6_2666 Depth=4
	v_and_b32_e32 v1, 0x7fffffff, v0
	v_mov_b32_e32 v2, v34
	v_cmp_gt_u64_e64 s[28:29], s[78:79], v[1:2]
	v_and_b32_sdwa v3, v0, s44 dst_sel:DWORD dst_unused:UNUSED_PAD src0_sel:BYTE_3 src1_sel:DWORD
                                        ; implicit-def: $vgpr29
	s_and_saveexec_b64 s[40:41], s[28:29]
	s_xor_b64 s[38:39], exec, s[40:41]
	s_cbranch_execz .LBB6_2857
; %bb.2848:                             ;   in Loop: Header=BB6_2666 Depth=4
	v_mov_b32_e32 v29, 0
	v_cmp_ne_u32_e64 s[28:29], 0, v0
	s_and_saveexec_b64 s[48:49], s[28:29]
	s_cbranch_execz .LBB6_2856
; %bb.2849:                             ;   in Loop: Header=BB6_2666 Depth=4
	v_bfe_u32 v29, v0, 23, 8
	v_cmp_gt_u32_e64 s[40:41], s45, v29
	v_sub_u32_e32 v0, 0x71, v29
	v_cmp_eq_u32_e64 s[28:29], 0, v29
	v_cndmask_b32_e64 v0, 0, v0, s[40:41]
	v_mov_b32_e32 v2, 0x70
	v_cndmask_b32_e64 v30, v0, v2, s[28:29]
	v_add_u32_e32 v2, 21, v30
	v_or_b32_e32 v1, 0x800000, v33
	v_lshlrev_b64 v[31:32], v2, -1
	v_cndmask_b32_e64 v0, v1, v33, s[28:29]
	v_mov_b32_e32 v1, v34
	v_add_u32_e32 v2, 20, v30
	v_bfi_b32 v31, v31, 0, v0
	v_lshlrev_b64 v[35:36], v2, 1
	v_lshrrev_b64 v[0:1], v30, v[0:1]
	v_bfi_b32 v32, v32, 0, 0
	v_cmp_eq_u64_e64 s[40:41], v[31:32], v[35:36]
	v_mov_b32_e32 v2, v1
	v_mov_b32_e32 v1, v0
	s_and_saveexec_b64 s[50:51], s[40:41]
; %bb.2850:                             ;   in Loop: Header=BB6_2666 Depth=4
	v_bfe_u32 v1, v0, 21, 1
	v_add_co_u32_e64 v1, s[40:41], v0, v1
	v_add_co_u32_e64 v1, s[40:41], -1, v1
; %bb.2851:                             ;   in Loop: Header=BB6_2666 Depth=4
	s_or_b64 exec, exec, s[50:51]
	v_add_u32_e32 v2, 0xffffff81, v29
	v_mov_b32_e32 v29, 0xffffff82
	v_cndmask_b32_e64 v2, v2, v29, s[28:29]
	v_lshrrev_b32_e32 v29, 23, v0
	v_add3_u32 v30, v30, v2, v29
	v_add_u32_e32 v29, 14, v30
	v_and_b32_e32 v1, 0x1fffff, v1
	v_add_u32_e32 v33, v1, v0
	v_cmp_ne_u32_e64 s[28:29], 0, v29
                                        ; implicit-def: $vgpr0_vgpr1
                                        ; implicit-def: $vgpr2
	s_and_saveexec_b64 s[40:41], s[28:29]
	s_xor_b64 s[40:41], exec, s[40:41]
; %bb.2852:                             ;   in Loop: Header=BB6_2666 Depth=4
	v_cmp_lt_u64_e64 s[28:29], s[88:89], v[33:34]
	v_add_u32_e32 v0, 15, v30
	v_cndmask_b32_e64 v2, v29, v0, s[28:29]
	v_cndmask_b32_e64 v0, 0, 1, s[28:29]
	v_lshrrev_b64 v[0:1], v0, v[33:34]
; %bb.2853:                             ;   in Loop: Header=BB6_2666 Depth=4
	s_andn2_saveexec_b64 s[28:29], s[40:41]
; %bb.2854:                             ;   in Loop: Header=BB6_2666 Depth=4
	v_mov_b32_e32 v0, v33
	v_mov_b32_e32 v1, v34
	v_bfe_u32 v2, v33, 23, 1
; %bb.2855:                             ;   in Loop: Header=BB6_2666 Depth=4
	s_or_b64 exec, exec, s[28:29]
	v_lshrrev_b64 v[0:1], 21, v[0:1]
	v_cmp_gt_i32_e64 s[28:29], 32, v2
	v_cndmask_b32_e64 v1, 0, v1, s[28:29]
	v_cndmask_b32_e64 v0, 3, v0, s[28:29]
	v_cmp_eq_u64_e64 s[40:41], 0, v[0:1]
	v_min_i32_e32 v1, 31, v2
	v_lshlrev_b32_e32 v1, 2, v1
	v_cmp_eq_u32_e64 s[28:29], 0, v2
	v_and_b32_e32 v1, 0xfc, v1
	v_and_or_b32 v0, v0, 3, v1
	s_and_b64 s[28:29], s[28:29], s[40:41]
	v_cndmask_b32_e64 v0, v0, 0, s[28:29]
	v_or_b32_e32 v29, v0, v3
.LBB6_2856:                             ;   in Loop: Header=BB6_2666 Depth=4
	s_or_b64 exec, exec, s[48:49]
                                        ; implicit-def: $vgpr3
.LBB6_2857:                             ;   in Loop: Header=BB6_2666 Depth=4
	s_andn2_saveexec_b64 s[28:29], s[38:39]
; %bb.2858:                             ;   in Loop: Header=BB6_2666 Depth=4
	v_or_b32_e32 v29, 0x7b, v3
; %bb.2859:                             ;   in Loop: Header=BB6_2666 Depth=4
	s_or_b64 exec, exec, s[28:29]
                                        ; implicit-def: $vgpr0
.LBB6_2860:                             ;   in Loop: Header=BB6_2666 Depth=4
	s_andn2_saveexec_b64 s[40:41], s[42:43]
	s_cbranch_execz .LBB6_2866
; %bb.2861:                             ;   in Loop: Header=BB6_2666 Depth=4
	v_cmp_ne_u64_e64 s[28:29], 0, v[33:34]
                                        ; implicit-def: $vgpr29
	s_and_saveexec_b64 s[42:43], s[28:29]
	s_xor_b64 s[28:29], exec, s[42:43]
; %bb.2862:                             ;   in Loop: Header=BB6_2666 Depth=4
	v_or_b32_sdwa v29, v0, s83 dst_sel:DWORD dst_unused:UNUSED_PAD src0_sel:BYTE_3 src1_sel:DWORD
                                        ; implicit-def: $vgpr0
; %bb.2863:                             ;   in Loop: Header=BB6_2666 Depth=4
	s_andn2_saveexec_b64 s[42:43], s[28:29]
; %bb.2864:                             ;   in Loop: Header=BB6_2666 Depth=4
	v_cmp_lt_i32_e64 s[28:29], -1, v0
	v_bfrev_b32_e32 v0, 0.5
	v_mov_b32_e32 v1, 0x7c
	v_cndmask_b32_e64 v29, v0, v1, s[28:29]
; %bb.2865:                             ;   in Loop: Header=BB6_2666 Depth=4
	s_or_b64 exec, exec, s[42:43]
.LBB6_2866:                             ;   in Loop: Header=BB6_2666 Depth=4
	s_or_b64 exec, exec, s[40:41]
	v_lshrrev_b32_e32 v0, 16, v13
	v_cmp_ne_u16_sdwa s[28:29], v0, v34 src0_sel:BYTE_0 src1_sel:DWORD
	v_mov_b32_e32 v1, 0
	s_and_saveexec_b64 s[40:41], s[28:29]
	s_cbranch_execz .LBB6_2874
; %bb.2867:                             ;   in Loop: Header=BB6_2666 Depth=4
	v_cmp_ne_u16_sdwa s[28:29], v0, s44 src0_sel:BYTE_0 src1_sel:DWORD
	v_bfrev_b32_e32 v1, 1
	s_and_saveexec_b64 s[42:43], s[28:29]
	s_cbranch_execz .LBB6_2873
; %bb.2868:                             ;   in Loop: Header=BB6_2666 Depth=4
	v_and_b32_e32 v1, 0x7c0000, v13
	v_bfe_u32 v2, v13, 16, 2
	v_cmp_ne_u32_e64 s[28:29], s9, v1
                                        ; implicit-def: $vgpr1
	s_and_saveexec_b64 s[38:39], s[28:29]
	s_xor_b64 s[38:39], exec, s[38:39]
	s_cbranch_execz .LBB6_2870
; %bb.2869:                             ;   in Loop: Header=BB6_2666 Depth=4
	v_ffbh_u32_e32 v1, v2
	v_min_u32_e32 v30, 32, v1
	v_subrev_u32_e32 v1, 29, v30
	v_lshlrev_b64 v[0:1], v1, v[0:1]
	v_bfe_u32 v3, v13, 18, 5
	v_and_b32_e32 v0, 3, v0
	v_cmp_eq_u32_e64 s[28:29], 0, v3
	v_sub_u32_e32 v1, 30, v30
	v_cndmask_b32_e64 v0, v2, v0, s[28:29]
	v_lshlrev_b32_e32 v2, 8, v13
	v_cndmask_b32_e64 v1, v3, v1, s[28:29]
	v_and_b32_e32 v2, 0x80000000, v2
	v_lshl_add_u32 v1, v1, 23, v2
	v_lshl_or_b32 v0, v0, 21, v1
	v_add_u32_e32 v1, 0x38000000, v0
                                        ; implicit-def: $vgpr2
                                        ; implicit-def: $vgpr0
.LBB6_2870:                             ;   in Loop: Header=BB6_2666 Depth=4
	s_andn2_saveexec_b64 s[38:39], s[38:39]
; %bb.2871:                             ;   in Loop: Header=BB6_2666 Depth=4
	v_mov_b32_e32 v1, -1
	v_cmp_gt_i16_sdwa s[28:29], sext(v0), v1 src0_sel:BYTE_0 src1_sel:DWORD
	v_mov_b32_e32 v0, 0xff800000
	v_mov_b32_e32 v1, 0x7f800000
	v_cndmask_b32_e64 v0, v0, v1, s[28:29]
	v_cmp_eq_u32_e64 s[28:29], 0, v2
	v_mov_b32_e32 v1, 0x7f800001
	v_cndmask_b32_e64 v1, v1, v0, s[28:29]
; %bb.2872:                             ;   in Loop: Header=BB6_2666 Depth=4
	s_or_b64 exec, exec, s[38:39]
.LBB6_2873:                             ;   in Loop: Header=BB6_2666 Depth=4
	s_or_b64 exec, exec, s[42:43]
.LBB6_2874:                             ;   in Loop: Header=BB6_2666 Depth=4
	s_or_b64 exec, exec, s[40:41]
	v_lshrrev_b32_e32 v0, 16, v9
	v_cmp_gt_i16_sdwa s[40:41], v0, s83 src0_sel:BYTE_0 src1_sel:DWORD
	s_mov_b64 s[28:29], 0
	s_and_saveexec_b64 s[42:43], s[40:41]
	s_xor_b64 s[40:41], exec, s[42:43]
	s_cbranch_execz .LBB6_3197
; %bb.2875:                             ;   in Loop: Header=BB6_2666 Depth=4
	v_cmp_eq_u16_sdwa s[38:39], v0, s44 src0_sel:BYTE_0 src1_sel:DWORD
	s_mov_b64 s[28:29], -1
	s_and_saveexec_b64 s[42:43], s[38:39]
; %bb.2876:                             ;   in Loop: Header=BB6_2666 Depth=4
	s_xor_b64 s[28:29], exec, -1
; %bb.2877:                             ;   in Loop: Header=BB6_2666 Depth=4
	s_or_b64 exec, exec, s[42:43]
	s_and_b64 s[28:29], s[28:29], exec
	s_or_saveexec_b64 s[40:41], s[40:41]
	v_bfrev_b32_e32 v2, 1
	s_xor_b64 exec, exec, s[40:41]
	s_cbranch_execnz .LBB6_3198
.LBB6_2878:                             ;   in Loop: Header=BB6_2666 Depth=4
	s_or_b64 exec, exec, s[40:41]
	s_and_saveexec_b64 s[38:39], s[28:29]
	s_cbranch_execz .LBB6_2880
.LBB6_2879:                             ;   in Loop: Header=BB6_2666 Depth=4
	v_and_b32_e32 v30, 3, v0
	v_and_b32_e32 v2, 0x7c0000, v9
	v_cmp_eq_u32_e64 s[28:29], s9, v2
	v_ffbh_u32_e32 v2, v30
	v_min_u32_e32 v32, 32, v2
	v_subrev_u32_e32 v2, 29, v32
	v_bfe_u32 v31, v9, 18, 5
	v_lshlrev_b64 v[2:3], v2, v[0:1]
	v_cmp_eq_u32_e64 s[40:41], 0, v31
	v_sub_u32_e32 v3, 30, v32
	v_cndmask_b32_e64 v3, v31, v3, s[40:41]
	v_lshlrev_b32_e32 v31, 24, v0
	v_and_b32_e32 v2, 3, v2
	v_and_b32_e32 v31, 0x80000000, v31
	v_cndmask_b32_e64 v2, v30, v2, s[40:41]
	v_lshl_add_u32 v3, v3, 23, v31
	v_lshl_or_b32 v2, v2, 21, v3
	v_mov_b32_e32 v3, -1
	v_cmp_gt_i16_sdwa s[42:43], sext(v0), v3 src0_sel:BYTE_0 src1_sel:DWORD
	v_mov_b32_e32 v0, 0xff800000
	v_mov_b32_e32 v3, 0x7f800000
	v_cmp_eq_u32_e64 s[40:41], 0, v30
	v_cndmask_b32_e64 v0, v0, v3, s[42:43]
	v_mov_b32_e32 v3, 0x7f800001
	v_add_u32_e32 v2, 0x38000000, v2
	v_cndmask_b32_e64 v0, v3, v0, s[40:41]
	v_cndmask_b32_e64 v2, v2, v0, s[28:29]
.LBB6_2880:                             ;   in Loop: Header=BB6_2666 Depth=4
	s_or_b64 exec, exec, s[38:39]
	v_mul_f32_e32 v0, v1, v2
	v_and_b32_e32 v1, 0x7f800000, v0
	v_mov_b32_e32 v2, v34
	v_cmp_ne_u64_e64 s[28:29], s[76:77], v[1:2]
	v_and_b32_e32 v33, 0x7fffff, v0
                                        ; implicit-def: $vgpr30
	s_and_saveexec_b64 s[40:41], s[28:29]
	s_xor_b64 s[42:43], exec, s[40:41]
	s_cbranch_execz .LBB6_2894
; %bb.2881:                             ;   in Loop: Header=BB6_2666 Depth=4
	v_and_b32_e32 v1, 0x7fffffff, v0
	v_mov_b32_e32 v2, v34
	v_cmp_gt_u64_e64 s[28:29], s[78:79], v[1:2]
	v_and_b32_sdwa v3, v0, s44 dst_sel:DWORD dst_unused:UNUSED_PAD src0_sel:BYTE_3 src1_sel:DWORD
                                        ; implicit-def: $vgpr30
	s_and_saveexec_b64 s[40:41], s[28:29]
	s_xor_b64 s[38:39], exec, s[40:41]
	s_cbranch_execz .LBB6_2891
; %bb.2882:                             ;   in Loop: Header=BB6_2666 Depth=4
	v_mov_b32_e32 v30, 0
	v_cmp_ne_u32_e64 s[28:29], 0, v0
	s_and_saveexec_b64 s[48:49], s[28:29]
	s_cbranch_execz .LBB6_2890
; %bb.2883:                             ;   in Loop: Header=BB6_2666 Depth=4
	v_bfe_u32 v30, v0, 23, 8
	v_cmp_gt_u32_e64 s[40:41], s45, v30
	v_sub_u32_e32 v0, 0x71, v30
	v_cmp_eq_u32_e64 s[28:29], 0, v30
	v_cndmask_b32_e64 v0, 0, v0, s[40:41]
	v_mov_b32_e32 v2, 0x70
	v_cndmask_b32_e64 v31, v0, v2, s[28:29]
	v_or_b32_e32 v1, 0x800000, v33
	v_add_u32_e32 v2, 21, v31
	v_cndmask_b32_e64 v0, v1, v33, s[28:29]
	v_lshlrev_b64 v[32:33], v2, -1
	v_mov_b32_e32 v1, v34
	v_add_u32_e32 v2, 20, v31
	v_bfi_b32 v32, v32, 0, v0
	v_lshlrev_b64 v[35:36], v2, 1
	v_lshrrev_b64 v[0:1], v31, v[0:1]
	v_bfi_b32 v33, v33, 0, 0
	v_cmp_eq_u64_e64 s[40:41], v[32:33], v[35:36]
	v_mov_b32_e32 v2, v1
	v_mov_b32_e32 v1, v0
	s_and_saveexec_b64 s[50:51], s[40:41]
; %bb.2884:                             ;   in Loop: Header=BB6_2666 Depth=4
	v_bfe_u32 v1, v0, 21, 1
	v_add_co_u32_e64 v1, s[40:41], v0, v1
	v_add_co_u32_e64 v1, s[40:41], -1, v1
; %bb.2885:                             ;   in Loop: Header=BB6_2666 Depth=4
	s_or_b64 exec, exec, s[50:51]
	v_add_u32_e32 v2, 0xffffff81, v30
	v_mov_b32_e32 v30, 0xffffff82
	v_cndmask_b32_e64 v2, v2, v30, s[28:29]
	v_lshrrev_b32_e32 v30, 23, v0
	v_add3_u32 v31, v31, v2, v30
	v_add_u32_e32 v30, 14, v31
	v_and_b32_e32 v1, 0x1fffff, v1
	v_add_u32_e32 v33, v1, v0
	v_cmp_ne_u32_e64 s[28:29], 0, v30
                                        ; implicit-def: $vgpr0_vgpr1
                                        ; implicit-def: $vgpr2
	s_and_saveexec_b64 s[40:41], s[28:29]
	s_xor_b64 s[40:41], exec, s[40:41]
; %bb.2886:                             ;   in Loop: Header=BB6_2666 Depth=4
	v_cmp_lt_u64_e64 s[28:29], s[88:89], v[33:34]
	v_add_u32_e32 v0, 15, v31
	v_cndmask_b32_e64 v2, v30, v0, s[28:29]
	v_cndmask_b32_e64 v0, 0, 1, s[28:29]
	v_lshrrev_b64 v[0:1], v0, v[33:34]
; %bb.2887:                             ;   in Loop: Header=BB6_2666 Depth=4
	s_andn2_saveexec_b64 s[28:29], s[40:41]
; %bb.2888:                             ;   in Loop: Header=BB6_2666 Depth=4
	v_mov_b32_e32 v0, v33
	v_mov_b32_e32 v1, v34
	v_bfe_u32 v2, v33, 23, 1
; %bb.2889:                             ;   in Loop: Header=BB6_2666 Depth=4
	s_or_b64 exec, exec, s[28:29]
	v_lshrrev_b64 v[0:1], 21, v[0:1]
	v_cmp_gt_i32_e64 s[28:29], 32, v2
	v_cndmask_b32_e64 v1, 0, v1, s[28:29]
	v_cndmask_b32_e64 v0, 3, v0, s[28:29]
	v_cmp_eq_u64_e64 s[40:41], 0, v[0:1]
	v_min_i32_e32 v1, 31, v2
	v_lshlrev_b32_e32 v1, 2, v1
	v_cmp_eq_u32_e64 s[28:29], 0, v2
	v_and_b32_e32 v1, 0xfc, v1
	v_and_or_b32 v0, v0, 3, v1
	s_and_b64 s[28:29], s[28:29], s[40:41]
	v_cndmask_b32_e64 v0, v0, 0, s[28:29]
	v_or_b32_e32 v30, v0, v3
.LBB6_2890:                             ;   in Loop: Header=BB6_2666 Depth=4
	s_or_b64 exec, exec, s[48:49]
                                        ; implicit-def: $vgpr3
.LBB6_2891:                             ;   in Loop: Header=BB6_2666 Depth=4
	s_andn2_saveexec_b64 s[28:29], s[38:39]
; %bb.2892:                             ;   in Loop: Header=BB6_2666 Depth=4
	v_or_b32_e32 v30, 0x7b, v3
; %bb.2893:                             ;   in Loop: Header=BB6_2666 Depth=4
	s_or_b64 exec, exec, s[28:29]
                                        ; implicit-def: $vgpr0
.LBB6_2894:                             ;   in Loop: Header=BB6_2666 Depth=4
	s_andn2_saveexec_b64 s[40:41], s[42:43]
	s_cbranch_execz .LBB6_2900
; %bb.2895:                             ;   in Loop: Header=BB6_2666 Depth=4
	v_cmp_ne_u64_e64 s[28:29], 0, v[33:34]
                                        ; implicit-def: $vgpr30
	s_and_saveexec_b64 s[42:43], s[28:29]
	s_xor_b64 s[28:29], exec, s[42:43]
; %bb.2896:                             ;   in Loop: Header=BB6_2666 Depth=4
	v_or_b32_sdwa v30, v0, s83 dst_sel:DWORD dst_unused:UNUSED_PAD src0_sel:BYTE_3 src1_sel:DWORD
                                        ; implicit-def: $vgpr0
; %bb.2897:                             ;   in Loop: Header=BB6_2666 Depth=4
	s_andn2_saveexec_b64 s[42:43], s[28:29]
; %bb.2898:                             ;   in Loop: Header=BB6_2666 Depth=4
	v_cmp_lt_i32_e64 s[28:29], -1, v0
	v_bfrev_b32_e32 v0, 0.5
	v_mov_b32_e32 v1, 0x7c
	v_cndmask_b32_e64 v30, v0, v1, s[28:29]
; %bb.2899:                             ;   in Loop: Header=BB6_2666 Depth=4
	s_or_b64 exec, exec, s[42:43]
.LBB6_2900:                             ;   in Loop: Header=BB6_2666 Depth=4
	s_or_b64 exec, exec, s[40:41]
	v_cmp_lt_u64_e64 s[28:29], s[56:57], v[12:13]
	v_mov_b32_e32 v1, 0
	s_and_saveexec_b64 s[40:41], s[28:29]
	s_cbranch_execz .LBB6_2908
; %bb.2901:                             ;   in Loop: Header=BB6_2666 Depth=4
	v_lshrrev_b32_e32 v0, 24, v13
	v_cmp_ne_u32_e64 s[28:29], s44, v0
	v_bfrev_b32_e32 v1, 1
	s_and_saveexec_b64 s[42:43], s[28:29]
	s_cbranch_execz .LBB6_2907
; %bb.2902:                             ;   in Loop: Header=BB6_2666 Depth=4
	v_and_b32_e32 v1, 0x7c000000, v13
	v_bfe_u32 v2, v13, 24, 2
	v_cmp_ne_u32_e64 s[28:29], s8, v1
                                        ; implicit-def: $vgpr1
	s_and_saveexec_b64 s[38:39], s[28:29]
	s_xor_b64 s[38:39], exec, s[38:39]
	s_cbranch_execz .LBB6_2904
; %bb.2903:                             ;   in Loop: Header=BB6_2666 Depth=4
	v_ffbh_u32_e32 v1, v2
	v_min_u32_e32 v31, 32, v1
	v_subrev_u32_e32 v1, 29, v31
	v_lshlrev_b64 v[0:1], v1, v[0:1]
	v_bfe_u32 v3, v13, 26, 5
	v_sub_u32_e32 v1, 30, v31
	v_and_b32_e32 v0, 3, v0
	v_cmp_eq_u32_e64 s[28:29], 0, v3
	v_cndmask_b32_e64 v1, v3, v1, s[28:29]
	v_cndmask_b32_e64 v0, v2, v0, s[28:29]
	v_and_b32_e32 v2, 0x80000000, v13
	v_lshl_add_u32 v1, v1, 23, v2
	v_lshl_or_b32 v0, v0, 21, v1
	v_add_u32_e32 v1, 0x38000000, v0
                                        ; implicit-def: $vgpr2
.LBB6_2904:                             ;   in Loop: Header=BB6_2666 Depth=4
	s_andn2_saveexec_b64 s[38:39], s[38:39]
; %bb.2905:                             ;   in Loop: Header=BB6_2666 Depth=4
	v_cmp_lt_i64_e64 s[28:29], -1, v[12:13]
	v_mov_b32_e32 v0, 0xff800000
	v_mov_b32_e32 v1, 0x7f800000
	v_cndmask_b32_e64 v0, v0, v1, s[28:29]
	v_cmp_eq_u32_e64 s[28:29], 0, v2
	v_mov_b32_e32 v1, 0x7f800001
	v_cndmask_b32_e64 v1, v1, v0, s[28:29]
; %bb.2906:                             ;   in Loop: Header=BB6_2666 Depth=4
	s_or_b64 exec, exec, s[38:39]
.LBB6_2907:                             ;   in Loop: Header=BB6_2666 Depth=4
	s_or_b64 exec, exec, s[42:43]
.LBB6_2908:                             ;   in Loop: Header=BB6_2666 Depth=4
	s_or_b64 exec, exec, s[40:41]
	v_bfe_u32 v12, v9, 24, 2
	v_and_b32_e32 v2, 0x7c000000, v9
	v_cmp_eq_u32_e64 s[28:29], s8, v2
	v_ffbh_u32_e32 v2, v12
	v_min_u32_e32 v31, 32, v2
	v_lshrrev_b32_e32 v0, 24, v9
	v_subrev_u32_e32 v2, 29, v31
	v_bfe_u32 v13, v9, 26, 5
	v_lshlrev_b64 v[2:3], v2, v[0:1]
	v_cmp_eq_u32_e64 s[40:41], 0, v13
	v_sub_u32_e32 v3, 30, v31
	v_and_b32_e32 v2, 3, v2
	v_cndmask_b32_e64 v3, v13, v3, s[40:41]
	v_and_b32_e32 v13, 0x80000000, v9
	v_cndmask_b32_e64 v2, v12, v2, s[40:41]
	v_lshl_add_u32 v3, v3, 23, v13
	v_cmp_lt_i64_e64 s[42:43], -1, v[8:9]
	v_lshl_or_b32 v2, v2, 21, v3
	v_cmp_eq_u32_e64 s[40:41], 0, v12
	v_mov_b32_e32 v3, 0xff800000
	v_mov_b32_e32 v12, 0x7f800000
	v_cndmask_b32_e64 v3, v3, v12, s[42:43]
	v_mov_b32_e32 v12, 0x7f800001
	v_add_u32_e32 v2, 0x38000000, v2
	v_cndmask_b32_e64 v3, v12, v3, s[40:41]
	v_cndmask_b32_e64 v2, v2, v3, s[28:29]
	v_cmp_ne_u32_e64 s[28:29], s44, v0
	v_bfrev_b32_e32 v0, 1
	v_cndmask_b32_e64 v0, v0, v2, s[28:29]
	v_cmp_lt_u64_e64 s[28:29], s[56:57], v[8:9]
	v_mov_b32_e32 v2, v34
	v_cndmask_b32_e64 v0, 0, v0, s[28:29]
	v_mul_f32_e32 v0, v0, v1
	v_and_b32_e32 v1, 0x7f800000, v0
	v_cmp_ne_u64_e64 s[28:29], s[76:77], v[1:2]
	v_and_b32_e32 v33, 0x7fffff, v0
                                        ; implicit-def: $vgpr8
	s_and_saveexec_b64 s[40:41], s[28:29]
	s_xor_b64 s[42:43], exec, s[40:41]
	s_cbranch_execz .LBB6_2922
; %bb.2909:                             ;   in Loop: Header=BB6_2666 Depth=4
	v_and_b32_e32 v1, 0x7fffffff, v0
	v_mov_b32_e32 v2, v34
	v_cmp_gt_u64_e64 s[28:29], s[78:79], v[1:2]
	v_and_b32_sdwa v3, v0, s44 dst_sel:DWORD dst_unused:UNUSED_PAD src0_sel:BYTE_3 src1_sel:DWORD
                                        ; implicit-def: $vgpr8
	s_and_saveexec_b64 s[40:41], s[28:29]
	s_xor_b64 s[38:39], exec, s[40:41]
	s_cbranch_execz .LBB6_2919
; %bb.2910:                             ;   in Loop: Header=BB6_2666 Depth=4
	v_mov_b32_e32 v8, 0
	v_cmp_ne_u32_e64 s[28:29], 0, v0
	s_and_saveexec_b64 s[48:49], s[28:29]
	s_cbranch_execz .LBB6_2918
; %bb.2911:                             ;   in Loop: Header=BB6_2666 Depth=4
	v_bfe_u32 v8, v0, 23, 8
	v_cmp_gt_u32_e64 s[40:41], s45, v8
	v_sub_u32_e32 v0, 0x71, v8
	v_cmp_eq_u32_e64 s[28:29], 0, v8
	v_cndmask_b32_e64 v0, 0, v0, s[40:41]
	v_mov_b32_e32 v2, 0x70
	v_cndmask_b32_e64 v9, v0, v2, s[28:29]
	v_add_u32_e32 v2, 21, v9
	v_or_b32_e32 v1, 0x800000, v33
	v_lshlrev_b64 v[12:13], v2, -1
	v_cndmask_b32_e64 v0, v1, v33, s[28:29]
	v_mov_b32_e32 v1, v34
	v_add_u32_e32 v2, 20, v9
	v_bfi_b32 v12, v12, 0, v0
	v_lshlrev_b64 v[31:32], v2, 1
	v_lshrrev_b64 v[0:1], v9, v[0:1]
	v_bfi_b32 v13, v13, 0, 0
	v_cmp_eq_u64_e64 s[40:41], v[12:13], v[31:32]
	v_mov_b32_e32 v2, v1
	v_mov_b32_e32 v1, v0
	s_and_saveexec_b64 s[50:51], s[40:41]
; %bb.2912:                             ;   in Loop: Header=BB6_2666 Depth=4
	v_bfe_u32 v1, v0, 21, 1
	v_add_co_u32_e64 v1, s[40:41], v0, v1
	v_add_co_u32_e64 v1, s[40:41], -1, v1
; %bb.2913:                             ;   in Loop: Header=BB6_2666 Depth=4
	s_or_b64 exec, exec, s[50:51]
	v_add_u32_e32 v2, 0xffffff81, v8
	v_mov_b32_e32 v8, 0xffffff82
	v_cndmask_b32_e64 v2, v2, v8, s[28:29]
	v_lshrrev_b32_e32 v8, 23, v0
	v_add3_u32 v9, v9, v2, v8
	v_add_u32_e32 v8, 14, v9
	v_and_b32_e32 v1, 0x1fffff, v1
	v_add_u32_e32 v33, v1, v0
	v_cmp_ne_u32_e64 s[28:29], 0, v8
                                        ; implicit-def: $vgpr0_vgpr1
                                        ; implicit-def: $vgpr2
	s_and_saveexec_b64 s[40:41], s[28:29]
	s_xor_b64 s[40:41], exec, s[40:41]
; %bb.2914:                             ;   in Loop: Header=BB6_2666 Depth=4
	v_cmp_lt_u64_e64 s[28:29], s[88:89], v[33:34]
	v_add_u32_e32 v0, 15, v9
	v_cndmask_b32_e64 v2, v8, v0, s[28:29]
	v_cndmask_b32_e64 v0, 0, 1, s[28:29]
	v_lshrrev_b64 v[0:1], v0, v[33:34]
; %bb.2915:                             ;   in Loop: Header=BB6_2666 Depth=4
	s_andn2_saveexec_b64 s[28:29], s[40:41]
; %bb.2916:                             ;   in Loop: Header=BB6_2666 Depth=4
	v_mov_b32_e32 v0, v33
	v_mov_b32_e32 v1, v34
	v_bfe_u32 v2, v33, 23, 1
; %bb.2917:                             ;   in Loop: Header=BB6_2666 Depth=4
	s_or_b64 exec, exec, s[28:29]
	v_lshrrev_b64 v[0:1], 21, v[0:1]
	v_cmp_gt_i32_e64 s[28:29], 32, v2
	v_cndmask_b32_e64 v1, 0, v1, s[28:29]
	v_cndmask_b32_e64 v0, 3, v0, s[28:29]
	v_cmp_eq_u64_e64 s[40:41], 0, v[0:1]
	v_min_i32_e32 v1, 31, v2
	v_lshlrev_b32_e32 v1, 2, v1
	v_cmp_eq_u32_e64 s[28:29], 0, v2
	v_and_b32_e32 v1, 0xfc, v1
	v_and_or_b32 v0, v0, 3, v1
	s_and_b64 s[28:29], s[28:29], s[40:41]
	v_cndmask_b32_e64 v0, v0, 0, s[28:29]
	v_or_b32_e32 v8, v0, v3
.LBB6_2918:                             ;   in Loop: Header=BB6_2666 Depth=4
	s_or_b64 exec, exec, s[48:49]
                                        ; implicit-def: $vgpr3
.LBB6_2919:                             ;   in Loop: Header=BB6_2666 Depth=4
	s_andn2_saveexec_b64 s[28:29], s[38:39]
; %bb.2920:                             ;   in Loop: Header=BB6_2666 Depth=4
	v_or_b32_e32 v8, 0x7b, v3
; %bb.2921:                             ;   in Loop: Header=BB6_2666 Depth=4
	s_or_b64 exec, exec, s[28:29]
                                        ; implicit-def: $vgpr0
.LBB6_2922:                             ;   in Loop: Header=BB6_2666 Depth=4
	s_andn2_saveexec_b64 s[40:41], s[42:43]
	s_cbranch_execz .LBB6_2928
; %bb.2923:                             ;   in Loop: Header=BB6_2666 Depth=4
	v_cmp_ne_u64_e64 s[28:29], 0, v[33:34]
                                        ; implicit-def: $vgpr8
	s_and_saveexec_b64 s[42:43], s[28:29]
	s_xor_b64 s[28:29], exec, s[42:43]
; %bb.2924:                             ;   in Loop: Header=BB6_2666 Depth=4
	v_or_b32_sdwa v8, v0, s83 dst_sel:DWORD dst_unused:UNUSED_PAD src0_sel:BYTE_3 src1_sel:DWORD
                                        ; implicit-def: $vgpr0
; %bb.2925:                             ;   in Loop: Header=BB6_2666 Depth=4
	s_andn2_saveexec_b64 s[42:43], s[28:29]
; %bb.2926:                             ;   in Loop: Header=BB6_2666 Depth=4
	v_cmp_lt_i32_e64 s[28:29], -1, v0
	v_bfrev_b32_e32 v0, 0.5
	v_mov_b32_e32 v1, 0x7c
	v_cndmask_b32_e64 v8, v0, v1, s[28:29]
; %bb.2927:                             ;   in Loop: Header=BB6_2666 Depth=4
	s_or_b64 exec, exec, s[42:43]
.LBB6_2928:                             ;   in Loop: Header=BB6_2666 Depth=4
	s_or_b64 exec, exec, s[40:41]
	v_cmp_ne_u16_sdwa s[28:29], v14, v34 src0_sel:BYTE_0 src1_sel:DWORD
	v_mov_b32_e32 v0, 0
	s_and_saveexec_b64 s[40:41], s[28:29]
	s_cbranch_execz .LBB6_2936
; %bb.2929:                             ;   in Loop: Header=BB6_2666 Depth=4
	v_cmp_ne_u16_sdwa s[28:29], sext(v14), s80 src0_sel:BYTE_0 src1_sel:DWORD
	v_bfrev_b32_e32 v0, 1
	s_and_saveexec_b64 s[42:43], s[28:29]
	s_cbranch_execz .LBB6_2935
; %bb.2930:                             ;   in Loop: Header=BB6_2666 Depth=4
	v_and_b32_e32 v0, 0x7c, v14
	v_and_b32_e32 v1, 3, v14
	v_cmp_ne_u32_e64 s[28:29], s81, v0
                                        ; implicit-def: $vgpr0
	s_and_saveexec_b64 s[38:39], s[28:29]
	s_xor_b64 s[38:39], exec, s[38:39]
	s_cbranch_execz .LBB6_2932
; %bb.2931:                             ;   in Loop: Header=BB6_2666 Depth=4
	v_ffbh_u32_e32 v2, v1
	v_min_u32_e32 v9, 32, v2
	v_subrev_u32_e32 v2, 29, v9
	v_lshlrev_b64 v[2:3], v2, v[14:15]
	v_bfe_u32 v0, v14, 2, 5
	v_and_b32_e32 v2, 3, v2
	v_cmp_eq_u32_e64 s[28:29], 0, v0
	v_sub_u32_e32 v3, 30, v9
	v_cndmask_b32_e64 v1, v1, v2, s[28:29]
	v_lshlrev_b32_e32 v2, 24, v14
	v_cndmask_b32_e64 v0, v0, v3, s[28:29]
	v_and_b32_e32 v2, 0x80000000, v2
	v_lshl_add_u32 v0, v0, 23, v2
	v_lshl_or_b32 v0, v1, 21, v0
	v_add_u32_e32 v0, 0x38000000, v0
                                        ; implicit-def: $vgpr1
.LBB6_2932:                             ;   in Loop: Header=BB6_2666 Depth=4
	s_andn2_saveexec_b64 s[38:39], s[38:39]
; %bb.2933:                             ;   in Loop: Header=BB6_2666 Depth=4
	v_mov_b32_e32 v0, -1
	v_cmp_gt_i16_sdwa s[28:29], sext(v14), v0 src0_sel:BYTE_0 src1_sel:DWORD
	v_mov_b32_e32 v0, 0xff800000
	v_mov_b32_e32 v2, 0x7f800000
	v_cndmask_b32_e64 v0, v0, v2, s[28:29]
	v_cmp_eq_u32_e64 s[28:29], 0, v1
	v_mov_b32_e32 v1, 0x7f800001
	v_cndmask_b32_e64 v0, v1, v0, s[28:29]
; %bb.2934:                             ;   in Loop: Header=BB6_2666 Depth=4
	s_or_b64 exec, exec, s[38:39]
.LBB6_2935:                             ;   in Loop: Header=BB6_2666 Depth=4
	s_or_b64 exec, exec, s[42:43]
.LBB6_2936:                             ;   in Loop: Header=BB6_2666 Depth=4
	s_or_b64 exec, exec, s[40:41]
	v_cmp_gt_i16_sdwa s[40:41], v10, s83 src0_sel:BYTE_0 src1_sel:DWORD
	s_mov_b64 s[28:29], 0
	s_and_saveexec_b64 s[42:43], s[40:41]
	s_xor_b64 s[40:41], exec, s[42:43]
	s_cbranch_execz .LBB6_3199
; %bb.2937:                             ;   in Loop: Header=BB6_2666 Depth=4
	v_cmp_eq_u16_sdwa s[38:39], v10, s44 src0_sel:BYTE_0 src1_sel:DWORD
	s_mov_b64 s[28:29], -1
	s_and_saveexec_b64 s[42:43], s[38:39]
; %bb.2938:                             ;   in Loop: Header=BB6_2666 Depth=4
	s_xor_b64 s[28:29], exec, -1
; %bb.2939:                             ;   in Loop: Header=BB6_2666 Depth=4
	s_or_b64 exec, exec, s[42:43]
	s_and_b64 s[28:29], s[28:29], exec
	s_or_saveexec_b64 s[40:41], s[40:41]
	v_bfrev_b32_e32 v1, 1
	s_xor_b64 exec, exec, s[40:41]
	s_cbranch_execnz .LBB6_3200
.LBB6_2940:                             ;   in Loop: Header=BB6_2666 Depth=4
	s_or_b64 exec, exec, s[40:41]
	s_and_saveexec_b64 s[38:39], s[28:29]
	s_cbranch_execz .LBB6_2942
.LBB6_2941:                             ;   in Loop: Header=BB6_2666 Depth=4
	v_and_b32_e32 v3, 3, v10
	v_and_b32_e32 v1, 0x7c, v10
	v_cmp_eq_u32_e64 s[28:29], s81, v1
	v_ffbh_u32_e32 v1, v3
	v_min_u32_e32 v12, 32, v1
	v_subrev_u32_e32 v1, 29, v12
	v_bfe_u32 v9, v10, 2, 5
	v_lshlrev_b64 v[1:2], v1, v[10:11]
	v_cmp_eq_u32_e64 s[40:41], 0, v9
	v_sub_u32_e32 v2, 30, v12
	v_cndmask_b32_e64 v2, v9, v2, s[40:41]
	v_lshlrev_b32_e32 v9, 24, v10
	v_and_b32_e32 v1, 3, v1
	v_and_b32_e32 v9, 0x80000000, v9
	v_cndmask_b32_e64 v1, v3, v1, s[40:41]
	v_lshl_add_u32 v2, v2, 23, v9
	v_lshl_or_b32 v1, v1, 21, v2
	v_mov_b32_e32 v2, -1
	v_cmp_eq_u32_e64 s[40:41], 0, v3
	v_cmp_gt_i16_sdwa s[42:43], sext(v10), v2 src0_sel:BYTE_0 src1_sel:DWORD
	v_mov_b32_e32 v2, 0xff800000
	v_mov_b32_e32 v3, 0x7f800000
	v_cndmask_b32_e64 v2, v2, v3, s[42:43]
	v_mov_b32_e32 v3, 0x7f800001
	v_add_u32_e32 v1, 0x38000000, v1
	v_cndmask_b32_e64 v2, v3, v2, s[40:41]
	v_cndmask_b32_e64 v1, v1, v2, s[28:29]
.LBB6_2942:                             ;   in Loop: Header=BB6_2666 Depth=4
	s_or_b64 exec, exec, s[38:39]
	v_mul_f32_e32 v0, v0, v1
	v_and_b32_e32 v1, 0x7f800000, v0
	v_mov_b32_e32 v2, v34
	v_cmp_ne_u64_e64 s[28:29], s[76:77], v[1:2]
	v_and_b32_e32 v33, 0x7fffff, v0
                                        ; implicit-def: $vgpr9
	s_and_saveexec_b64 s[40:41], s[28:29]
	s_xor_b64 s[42:43], exec, s[40:41]
	s_cbranch_execz .LBB6_2956
; %bb.2943:                             ;   in Loop: Header=BB6_2666 Depth=4
	v_and_b32_e32 v1, 0x7fffffff, v0
	v_mov_b32_e32 v2, v34
	v_cmp_gt_u64_e64 s[28:29], s[78:79], v[1:2]
	v_and_b32_sdwa v3, v0, s44 dst_sel:DWORD dst_unused:UNUSED_PAD src0_sel:BYTE_3 src1_sel:DWORD
                                        ; implicit-def: $vgpr9
	s_and_saveexec_b64 s[40:41], s[28:29]
	s_xor_b64 s[38:39], exec, s[40:41]
	s_cbranch_execz .LBB6_2953
; %bb.2944:                             ;   in Loop: Header=BB6_2666 Depth=4
	v_mov_b32_e32 v9, 0
	v_cmp_ne_u32_e64 s[28:29], 0, v0
	s_and_saveexec_b64 s[48:49], s[28:29]
	s_cbranch_execz .LBB6_2952
; %bb.2945:                             ;   in Loop: Header=BB6_2666 Depth=4
	v_bfe_u32 v9, v0, 23, 8
	v_cmp_gt_u32_e64 s[40:41], s45, v9
	v_sub_u32_e32 v0, 0x71, v9
	v_cmp_eq_u32_e64 s[28:29], 0, v9
	v_cndmask_b32_e64 v0, 0, v0, s[40:41]
	v_mov_b32_e32 v2, 0x70
	v_cndmask_b32_e64 v12, v0, v2, s[28:29]
	v_add_u32_e32 v2, 21, v12
	v_or_b32_e32 v1, 0x800000, v33
	v_lshlrev_b64 v[31:32], v2, -1
	v_cndmask_b32_e64 v0, v1, v33, s[28:29]
	v_mov_b32_e32 v1, v34
	v_add_u32_e32 v2, 20, v12
	v_bfi_b32 v31, v31, 0, v0
	v_lshlrev_b64 v[35:36], v2, 1
	v_lshrrev_b64 v[0:1], v12, v[0:1]
	v_bfi_b32 v32, v32, 0, 0
	v_cmp_eq_u64_e64 s[40:41], v[31:32], v[35:36]
	v_mov_b32_e32 v2, v1
	v_mov_b32_e32 v1, v0
	s_and_saveexec_b64 s[50:51], s[40:41]
; %bb.2946:                             ;   in Loop: Header=BB6_2666 Depth=4
	v_bfe_u32 v1, v0, 21, 1
	v_add_co_u32_e64 v1, s[40:41], v0, v1
	v_add_co_u32_e64 v1, s[40:41], -1, v1
; %bb.2947:                             ;   in Loop: Header=BB6_2666 Depth=4
	s_or_b64 exec, exec, s[50:51]
	v_add_u32_e32 v2, 0xffffff81, v9
	v_mov_b32_e32 v9, 0xffffff82
	v_cndmask_b32_e64 v2, v2, v9, s[28:29]
	v_lshrrev_b32_e32 v9, 23, v0
	v_add3_u32 v12, v12, v2, v9
	v_add_u32_e32 v9, 14, v12
	v_and_b32_e32 v1, 0x1fffff, v1
	v_add_u32_e32 v33, v1, v0
	v_cmp_ne_u32_e64 s[28:29], 0, v9
                                        ; implicit-def: $vgpr0_vgpr1
                                        ; implicit-def: $vgpr2
	s_and_saveexec_b64 s[40:41], s[28:29]
	s_xor_b64 s[40:41], exec, s[40:41]
; %bb.2948:                             ;   in Loop: Header=BB6_2666 Depth=4
	v_cmp_lt_u64_e64 s[28:29], s[88:89], v[33:34]
	v_add_u32_e32 v0, 15, v12
	v_cndmask_b32_e64 v2, v9, v0, s[28:29]
	v_cndmask_b32_e64 v0, 0, 1, s[28:29]
	v_lshrrev_b64 v[0:1], v0, v[33:34]
; %bb.2949:                             ;   in Loop: Header=BB6_2666 Depth=4
	s_andn2_saveexec_b64 s[28:29], s[40:41]
; %bb.2950:                             ;   in Loop: Header=BB6_2666 Depth=4
	v_mov_b32_e32 v0, v33
	v_mov_b32_e32 v1, v34
	v_bfe_u32 v2, v33, 23, 1
; %bb.2951:                             ;   in Loop: Header=BB6_2666 Depth=4
	s_or_b64 exec, exec, s[28:29]
	v_lshrrev_b64 v[0:1], 21, v[0:1]
	v_cmp_gt_i32_e64 s[28:29], 32, v2
	v_cndmask_b32_e64 v1, 0, v1, s[28:29]
	v_cndmask_b32_e64 v0, 3, v0, s[28:29]
	v_cmp_eq_u64_e64 s[40:41], 0, v[0:1]
	v_min_i32_e32 v1, 31, v2
	v_lshlrev_b32_e32 v1, 2, v1
	v_cmp_eq_u32_e64 s[28:29], 0, v2
	v_and_b32_e32 v1, 0xfc, v1
	v_and_or_b32 v0, v0, 3, v1
	s_and_b64 s[28:29], s[28:29], s[40:41]
	v_cndmask_b32_e64 v0, v0, 0, s[28:29]
	v_or_b32_e32 v9, v0, v3
.LBB6_2952:                             ;   in Loop: Header=BB6_2666 Depth=4
	s_or_b64 exec, exec, s[48:49]
                                        ; implicit-def: $vgpr3
.LBB6_2953:                             ;   in Loop: Header=BB6_2666 Depth=4
	s_andn2_saveexec_b64 s[28:29], s[38:39]
; %bb.2954:                             ;   in Loop: Header=BB6_2666 Depth=4
	v_or_b32_e32 v9, 0x7b, v3
; %bb.2955:                             ;   in Loop: Header=BB6_2666 Depth=4
	s_or_b64 exec, exec, s[28:29]
                                        ; implicit-def: $vgpr0
.LBB6_2956:                             ;   in Loop: Header=BB6_2666 Depth=4
	s_andn2_saveexec_b64 s[40:41], s[42:43]
	s_cbranch_execz .LBB6_2962
; %bb.2957:                             ;   in Loop: Header=BB6_2666 Depth=4
	v_cmp_ne_u64_e64 s[28:29], 0, v[33:34]
                                        ; implicit-def: $vgpr9
	s_and_saveexec_b64 s[42:43], s[28:29]
	s_xor_b64 s[28:29], exec, s[42:43]
; %bb.2958:                             ;   in Loop: Header=BB6_2666 Depth=4
	v_or_b32_sdwa v9, v0, s83 dst_sel:DWORD dst_unused:UNUSED_PAD src0_sel:BYTE_3 src1_sel:DWORD
                                        ; implicit-def: $vgpr0
; %bb.2959:                             ;   in Loop: Header=BB6_2666 Depth=4
	s_andn2_saveexec_b64 s[42:43], s[28:29]
; %bb.2960:                             ;   in Loop: Header=BB6_2666 Depth=4
	v_cmp_lt_i32_e64 s[28:29], -1, v0
	v_bfrev_b32_e32 v0, 0.5
	v_mov_b32_e32 v1, 0x7c
	v_cndmask_b32_e64 v9, v0, v1, s[28:29]
; %bb.2961:                             ;   in Loop: Header=BB6_2666 Depth=4
	s_or_b64 exec, exec, s[42:43]
.LBB6_2962:                             ;   in Loop: Header=BB6_2666 Depth=4
	s_or_b64 exec, exec, s[40:41]
	v_lshrrev_b16_e32 v0, 8, v14
	v_cmp_ne_u16_e64 s[28:29], 0, v0
	v_mov_b32_e32 v2, 0
	s_and_saveexec_b64 s[40:41], s[28:29]
	s_cbranch_execz .LBB6_2970
; %bb.2963:                             ;   in Loop: Header=BB6_2666 Depth=4
	v_cmp_ne_u16_e64 s[28:29], s44, v0
	v_bfrev_b32_e32 v2, 1
	s_and_saveexec_b64 s[42:43], s[28:29]
	s_cbranch_execz .LBB6_2969
; %bb.2964:                             ;   in Loop: Header=BB6_2666 Depth=4
	v_and_b32_e32 v1, 0x7c, v0
	v_and_b32_e32 v3, 3, v0
	v_cmp_ne_u32_e64 s[28:29], s81, v1
                                        ; implicit-def: $vgpr2
	s_and_saveexec_b64 s[38:39], s[28:29]
	s_xor_b64 s[38:39], exec, s[38:39]
	s_cbranch_execz .LBB6_2966
; %bb.2965:                             ;   in Loop: Header=BB6_2666 Depth=4
	v_ffbh_u32_e32 v12, v3
	v_min_u32_e32 v12, 32, v12
	v_mov_b32_e32 v1, v34
	v_subrev_u32_e32 v13, 29, v12
	v_bfe_u32 v2, v0, 2, 5
	v_lshlrev_b64 v[0:1], v13, v[0:1]
	v_sub_u32_e32 v1, 30, v12
	v_cmp_eq_u32_e64 s[28:29], 0, v2
	v_cndmask_b32_e64 v1, v2, v1, s[28:29]
	v_lshlrev_b32_e32 v2, 16, v14
	v_and_b32_e32 v0, 3, v0
	v_and_b32_e32 v2, 0x80000000, v2
	v_cndmask_b32_e64 v0, v3, v0, s[28:29]
	v_lshl_add_u32 v1, v1, 23, v2
	v_lshl_or_b32 v0, v0, 21, v1
	v_add_u32_e32 v2, 0x38000000, v0
                                        ; implicit-def: $vgpr3
.LBB6_2966:                             ;   in Loop: Header=BB6_2666 Depth=4
	s_andn2_saveexec_b64 s[38:39], s[38:39]
; %bb.2967:                             ;   in Loop: Header=BB6_2666 Depth=4
	v_cmp_lt_i16_e64 s[28:29], -1, v14
	v_mov_b32_e32 v0, 0xff800000
	v_mov_b32_e32 v1, 0x7f800000
	v_cndmask_b32_e64 v0, v0, v1, s[28:29]
	v_cmp_eq_u32_e64 s[28:29], 0, v3
	v_mov_b32_e32 v1, 0x7f800001
	v_cndmask_b32_e64 v2, v1, v0, s[28:29]
; %bb.2968:                             ;   in Loop: Header=BB6_2666 Depth=4
	s_or_b64 exec, exec, s[38:39]
.LBB6_2969:                             ;   in Loop: Header=BB6_2666 Depth=4
	s_or_b64 exec, exec, s[42:43]
.LBB6_2970:                             ;   in Loop: Header=BB6_2666 Depth=4
	s_or_b64 exec, exec, s[40:41]
	v_lshrrev_b16_e32 v0, 8, v10
	v_cmp_lt_i16_e64 s[28:29], s83, v0
	s_mov_b64 s[40:41], 0
	s_and_saveexec_b64 s[42:43], s[28:29]
	s_xor_b64 s[42:43], exec, s[42:43]
	s_cbranch_execz .LBB6_3201
; %bb.2971:                             ;   in Loop: Header=BB6_2666 Depth=4
	v_cmp_eq_u16_e64 s[28:29], s44, v0
	s_mov_b64 s[40:41], -1
	s_and_saveexec_b64 s[38:39], s[28:29]
; %bb.2972:                             ;   in Loop: Header=BB6_2666 Depth=4
	s_xor_b64 s[40:41], exec, -1
; %bb.2973:                             ;   in Loop: Header=BB6_2666 Depth=4
	s_or_b64 exec, exec, s[38:39]
	s_and_b64 s[40:41], s[40:41], exec
	s_or_saveexec_b64 s[42:43], s[42:43]
	v_bfrev_b32_e32 v1, 1
	s_xor_b64 exec, exec, s[42:43]
	s_cbranch_execnz .LBB6_3202
.LBB6_2974:                             ;   in Loop: Header=BB6_2666 Depth=4
	s_or_b64 exec, exec, s[42:43]
	s_and_saveexec_b64 s[38:39], s[40:41]
	s_cbranch_execz .LBB6_2976
.LBB6_2975:                             ;   in Loop: Header=BB6_2666 Depth=4
	v_and_b32_e32 v3, 3, v0
	v_and_b32_e32 v12, 0x7c, v0
	v_cmp_eq_u32_e64 s[28:29], s81, v12
	v_ffbh_u32_e32 v12, v3
	v_min_u32_e32 v32, 32, v12
	v_mov_b32_e32 v1, v34
	v_subrev_u32_e32 v12, 29, v32
	v_bfe_u32 v31, v0, 2, 5
	v_lshlrev_b64 v[12:13], v12, v[0:1]
	v_cmp_eq_u32_e64 s[40:41], 0, v31
	v_sub_u32_e32 v1, 30, v32
	v_lshlrev_b32_e32 v0, 24, v0
	v_and_b32_e32 v12, 3, v12
	v_cndmask_b32_e64 v1, v31, v1, s[40:41]
	v_and_b32_e32 v0, 0x80000000, v0
	v_cndmask_b32_e64 v12, v3, v12, s[40:41]
	v_lshl_add_u32 v0, v1, 23, v0
	v_cmp_eq_u32_e64 s[40:41], 0, v3
	v_cmp_lt_i16_e64 s[42:43], -1, v10
	v_mov_b32_e32 v1, 0xff800000
	v_mov_b32_e32 v3, 0x7f800000
	v_lshl_or_b32 v0, v12, 21, v0
	v_cndmask_b32_e64 v1, v1, v3, s[42:43]
	v_mov_b32_e32 v3, 0x7f800001
	v_add_u32_e32 v0, 0x38000000, v0
	v_cndmask_b32_e64 v1, v3, v1, s[40:41]
	v_cndmask_b32_e64 v1, v0, v1, s[28:29]
.LBB6_2976:                             ;   in Loop: Header=BB6_2666 Depth=4
	s_or_b64 exec, exec, s[38:39]
	v_mul_f32_e32 v0, v2, v1
	v_and_b32_e32 v1, 0x7f800000, v0
	v_mov_b32_e32 v2, v34
	v_cmp_ne_u64_e64 s[28:29], s[76:77], v[1:2]
	v_and_b32_e32 v33, 0x7fffff, v0
                                        ; implicit-def: $vgpr12
	s_and_saveexec_b64 s[40:41], s[28:29]
	s_xor_b64 s[42:43], exec, s[40:41]
	s_cbranch_execz .LBB6_2990
; %bb.2977:                             ;   in Loop: Header=BB6_2666 Depth=4
	v_and_b32_e32 v1, 0x7fffffff, v0
	v_mov_b32_e32 v2, v34
	v_cmp_gt_u64_e64 s[28:29], s[78:79], v[1:2]
	v_and_b32_sdwa v3, v0, s44 dst_sel:DWORD dst_unused:UNUSED_PAD src0_sel:BYTE_3 src1_sel:DWORD
                                        ; implicit-def: $vgpr12
	s_and_saveexec_b64 s[40:41], s[28:29]
	s_xor_b64 s[38:39], exec, s[40:41]
	s_cbranch_execz .LBB6_2987
; %bb.2978:                             ;   in Loop: Header=BB6_2666 Depth=4
	v_mov_b32_e32 v12, 0
	v_cmp_ne_u32_e64 s[28:29], 0, v0
	s_and_saveexec_b64 s[48:49], s[28:29]
	s_cbranch_execz .LBB6_2986
; %bb.2979:                             ;   in Loop: Header=BB6_2666 Depth=4
	v_bfe_u32 v12, v0, 23, 8
	v_cmp_gt_u32_e64 s[40:41], s45, v12
	v_sub_u32_e32 v0, 0x71, v12
	v_cmp_eq_u32_e64 s[28:29], 0, v12
	v_cndmask_b32_e64 v0, 0, v0, s[40:41]
	v_mov_b32_e32 v2, 0x70
	v_cndmask_b32_e64 v13, v0, v2, s[28:29]
	v_add_u32_e32 v2, 21, v13
	v_or_b32_e32 v1, 0x800000, v33
	v_lshlrev_b64 v[31:32], v2, -1
	v_cndmask_b32_e64 v0, v1, v33, s[28:29]
	v_mov_b32_e32 v1, v34
	v_add_u32_e32 v2, 20, v13
	v_bfi_b32 v31, v31, 0, v0
	v_lshlrev_b64 v[35:36], v2, 1
	v_lshrrev_b64 v[0:1], v13, v[0:1]
	v_bfi_b32 v32, v32, 0, 0
	v_cmp_eq_u64_e64 s[40:41], v[31:32], v[35:36]
	v_mov_b32_e32 v2, v1
	v_mov_b32_e32 v1, v0
	s_and_saveexec_b64 s[50:51], s[40:41]
; %bb.2980:                             ;   in Loop: Header=BB6_2666 Depth=4
	v_bfe_u32 v1, v0, 21, 1
	v_add_co_u32_e64 v1, s[40:41], v0, v1
	v_add_co_u32_e64 v1, s[40:41], -1, v1
; %bb.2981:                             ;   in Loop: Header=BB6_2666 Depth=4
	s_or_b64 exec, exec, s[50:51]
	v_add_u32_e32 v2, 0xffffff81, v12
	v_mov_b32_e32 v12, 0xffffff82
	v_cndmask_b32_e64 v2, v2, v12, s[28:29]
	v_lshrrev_b32_e32 v12, 23, v0
	v_add3_u32 v13, v13, v2, v12
	v_add_u32_e32 v12, 14, v13
	v_and_b32_e32 v1, 0x1fffff, v1
	v_add_u32_e32 v33, v1, v0
	v_cmp_ne_u32_e64 s[28:29], 0, v12
                                        ; implicit-def: $vgpr0_vgpr1
                                        ; implicit-def: $vgpr2
	s_and_saveexec_b64 s[40:41], s[28:29]
	s_xor_b64 s[40:41], exec, s[40:41]
; %bb.2982:                             ;   in Loop: Header=BB6_2666 Depth=4
	v_cmp_lt_u64_e64 s[28:29], s[88:89], v[33:34]
	v_add_u32_e32 v0, 15, v13
	v_cndmask_b32_e64 v2, v12, v0, s[28:29]
	v_cndmask_b32_e64 v0, 0, 1, s[28:29]
	v_lshrrev_b64 v[0:1], v0, v[33:34]
; %bb.2983:                             ;   in Loop: Header=BB6_2666 Depth=4
	s_andn2_saveexec_b64 s[28:29], s[40:41]
; %bb.2984:                             ;   in Loop: Header=BB6_2666 Depth=4
	v_mov_b32_e32 v0, v33
	v_mov_b32_e32 v1, v34
	v_bfe_u32 v2, v33, 23, 1
; %bb.2985:                             ;   in Loop: Header=BB6_2666 Depth=4
	s_or_b64 exec, exec, s[28:29]
	v_lshrrev_b64 v[0:1], 21, v[0:1]
	v_cmp_gt_i32_e64 s[28:29], 32, v2
	v_cndmask_b32_e64 v1, 0, v1, s[28:29]
	v_cndmask_b32_e64 v0, 3, v0, s[28:29]
	v_cmp_eq_u64_e64 s[40:41], 0, v[0:1]
	v_min_i32_e32 v1, 31, v2
	v_lshlrev_b32_e32 v1, 2, v1
	v_cmp_eq_u32_e64 s[28:29], 0, v2
	v_and_b32_e32 v1, 0xfc, v1
	v_and_or_b32 v0, v0, 3, v1
	s_and_b64 s[28:29], s[28:29], s[40:41]
	v_cndmask_b32_e64 v0, v0, 0, s[28:29]
	v_or_b32_e32 v12, v0, v3
.LBB6_2986:                             ;   in Loop: Header=BB6_2666 Depth=4
	s_or_b64 exec, exec, s[48:49]
                                        ; implicit-def: $vgpr3
.LBB6_2987:                             ;   in Loop: Header=BB6_2666 Depth=4
	s_andn2_saveexec_b64 s[28:29], s[38:39]
; %bb.2988:                             ;   in Loop: Header=BB6_2666 Depth=4
	v_or_b32_e32 v12, 0x7b, v3
; %bb.2989:                             ;   in Loop: Header=BB6_2666 Depth=4
	s_or_b64 exec, exec, s[28:29]
                                        ; implicit-def: $vgpr0
.LBB6_2990:                             ;   in Loop: Header=BB6_2666 Depth=4
	s_andn2_saveexec_b64 s[40:41], s[42:43]
	s_cbranch_execz .LBB6_2996
; %bb.2991:                             ;   in Loop: Header=BB6_2666 Depth=4
	v_cmp_ne_u64_e64 s[28:29], 0, v[33:34]
                                        ; implicit-def: $vgpr12
	s_and_saveexec_b64 s[42:43], s[28:29]
	s_xor_b64 s[28:29], exec, s[42:43]
; %bb.2992:                             ;   in Loop: Header=BB6_2666 Depth=4
	v_or_b32_sdwa v12, v0, s83 dst_sel:DWORD dst_unused:UNUSED_PAD src0_sel:BYTE_3 src1_sel:DWORD
                                        ; implicit-def: $vgpr0
; %bb.2993:                             ;   in Loop: Header=BB6_2666 Depth=4
	s_andn2_saveexec_b64 s[42:43], s[28:29]
; %bb.2994:                             ;   in Loop: Header=BB6_2666 Depth=4
	v_cmp_lt_i32_e64 s[28:29], -1, v0
	v_bfrev_b32_e32 v0, 0.5
	v_mov_b32_e32 v1, 0x7c
	v_cndmask_b32_e64 v12, v0, v1, s[28:29]
; %bb.2995:                             ;   in Loop: Header=BB6_2666 Depth=4
	s_or_b64 exec, exec, s[42:43]
.LBB6_2996:                             ;   in Loop: Header=BB6_2666 Depth=4
	s_or_b64 exec, exec, s[40:41]
	v_lshrrev_b32_e32 v0, 16, v14
	v_cmp_ne_u16_sdwa s[28:29], v0, v34 src0_sel:BYTE_0 src1_sel:DWORD
	v_mov_b32_e32 v1, 0
	s_and_saveexec_b64 s[40:41], s[28:29]
	s_cbranch_execz .LBB6_3004
; %bb.2997:                             ;   in Loop: Header=BB6_2666 Depth=4
	v_cmp_ne_u16_sdwa s[28:29], v0, s44 src0_sel:BYTE_0 src1_sel:DWORD
	v_bfrev_b32_e32 v1, 1
	s_and_saveexec_b64 s[42:43], s[28:29]
	s_cbranch_execz .LBB6_3003
; %bb.2998:                             ;   in Loop: Header=BB6_2666 Depth=4
	v_and_b32_e32 v1, 0x7c0000, v14
	v_bfe_u32 v2, v14, 16, 2
	v_cmp_ne_u32_e64 s[28:29], s9, v1
                                        ; implicit-def: $vgpr1
	s_and_saveexec_b64 s[38:39], s[28:29]
	s_xor_b64 s[38:39], exec, s[38:39]
	s_cbranch_execz .LBB6_3000
; %bb.2999:                             ;   in Loop: Header=BB6_2666 Depth=4
	v_ffbh_u32_e32 v1, v2
	v_min_u32_e32 v13, 32, v1
	v_subrev_u32_e32 v1, 29, v13
	v_lshlrev_b64 v[0:1], v1, v[0:1]
	v_bfe_u32 v3, v14, 18, 5
	v_and_b32_e32 v0, 3, v0
	v_cmp_eq_u32_e64 s[28:29], 0, v3
	v_sub_u32_e32 v1, 30, v13
	v_cndmask_b32_e64 v0, v2, v0, s[28:29]
	v_lshlrev_b32_e32 v2, 8, v14
	v_cndmask_b32_e64 v1, v3, v1, s[28:29]
	v_and_b32_e32 v2, 0x80000000, v2
	v_lshl_add_u32 v1, v1, 23, v2
	v_lshl_or_b32 v0, v0, 21, v1
	v_add_u32_e32 v1, 0x38000000, v0
                                        ; implicit-def: $vgpr2
                                        ; implicit-def: $vgpr0
.LBB6_3000:                             ;   in Loop: Header=BB6_2666 Depth=4
	s_andn2_saveexec_b64 s[38:39], s[38:39]
; %bb.3001:                             ;   in Loop: Header=BB6_2666 Depth=4
	v_mov_b32_e32 v1, -1
	v_cmp_gt_i16_sdwa s[28:29], sext(v0), v1 src0_sel:BYTE_0 src1_sel:DWORD
	v_mov_b32_e32 v0, 0xff800000
	v_mov_b32_e32 v1, 0x7f800000
	v_cndmask_b32_e64 v0, v0, v1, s[28:29]
	v_cmp_eq_u32_e64 s[28:29], 0, v2
	v_mov_b32_e32 v1, 0x7f800001
	v_cndmask_b32_e64 v1, v1, v0, s[28:29]
; %bb.3002:                             ;   in Loop: Header=BB6_2666 Depth=4
	s_or_b64 exec, exec, s[38:39]
.LBB6_3003:                             ;   in Loop: Header=BB6_2666 Depth=4
	s_or_b64 exec, exec, s[42:43]
.LBB6_3004:                             ;   in Loop: Header=BB6_2666 Depth=4
	s_or_b64 exec, exec, s[40:41]
	v_lshrrev_b32_e32 v0, 16, v10
	v_cmp_gt_i16_sdwa s[40:41], v0, s83 src0_sel:BYTE_0 src1_sel:DWORD
	s_mov_b64 s[28:29], 0
	s_and_saveexec_b64 s[42:43], s[40:41]
	s_xor_b64 s[40:41], exec, s[42:43]
	s_cbranch_execz .LBB6_3203
; %bb.3005:                             ;   in Loop: Header=BB6_2666 Depth=4
	v_cmp_eq_u16_sdwa s[38:39], v0, s44 src0_sel:BYTE_0 src1_sel:DWORD
	s_mov_b64 s[28:29], -1
	s_and_saveexec_b64 s[42:43], s[38:39]
; %bb.3006:                             ;   in Loop: Header=BB6_2666 Depth=4
	s_xor_b64 s[28:29], exec, -1
; %bb.3007:                             ;   in Loop: Header=BB6_2666 Depth=4
	s_or_b64 exec, exec, s[42:43]
	s_and_b64 s[28:29], s[28:29], exec
	s_or_saveexec_b64 s[40:41], s[40:41]
	v_bfrev_b32_e32 v2, 1
	s_xor_b64 exec, exec, s[40:41]
	s_cbranch_execnz .LBB6_3204
.LBB6_3008:                             ;   in Loop: Header=BB6_2666 Depth=4
	s_or_b64 exec, exec, s[40:41]
	s_and_saveexec_b64 s[38:39], s[28:29]
	s_cbranch_execz .LBB6_3010
.LBB6_3009:                             ;   in Loop: Header=BB6_2666 Depth=4
	v_and_b32_e32 v13, 3, v0
	v_and_b32_e32 v2, 0x7c0000, v10
	v_cmp_eq_u32_e64 s[28:29], s9, v2
	v_ffbh_u32_e32 v2, v13
	v_min_u32_e32 v32, 32, v2
	v_subrev_u32_e32 v2, 29, v32
	v_bfe_u32 v31, v10, 18, 5
	v_lshlrev_b64 v[2:3], v2, v[0:1]
	v_cmp_eq_u32_e64 s[40:41], 0, v31
	v_sub_u32_e32 v3, 30, v32
	v_cndmask_b32_e64 v3, v31, v3, s[40:41]
	v_lshlrev_b32_e32 v31, 24, v0
	v_and_b32_e32 v2, 3, v2
	v_and_b32_e32 v31, 0x80000000, v31
	v_cndmask_b32_e64 v2, v13, v2, s[40:41]
	v_lshl_add_u32 v3, v3, 23, v31
	v_lshl_or_b32 v2, v2, 21, v3
	v_mov_b32_e32 v3, -1
	v_cmp_gt_i16_sdwa s[42:43], sext(v0), v3 src0_sel:BYTE_0 src1_sel:DWORD
	v_mov_b32_e32 v0, 0xff800000
	v_mov_b32_e32 v3, 0x7f800000
	v_cmp_eq_u32_e64 s[40:41], 0, v13
	v_cndmask_b32_e64 v0, v0, v3, s[42:43]
	v_mov_b32_e32 v3, 0x7f800001
	v_add_u32_e32 v2, 0x38000000, v2
	v_cndmask_b32_e64 v0, v3, v0, s[40:41]
	v_cndmask_b32_e64 v2, v2, v0, s[28:29]
.LBB6_3010:                             ;   in Loop: Header=BB6_2666 Depth=4
	s_or_b64 exec, exec, s[38:39]
	v_mul_f32_e32 v0, v1, v2
	v_and_b32_e32 v1, 0x7f800000, v0
	v_mov_b32_e32 v2, v34
	v_cmp_ne_u64_e64 s[28:29], s[76:77], v[1:2]
	v_and_b32_e32 v33, 0x7fffff, v0
                                        ; implicit-def: $vgpr13
	s_and_saveexec_b64 s[40:41], s[28:29]
	s_xor_b64 s[42:43], exec, s[40:41]
	s_cbranch_execz .LBB6_3024
; %bb.3011:                             ;   in Loop: Header=BB6_2666 Depth=4
	v_and_b32_e32 v1, 0x7fffffff, v0
	v_mov_b32_e32 v2, v34
	v_cmp_gt_u64_e64 s[28:29], s[78:79], v[1:2]
	v_and_b32_sdwa v3, v0, s44 dst_sel:DWORD dst_unused:UNUSED_PAD src0_sel:BYTE_3 src1_sel:DWORD
                                        ; implicit-def: $vgpr13
	s_and_saveexec_b64 s[40:41], s[28:29]
	s_xor_b64 s[38:39], exec, s[40:41]
	s_cbranch_execz .LBB6_3021
; %bb.3012:                             ;   in Loop: Header=BB6_2666 Depth=4
	v_mov_b32_e32 v13, 0
	v_cmp_ne_u32_e64 s[28:29], 0, v0
	s_and_saveexec_b64 s[48:49], s[28:29]
	s_cbranch_execz .LBB6_3020
; %bb.3013:                             ;   in Loop: Header=BB6_2666 Depth=4
	v_bfe_u32 v13, v0, 23, 8
	v_cmp_gt_u32_e64 s[40:41], s45, v13
	v_sub_u32_e32 v0, 0x71, v13
	v_cmp_eq_u32_e64 s[28:29], 0, v13
	v_cndmask_b32_e64 v0, 0, v0, s[40:41]
	v_mov_b32_e32 v2, 0x70
	v_cndmask_b32_e64 v31, v0, v2, s[28:29]
	v_or_b32_e32 v1, 0x800000, v33
	v_add_u32_e32 v2, 21, v31
	v_cndmask_b32_e64 v0, v1, v33, s[28:29]
	v_lshlrev_b64 v[32:33], v2, -1
	v_mov_b32_e32 v1, v34
	v_add_u32_e32 v2, 20, v31
	v_bfi_b32 v32, v32, 0, v0
	v_lshlrev_b64 v[35:36], v2, 1
	v_lshrrev_b64 v[0:1], v31, v[0:1]
	v_bfi_b32 v33, v33, 0, 0
	v_cmp_eq_u64_e64 s[40:41], v[32:33], v[35:36]
	v_mov_b32_e32 v2, v1
	v_mov_b32_e32 v1, v0
	s_and_saveexec_b64 s[50:51], s[40:41]
; %bb.3014:                             ;   in Loop: Header=BB6_2666 Depth=4
	v_bfe_u32 v1, v0, 21, 1
	v_add_co_u32_e64 v1, s[40:41], v0, v1
	v_add_co_u32_e64 v1, s[40:41], -1, v1
; %bb.3015:                             ;   in Loop: Header=BB6_2666 Depth=4
	s_or_b64 exec, exec, s[50:51]
	v_add_u32_e32 v2, 0xffffff81, v13
	v_mov_b32_e32 v13, 0xffffff82
	v_cndmask_b32_e64 v2, v2, v13, s[28:29]
	v_lshrrev_b32_e32 v13, 23, v0
	v_add3_u32 v31, v31, v2, v13
	v_add_u32_e32 v13, 14, v31
	v_and_b32_e32 v1, 0x1fffff, v1
	v_add_u32_e32 v33, v1, v0
	v_cmp_ne_u32_e64 s[28:29], 0, v13
                                        ; implicit-def: $vgpr0_vgpr1
                                        ; implicit-def: $vgpr2
	s_and_saveexec_b64 s[40:41], s[28:29]
	s_xor_b64 s[40:41], exec, s[40:41]
; %bb.3016:                             ;   in Loop: Header=BB6_2666 Depth=4
	v_cmp_lt_u64_e64 s[28:29], s[88:89], v[33:34]
	v_add_u32_e32 v0, 15, v31
	v_cndmask_b32_e64 v2, v13, v0, s[28:29]
	v_cndmask_b32_e64 v0, 0, 1, s[28:29]
	v_lshrrev_b64 v[0:1], v0, v[33:34]
; %bb.3017:                             ;   in Loop: Header=BB6_2666 Depth=4
	s_andn2_saveexec_b64 s[28:29], s[40:41]
; %bb.3018:                             ;   in Loop: Header=BB6_2666 Depth=4
	v_mov_b32_e32 v0, v33
	v_mov_b32_e32 v1, v34
	v_bfe_u32 v2, v33, 23, 1
; %bb.3019:                             ;   in Loop: Header=BB6_2666 Depth=4
	s_or_b64 exec, exec, s[28:29]
	v_lshrrev_b64 v[0:1], 21, v[0:1]
	v_cmp_gt_i32_e64 s[28:29], 32, v2
	v_cndmask_b32_e64 v1, 0, v1, s[28:29]
	v_cndmask_b32_e64 v0, 3, v0, s[28:29]
	v_cmp_eq_u64_e64 s[40:41], 0, v[0:1]
	v_min_i32_e32 v1, 31, v2
	v_lshlrev_b32_e32 v1, 2, v1
	v_cmp_eq_u32_e64 s[28:29], 0, v2
	v_and_b32_e32 v1, 0xfc, v1
	v_and_or_b32 v0, v0, 3, v1
	s_and_b64 s[28:29], s[28:29], s[40:41]
	v_cndmask_b32_e64 v0, v0, 0, s[28:29]
	v_or_b32_e32 v13, v0, v3
.LBB6_3020:                             ;   in Loop: Header=BB6_2666 Depth=4
	s_or_b64 exec, exec, s[48:49]
                                        ; implicit-def: $vgpr3
.LBB6_3021:                             ;   in Loop: Header=BB6_2666 Depth=4
	s_andn2_saveexec_b64 s[28:29], s[38:39]
; %bb.3022:                             ;   in Loop: Header=BB6_2666 Depth=4
	v_or_b32_e32 v13, 0x7b, v3
; %bb.3023:                             ;   in Loop: Header=BB6_2666 Depth=4
	s_or_b64 exec, exec, s[28:29]
                                        ; implicit-def: $vgpr0
.LBB6_3024:                             ;   in Loop: Header=BB6_2666 Depth=4
	s_andn2_saveexec_b64 s[40:41], s[42:43]
	s_cbranch_execz .LBB6_3030
; %bb.3025:                             ;   in Loop: Header=BB6_2666 Depth=4
	v_cmp_ne_u64_e64 s[28:29], 0, v[33:34]
                                        ; implicit-def: $vgpr13
	s_and_saveexec_b64 s[42:43], s[28:29]
	s_xor_b64 s[28:29], exec, s[42:43]
; %bb.3026:                             ;   in Loop: Header=BB6_2666 Depth=4
	v_or_b32_sdwa v13, v0, s83 dst_sel:DWORD dst_unused:UNUSED_PAD src0_sel:BYTE_3 src1_sel:DWORD
                                        ; implicit-def: $vgpr0
; %bb.3027:                             ;   in Loop: Header=BB6_2666 Depth=4
	s_andn2_saveexec_b64 s[42:43], s[28:29]
; %bb.3028:                             ;   in Loop: Header=BB6_2666 Depth=4
	v_cmp_lt_i32_e64 s[28:29], -1, v0
	v_bfrev_b32_e32 v0, 0.5
	v_mov_b32_e32 v1, 0x7c
	v_cndmask_b32_e64 v13, v0, v1, s[28:29]
; %bb.3029:                             ;   in Loop: Header=BB6_2666 Depth=4
	s_or_b64 exec, exec, s[42:43]
.LBB6_3030:                             ;   in Loop: Header=BB6_2666 Depth=4
	s_or_b64 exec, exec, s[40:41]
	v_cmp_lt_u32_e64 s[28:29], s57, v14
	v_mov_b32_e32 v1, 0
	s_and_saveexec_b64 s[40:41], s[28:29]
	s_cbranch_execz .LBB6_3038
; %bb.3031:                             ;   in Loop: Header=BB6_2666 Depth=4
	v_lshrrev_b32_e32 v0, 24, v14
	v_cmp_ne_u32_e64 s[28:29], s44, v0
	v_bfrev_b32_e32 v1, 1
	s_and_saveexec_b64 s[42:43], s[28:29]
	s_cbranch_execz .LBB6_3037
; %bb.3032:                             ;   in Loop: Header=BB6_2666 Depth=4
	v_and_b32_e32 v1, 0x7c000000, v14
	v_bfe_u32 v2, v14, 24, 2
	v_cmp_ne_u32_e64 s[28:29], s8, v1
                                        ; implicit-def: $vgpr1
	s_and_saveexec_b64 s[38:39], s[28:29]
	s_xor_b64 s[38:39], exec, s[38:39]
	s_cbranch_execz .LBB6_3034
; %bb.3033:                             ;   in Loop: Header=BB6_2666 Depth=4
	v_ffbh_u32_e32 v1, v2
	v_min_u32_e32 v31, 32, v1
	v_subrev_u32_e32 v1, 29, v31
	v_lshlrev_b64 v[0:1], v1, v[0:1]
	v_bfe_u32 v3, v14, 26, 5
	v_sub_u32_e32 v1, 30, v31
	v_and_b32_e32 v0, 3, v0
	v_cmp_eq_u32_e64 s[28:29], 0, v3
	v_cndmask_b32_e64 v1, v3, v1, s[28:29]
	v_cndmask_b32_e64 v0, v2, v0, s[28:29]
	v_and_b32_e32 v2, 0x80000000, v14
	v_lshl_add_u32 v1, v1, 23, v2
	v_lshl_or_b32 v0, v0, 21, v1
	v_add_u32_e32 v1, 0x38000000, v0
                                        ; implicit-def: $vgpr2
.LBB6_3034:                             ;   in Loop: Header=BB6_2666 Depth=4
	s_andn2_saveexec_b64 s[38:39], s[38:39]
; %bb.3035:                             ;   in Loop: Header=BB6_2666 Depth=4
	v_cmp_lt_i32_e64 s[28:29], -1, v14
	v_mov_b32_e32 v0, 0xff800000
	v_mov_b32_e32 v1, 0x7f800000
	v_cndmask_b32_e64 v0, v0, v1, s[28:29]
	v_cmp_eq_u32_e64 s[28:29], 0, v2
	v_mov_b32_e32 v1, 0x7f800001
	v_cndmask_b32_e64 v1, v1, v0, s[28:29]
; %bb.3036:                             ;   in Loop: Header=BB6_2666 Depth=4
	s_or_b64 exec, exec, s[38:39]
.LBB6_3037:                             ;   in Loop: Header=BB6_2666 Depth=4
	s_or_b64 exec, exec, s[42:43]
.LBB6_3038:                             ;   in Loop: Header=BB6_2666 Depth=4
	s_or_b64 exec, exec, s[40:41]
	v_bfe_u32 v31, v10, 24, 2
	v_and_b32_e32 v2, 0x7c000000, v10
	v_cmp_eq_u32_e64 s[28:29], s8, v2
	v_ffbh_u32_e32 v2, v31
	v_min_u32_e32 v33, 32, v2
	v_lshrrev_b32_e32 v0, 24, v10
	v_subrev_u32_e32 v2, 29, v33
	v_bfe_u32 v32, v10, 26, 5
	v_lshlrev_b64 v[2:3], v2, v[0:1]
	v_cmp_eq_u32_e64 s[40:41], 0, v32
	v_sub_u32_e32 v3, 30, v33
	v_and_b32_e32 v2, 3, v2
	v_cndmask_b32_e64 v3, v32, v3, s[40:41]
	v_and_b32_e32 v32, 0x80000000, v10
	v_cndmask_b32_e64 v2, v31, v2, s[40:41]
	v_lshl_add_u32 v3, v3, 23, v32
	v_lshl_or_b32 v2, v2, 21, v3
	v_cmp_eq_u32_e64 s[40:41], 0, v31
	v_cmp_lt_i32_e64 s[42:43], -1, v10
	v_mov_b32_e32 v3, 0xff800000
	v_mov_b32_e32 v31, 0x7f800000
	v_cndmask_b32_e64 v3, v3, v31, s[42:43]
	v_mov_b32_e32 v31, 0x7f800001
	v_add_u32_e32 v2, 0x38000000, v2
	v_cndmask_b32_e64 v3, v31, v3, s[40:41]
	v_cndmask_b32_e64 v2, v2, v3, s[28:29]
	v_cmp_ne_u32_e64 s[28:29], s44, v0
	v_bfrev_b32_e32 v0, 1
	v_cndmask_b32_e64 v0, v0, v2, s[28:29]
	v_cmp_lt_u32_e64 s[28:29], s57, v10
	v_cndmask_b32_e64 v0, 0, v0, s[28:29]
	v_mul_f32_e32 v0, v0, v1
	v_and_b32_e32 v1, 0x7f800000, v0
	v_mov_b32_e32 v2, v34
	v_cmp_ne_u64_e64 s[28:29], s[76:77], v[1:2]
	v_and_b32_e32 v33, 0x7fffff, v0
                                        ; implicit-def: $vgpr31
	s_and_saveexec_b64 s[40:41], s[28:29]
	s_xor_b64 s[42:43], exec, s[40:41]
	s_cbranch_execz .LBB6_3052
; %bb.3039:                             ;   in Loop: Header=BB6_2666 Depth=4
	v_and_b32_e32 v1, 0x7fffffff, v0
	v_mov_b32_e32 v2, v34
	v_cmp_gt_u64_e64 s[28:29], s[78:79], v[1:2]
	v_and_b32_sdwa v3, v0, s44 dst_sel:DWORD dst_unused:UNUSED_PAD src0_sel:BYTE_3 src1_sel:DWORD
                                        ; implicit-def: $vgpr31
	s_and_saveexec_b64 s[40:41], s[28:29]
	s_xor_b64 s[38:39], exec, s[40:41]
	s_cbranch_execz .LBB6_3049
; %bb.3040:                             ;   in Loop: Header=BB6_2666 Depth=4
	v_mov_b32_e32 v31, 0
	v_cmp_ne_u32_e64 s[28:29], 0, v0
	s_and_saveexec_b64 s[48:49], s[28:29]
	s_cbranch_execz .LBB6_3048
; %bb.3041:                             ;   in Loop: Header=BB6_2666 Depth=4
	v_bfe_u32 v31, v0, 23, 8
	v_cmp_gt_u32_e64 s[40:41], s45, v31
	v_sub_u32_e32 v0, 0x71, v31
	v_cmp_eq_u32_e64 s[28:29], 0, v31
	v_cndmask_b32_e64 v0, 0, v0, s[40:41]
	v_mov_b32_e32 v2, 0x70
	v_cndmask_b32_e64 v32, v0, v2, s[28:29]
	v_add_u32_e32 v2, 21, v32
	v_or_b32_e32 v1, 0x800000, v33
	v_lshlrev_b64 v[35:36], v2, -1
	v_cndmask_b32_e64 v0, v1, v33, s[28:29]
	v_mov_b32_e32 v1, v34
	v_add_u32_e32 v2, 20, v32
	v_bfi_b32 v35, v35, 0, v0
	v_lshlrev_b64 v[37:38], v2, 1
	v_lshrrev_b64 v[0:1], v32, v[0:1]
	v_bfi_b32 v36, v36, 0, 0
	v_cmp_eq_u64_e64 s[40:41], v[35:36], v[37:38]
	v_mov_b32_e32 v2, v1
	v_mov_b32_e32 v1, v0
	s_and_saveexec_b64 s[50:51], s[40:41]
; %bb.3042:                             ;   in Loop: Header=BB6_2666 Depth=4
	v_bfe_u32 v1, v0, 21, 1
	v_add_co_u32_e64 v1, s[40:41], v0, v1
	v_add_co_u32_e64 v1, s[40:41], -1, v1
; %bb.3043:                             ;   in Loop: Header=BB6_2666 Depth=4
	s_or_b64 exec, exec, s[50:51]
	v_add_u32_e32 v2, 0xffffff81, v31
	v_mov_b32_e32 v31, 0xffffff82
	v_cndmask_b32_e64 v2, v2, v31, s[28:29]
	v_lshrrev_b32_e32 v31, 23, v0
	v_add3_u32 v32, v32, v2, v31
	v_add_u32_e32 v31, 14, v32
	v_and_b32_e32 v1, 0x1fffff, v1
	v_add_u32_e32 v33, v1, v0
	v_cmp_ne_u32_e64 s[28:29], 0, v31
                                        ; implicit-def: $vgpr0_vgpr1
                                        ; implicit-def: $vgpr2
	s_and_saveexec_b64 s[40:41], s[28:29]
	s_xor_b64 s[40:41], exec, s[40:41]
; %bb.3044:                             ;   in Loop: Header=BB6_2666 Depth=4
	v_cmp_lt_u64_e64 s[28:29], s[88:89], v[33:34]
	v_add_u32_e32 v0, 15, v32
	v_cndmask_b32_e64 v2, v31, v0, s[28:29]
	v_cndmask_b32_e64 v0, 0, 1, s[28:29]
	v_lshrrev_b64 v[0:1], v0, v[33:34]
; %bb.3045:                             ;   in Loop: Header=BB6_2666 Depth=4
	s_andn2_saveexec_b64 s[28:29], s[40:41]
; %bb.3046:                             ;   in Loop: Header=BB6_2666 Depth=4
	v_mov_b32_e32 v0, v33
	v_mov_b32_e32 v1, v34
	v_bfe_u32 v2, v33, 23, 1
; %bb.3047:                             ;   in Loop: Header=BB6_2666 Depth=4
	s_or_b64 exec, exec, s[28:29]
	v_lshrrev_b64 v[0:1], 21, v[0:1]
	v_cmp_gt_i32_e64 s[28:29], 32, v2
	v_cndmask_b32_e64 v1, 0, v1, s[28:29]
	v_cndmask_b32_e64 v0, 3, v0, s[28:29]
	v_cmp_eq_u64_e64 s[40:41], 0, v[0:1]
	v_min_i32_e32 v1, 31, v2
	v_lshlrev_b32_e32 v1, 2, v1
	v_cmp_eq_u32_e64 s[28:29], 0, v2
	v_and_b32_e32 v1, 0xfc, v1
	v_and_or_b32 v0, v0, 3, v1
	s_and_b64 s[28:29], s[28:29], s[40:41]
	v_cndmask_b32_e64 v0, v0, 0, s[28:29]
	v_or_b32_e32 v31, v0, v3
.LBB6_3048:                             ;   in Loop: Header=BB6_2666 Depth=4
	s_or_b64 exec, exec, s[48:49]
                                        ; implicit-def: $vgpr3
.LBB6_3049:                             ;   in Loop: Header=BB6_2666 Depth=4
	s_andn2_saveexec_b64 s[28:29], s[38:39]
; %bb.3050:                             ;   in Loop: Header=BB6_2666 Depth=4
	v_or_b32_e32 v31, 0x7b, v3
; %bb.3051:                             ;   in Loop: Header=BB6_2666 Depth=4
	s_or_b64 exec, exec, s[28:29]
                                        ; implicit-def: $vgpr0
.LBB6_3052:                             ;   in Loop: Header=BB6_2666 Depth=4
	s_andn2_saveexec_b64 s[40:41], s[42:43]
	s_cbranch_execz .LBB6_3058
; %bb.3053:                             ;   in Loop: Header=BB6_2666 Depth=4
	v_cmp_ne_u64_e64 s[28:29], 0, v[33:34]
                                        ; implicit-def: $vgpr31
	s_and_saveexec_b64 s[42:43], s[28:29]
	s_xor_b64 s[28:29], exec, s[42:43]
; %bb.3054:                             ;   in Loop: Header=BB6_2666 Depth=4
	v_or_b32_sdwa v31, v0, s83 dst_sel:DWORD dst_unused:UNUSED_PAD src0_sel:BYTE_3 src1_sel:DWORD
                                        ; implicit-def: $vgpr0
; %bb.3055:                             ;   in Loop: Header=BB6_2666 Depth=4
	s_andn2_saveexec_b64 s[42:43], s[28:29]
; %bb.3056:                             ;   in Loop: Header=BB6_2666 Depth=4
	v_cmp_lt_i32_e64 s[28:29], -1, v0
	v_bfrev_b32_e32 v0, 0.5
	v_mov_b32_e32 v1, 0x7c
	v_cndmask_b32_e64 v31, v0, v1, s[28:29]
; %bb.3057:                             ;   in Loop: Header=BB6_2666 Depth=4
	s_or_b64 exec, exec, s[42:43]
.LBB6_3058:                             ;   in Loop: Header=BB6_2666 Depth=4
	s_or_b64 exec, exec, s[40:41]
	v_mov_b32_e32 v33, v15
	v_cmp_ne_u16_sdwa s[28:29], v15, v34 src0_sel:BYTE_0 src1_sel:DWORD
	v_mov_b32_e32 v2, 0
	s_and_saveexec_b64 s[40:41], s[28:29]
	s_cbranch_execz .LBB6_3066
; %bb.3059:                             ;   in Loop: Header=BB6_2666 Depth=4
	v_cmp_ne_u16_sdwa s[28:29], v15, s44 src0_sel:BYTE_0 src1_sel:DWORD
	v_bfrev_b32_e32 v2, 1
	s_and_saveexec_b64 s[42:43], s[28:29]
	s_cbranch_execz .LBB6_3065
; %bb.3060:                             ;   in Loop: Header=BB6_2666 Depth=4
	v_and_b32_e32 v1, 0x7c, v15
	v_and_b32_e32 v0, 3, v15
	v_cmp_ne_u32_e64 s[28:29], s81, v1
                                        ; implicit-def: $vgpr2
	s_and_saveexec_b64 s[38:39], s[28:29]
	s_xor_b64 s[38:39], exec, s[38:39]
	s_cbranch_execz .LBB6_3062
; %bb.3061:                             ;   in Loop: Header=BB6_2666 Depth=4
	v_ffbh_u32_e32 v1, v0
	v_min_u32_e32 v32, 32, v1
	v_subrev_u32_e32 v1, 29, v32
	v_lshlrev_b64 v[1:2], v1, v[33:34]
	v_bfe_u32 v3, v15, 2, 5
	v_and_b32_e32 v1, 3, v1
	v_cmp_eq_u32_e64 s[28:29], 0, v3
	v_sub_u32_e32 v2, 30, v32
	v_cndmask_b32_e64 v0, v0, v1, s[28:29]
	v_lshlrev_b32_e32 v1, 24, v15
	v_cndmask_b32_e64 v2, v3, v2, s[28:29]
	v_and_b32_e32 v1, 0x80000000, v1
	v_lshl_add_u32 v1, v2, 23, v1
	v_lshl_or_b32 v0, v0, 21, v1
	v_add_u32_e32 v2, 0x38000000, v0
                                        ; implicit-def: $vgpr0
.LBB6_3062:                             ;   in Loop: Header=BB6_2666 Depth=4
	s_andn2_saveexec_b64 s[38:39], s[38:39]
; %bb.3063:                             ;   in Loop: Header=BB6_2666 Depth=4
	v_mov_b32_e32 v1, -1
	v_cmp_gt_i16_sdwa s[28:29], sext(v15), v1 src0_sel:BYTE_0 src1_sel:DWORD
	v_mov_b32_e32 v1, 0xff800000
	v_mov_b32_e32 v2, 0x7f800000
	v_cndmask_b32_e64 v1, v1, v2, s[28:29]
	v_cmp_eq_u32_e64 s[28:29], 0, v0
	v_mov_b32_e32 v0, 0x7f800001
	v_cndmask_b32_e64 v2, v0, v1, s[28:29]
; %bb.3064:                             ;   in Loop: Header=BB6_2666 Depth=4
	s_or_b64 exec, exec, s[38:39]
.LBB6_3065:                             ;   in Loop: Header=BB6_2666 Depth=4
	s_or_b64 exec, exec, s[42:43]
.LBB6_3066:                             ;   in Loop: Header=BB6_2666 Depth=4
	s_or_b64 exec, exec, s[40:41]
	v_cmp_gt_i16_sdwa s[40:41], v11, s83 src0_sel:BYTE_0 src1_sel:DWORD
	s_mov_b64 s[28:29], 0
	s_and_saveexec_b64 s[42:43], s[40:41]
	s_xor_b64 s[40:41], exec, s[42:43]
	s_cbranch_execz .LBB6_3070
; %bb.3067:                             ;   in Loop: Header=BB6_2666 Depth=4
	v_cmp_eq_u16_sdwa s[38:39], v11, s44 src0_sel:BYTE_0 src1_sel:DWORD
	s_mov_b64 s[28:29], -1
	s_and_saveexec_b64 s[42:43], s[38:39]
; %bb.3068:                             ;   in Loop: Header=BB6_2666 Depth=4
	s_xor_b64 s[28:29], exec, -1
; %bb.3069:                             ;   in Loop: Header=BB6_2666 Depth=4
	s_or_b64 exec, exec, s[42:43]
	s_and_b64 s[28:29], s[28:29], exec
.LBB6_3070:                             ;   in Loop: Header=BB6_2666 Depth=4
	s_or_saveexec_b64 s[40:41], s[40:41]
	v_bfrev_b32_e32 v3, 1
	s_xor_b64 exec, exec, s[40:41]
; %bb.3071:                             ;   in Loop: Header=BB6_2666 Depth=4
	v_cmp_ne_u16_sdwa s[42:43], v11, v34 src0_sel:BYTE_0 src1_sel:DWORD
	s_andn2_b64 s[28:29], s[28:29], exec
	s_and_b64 s[42:43], s[42:43], exec
	v_mov_b32_e32 v3, 0
	s_or_b64 s[28:29], s[28:29], s[42:43]
; %bb.3072:                             ;   in Loop: Header=BB6_2666 Depth=4
	s_or_b64 exec, exec, s[40:41]
	v_mov_b32_e32 v0, v11
	v_mov_b32_e32 v1, v34
	s_and_saveexec_b64 s[38:39], s[28:29]
	s_cbranch_execz .LBB6_3074
; %bb.3073:                             ;   in Loop: Header=BB6_2666 Depth=4
	v_and_b32_e32 v3, 3, v11
	v_and_b32_e32 v35, 0x7c, v11
	v_cmp_eq_u32_e64 s[28:29], s81, v35
	v_ffbh_u32_e32 v35, v3
	v_min_u32_e32 v37, 32, v35
	v_subrev_u32_e32 v35, 29, v37
	v_lshlrev_b64 v[35:36], v35, v[0:1]
	v_bfe_u32 v32, v11, 2, 5
	v_cmp_eq_u32_e64 s[40:41], 0, v32
	v_sub_u32_e32 v1, 30, v37
	v_and_b32_e32 v35, 3, v35
	v_cndmask_b32_e64 v1, v32, v1, s[40:41]
	v_cndmask_b32_e64 v32, v3, v35, s[40:41]
	v_lshlrev_b32_e32 v35, 24, v11
	v_and_b32_e32 v35, 0x80000000, v35
	v_lshl_add_u32 v1, v1, 23, v35
	v_cmp_eq_u32_e64 s[40:41], 0, v3
	v_mov_b32_e32 v3, -1
	v_lshl_or_b32 v1, v32, 21, v1
	v_cmp_gt_i16_sdwa s[42:43], sext(v11), v3 src0_sel:BYTE_0 src1_sel:DWORD
	v_mov_b32_e32 v3, 0xff800000
	v_mov_b32_e32 v32, 0x7f800000
	v_cndmask_b32_e64 v3, v3, v32, s[42:43]
	v_mov_b32_e32 v32, 0x7f800001
	v_add_u32_e32 v1, 0x38000000, v1
	v_cndmask_b32_e64 v3, v32, v3, s[40:41]
	v_cndmask_b32_e64 v3, v1, v3, s[28:29]
.LBB6_3074:                             ;   in Loop: Header=BB6_2666 Depth=4
	s_or_b64 exec, exec, s[38:39]
	v_mul_f32_e32 v35, v2, v3
	v_and_b32_e32 v2, 0x7f800000, v35
	v_mov_b32_e32 v3, v34
	v_cmp_ne_u64_e64 s[28:29], s[76:77], v[2:3]
	v_and_b32_e32 v1, 0x7fffff, v35
	v_mov_b32_e32 v2, v34
                                        ; implicit-def: $vgpr3
	s_and_saveexec_b64 s[40:41], s[28:29]
	s_xor_b64 s[42:43], exec, s[40:41]
	s_cbranch_execz .LBB6_3088
; %bb.3075:                             ;   in Loop: Header=BB6_2666 Depth=4
	v_and_b32_e32 v36, 0x7fffffff, v35
	v_mov_b32_e32 v37, v34
	v_cmp_gt_u64_e64 s[28:29], s[78:79], v[36:37]
	v_and_b32_sdwa v32, v35, s44 dst_sel:DWORD dst_unused:UNUSED_PAD src0_sel:BYTE_3 src1_sel:DWORD
                                        ; implicit-def: $vgpr3
	s_and_saveexec_b64 s[40:41], s[28:29]
	s_xor_b64 s[38:39], exec, s[40:41]
	s_cbranch_execz .LBB6_3085
; %bb.3076:                             ;   in Loop: Header=BB6_2666 Depth=4
	v_mov_b32_e32 v3, 0
	v_cmp_ne_u32_e64 s[28:29], 0, v35
	s_and_saveexec_b64 s[48:49], s[28:29]
	s_cbranch_execz .LBB6_3084
; %bb.3077:                             ;   in Loop: Header=BB6_2666 Depth=4
	v_bfe_u32 v35, v35, 23, 8
	v_cmp_gt_u32_e64 s[40:41], s45, v35
	v_sub_u32_e32 v3, 0x71, v35
	v_cmp_eq_u32_e64 s[28:29], 0, v35
	v_cndmask_b32_e64 v3, 0, v3, s[40:41]
	v_mov_b32_e32 v36, 0x70
	v_cndmask_b32_e64 v36, v3, v36, s[28:29]
	v_or_b32_e32 v37, 0x800000, v1
	v_add_u32_e32 v3, 21, v36
	v_cndmask_b32_e64 v1, v37, v1, s[28:29]
	v_lshlrev_b64 v[37:38], v3, -1
	v_add_u32_e32 v3, 20, v36
	v_bfi_b32 v37, v37, 0, v1
	v_lshlrev_b64 v[48:49], v3, 1
	v_lshrrev_b64 v[1:2], v36, v[1:2]
	v_bfi_b32 v38, v38, 0, 0
	v_cmp_eq_u64_e64 s[40:41], v[37:38], v[48:49]
	v_mov_b32_e32 v3, v2
	v_mov_b32_e32 v2, v1
	s_and_saveexec_b64 s[50:51], s[40:41]
; %bb.3078:                             ;   in Loop: Header=BB6_2666 Depth=4
	v_bfe_u32 v2, v1, 21, 1
	v_add_co_u32_e64 v2, s[40:41], v1, v2
	v_add_co_u32_e64 v2, s[40:41], -1, v2
; %bb.3079:                             ;   in Loop: Header=BB6_2666 Depth=4
	s_or_b64 exec, exec, s[50:51]
	v_add_u32_e32 v3, 0xffffff81, v35
	v_mov_b32_e32 v35, 0xffffff82
	v_cndmask_b32_e64 v3, v3, v35, s[28:29]
	v_lshrrev_b32_e32 v35, 23, v1
	v_add3_u32 v36, v36, v3, v35
	v_add_u32_e32 v35, 14, v36
	v_and_b32_e32 v2, 0x1fffff, v2
	v_add_u32_e32 v1, v2, v1
	v_mov_b32_e32 v2, v34
	v_cmp_ne_u32_e64 s[28:29], 0, v35
                                        ; implicit-def: $vgpr3
	s_and_saveexec_b64 s[40:41], s[28:29]
	s_xor_b64 s[40:41], exec, s[40:41]
; %bb.3080:                             ;   in Loop: Header=BB6_2666 Depth=4
	v_cmp_lt_u64_e64 s[28:29], s[88:89], v[1:2]
	v_add_u32_e32 v3, 15, v36
	v_cndmask_b32_e64 v3, v35, v3, s[28:29]
	v_cndmask_b32_e64 v35, 0, 1, s[28:29]
	v_lshrrev_b64 v[1:2], v35, v[1:2]
; %bb.3081:                             ;   in Loop: Header=BB6_2666 Depth=4
	s_andn2_saveexec_b64 s[28:29], s[40:41]
; %bb.3082:                             ;   in Loop: Header=BB6_2666 Depth=4
	v_bfe_u32 v3, v1, 23, 1
; %bb.3083:                             ;   in Loop: Header=BB6_2666 Depth=4
	s_or_b64 exec, exec, s[28:29]
	v_lshrrev_b64 v[1:2], 21, v[1:2]
	v_cmp_gt_i32_e64 s[28:29], 32, v3
	v_cndmask_b32_e64 v2, 0, v2, s[28:29]
	v_cndmask_b32_e64 v1, 3, v1, s[28:29]
	v_cmp_eq_u64_e64 s[40:41], 0, v[1:2]
	v_min_i32_e32 v2, 31, v3
	v_lshlrev_b32_e32 v2, 2, v2
	v_cmp_eq_u32_e64 s[28:29], 0, v3
	v_and_b32_e32 v2, 0xfc, v2
	v_and_or_b32 v1, v1, 3, v2
	s_and_b64 s[28:29], s[28:29], s[40:41]
	v_cndmask_b32_e64 v1, v1, 0, s[28:29]
	v_or_b32_e32 v3, v1, v32
.LBB6_3084:                             ;   in Loop: Header=BB6_2666 Depth=4
	s_or_b64 exec, exec, s[48:49]
                                        ; implicit-def: $vgpr32
.LBB6_3085:                             ;   in Loop: Header=BB6_2666 Depth=4
	s_andn2_saveexec_b64 s[28:29], s[38:39]
; %bb.3086:                             ;   in Loop: Header=BB6_2666 Depth=4
	v_or_b32_e32 v3, 0x7b, v32
; %bb.3087:                             ;   in Loop: Header=BB6_2666 Depth=4
	s_or_b64 exec, exec, s[28:29]
                                        ; implicit-def: $vgpr35
                                        ; implicit-def: $vgpr1_vgpr2
.LBB6_3088:                             ;   in Loop: Header=BB6_2666 Depth=4
	s_andn2_saveexec_b64 s[40:41], s[42:43]
	s_cbranch_execz .LBB6_3094
; %bb.3089:                             ;   in Loop: Header=BB6_2666 Depth=4
	v_cmp_ne_u64_e64 s[28:29], 0, v[1:2]
                                        ; implicit-def: $vgpr3
	s_and_saveexec_b64 s[42:43], s[28:29]
	s_xor_b64 s[28:29], exec, s[42:43]
; %bb.3090:                             ;   in Loop: Header=BB6_2666 Depth=4
	v_or_b32_sdwa v3, v35, s83 dst_sel:DWORD dst_unused:UNUSED_PAD src0_sel:BYTE_3 src1_sel:DWORD
                                        ; implicit-def: $vgpr35
; %bb.3091:                             ;   in Loop: Header=BB6_2666 Depth=4
	s_andn2_saveexec_b64 s[42:43], s[28:29]
; %bb.3092:                             ;   in Loop: Header=BB6_2666 Depth=4
	v_cmp_lt_i32_e64 s[28:29], -1, v35
	v_bfrev_b32_e32 v1, 0.5
	v_mov_b32_e32 v2, 0x7c
	v_cndmask_b32_e64 v3, v1, v2, s[28:29]
; %bb.3093:                             ;   in Loop: Header=BB6_2666 Depth=4
	s_or_b64 exec, exec, s[42:43]
.LBB6_3094:                             ;   in Loop: Header=BB6_2666 Depth=4
	s_or_b64 exec, exec, s[40:41]
	v_lshrrev_b16_e32 v1, 8, v33
	v_cmp_ne_u16_e64 s[28:29], 0, v1
	v_mov_b32_e32 v32, 0
	s_and_saveexec_b64 s[40:41], s[28:29]
	s_cbranch_execz .LBB6_3102
; %bb.3095:                             ;   in Loop: Header=BB6_2666 Depth=4
	v_cmp_ne_u16_e64 s[28:29], s44, v1
	v_bfrev_b32_e32 v32, 1
	s_and_saveexec_b64 s[42:43], s[28:29]
	s_cbranch_execz .LBB6_3101
; %bb.3096:                             ;   in Loop: Header=BB6_2666 Depth=4
	v_and_b32_e32 v2, 0x7c, v1
	v_and_b32_e32 v35, 3, v1
	v_cmp_ne_u32_e64 s[28:29], s81, v2
                                        ; implicit-def: $vgpr32
	s_and_saveexec_b64 s[38:39], s[28:29]
	s_xor_b64 s[38:39], exec, s[38:39]
	s_cbranch_execz .LBB6_3098
; %bb.3097:                             ;   in Loop: Header=BB6_2666 Depth=4
	v_ffbh_u32_e32 v36, v35
	v_min_u32_e32 v36, 32, v36
	v_mov_b32_e32 v2, v34
	v_subrev_u32_e32 v37, 29, v36
	v_bfe_u32 v32, v1, 2, 5
	v_lshlrev_b64 v[1:2], v37, v[1:2]
	v_sub_u32_e32 v2, 30, v36
	v_cmp_eq_u32_e64 s[28:29], 0, v32
	v_cndmask_b32_e64 v2, v32, v2, s[28:29]
	v_lshlrev_b32_e32 v32, 16, v33
	v_and_b32_e32 v1, 3, v1
	v_and_b32_e32 v32, 0x80000000, v32
	v_cndmask_b32_e64 v1, v35, v1, s[28:29]
	v_lshl_add_u32 v2, v2, 23, v32
	v_lshl_or_b32 v1, v1, 21, v2
	v_add_u32_e32 v32, 0x38000000, v1
                                        ; implicit-def: $vgpr35
.LBB6_3098:                             ;   in Loop: Header=BB6_2666 Depth=4
	s_andn2_saveexec_b64 s[38:39], s[38:39]
; %bb.3099:                             ;   in Loop: Header=BB6_2666 Depth=4
	v_cmp_lt_i16_e64 s[28:29], -1, v33
	v_mov_b32_e32 v1, 0xff800000
	v_mov_b32_e32 v2, 0x7f800000
	v_cndmask_b32_e64 v1, v1, v2, s[28:29]
	v_cmp_eq_u32_e64 s[28:29], 0, v35
	v_mov_b32_e32 v2, 0x7f800001
	v_cndmask_b32_e64 v32, v2, v1, s[28:29]
; %bb.3100:                             ;   in Loop: Header=BB6_2666 Depth=4
	s_or_b64 exec, exec, s[38:39]
.LBB6_3101:                             ;   in Loop: Header=BB6_2666 Depth=4
	s_or_b64 exec, exec, s[42:43]
.LBB6_3102:                             ;   in Loop: Header=BB6_2666 Depth=4
	s_or_b64 exec, exec, s[40:41]
	v_lshrrev_b16_e32 v1, 8, v0
	v_cmp_lt_i16_e64 s[28:29], s83, v1
	s_mov_b64 s[40:41], 0
	s_and_saveexec_b64 s[42:43], s[28:29]
	s_xor_b64 s[42:43], exec, s[42:43]
	s_cbranch_execz .LBB6_3205
; %bb.3103:                             ;   in Loop: Header=BB6_2666 Depth=4
	v_cmp_eq_u16_e64 s[28:29], s44, v1
	s_mov_b64 s[40:41], -1
	s_and_saveexec_b64 s[38:39], s[28:29]
; %bb.3104:                             ;   in Loop: Header=BB6_2666 Depth=4
	s_xor_b64 s[40:41], exec, -1
; %bb.3105:                             ;   in Loop: Header=BB6_2666 Depth=4
	s_or_b64 exec, exec, s[38:39]
	s_and_b64 s[40:41], s[40:41], exec
	s_or_saveexec_b64 s[42:43], s[42:43]
	v_bfrev_b32_e32 v2, 1
	s_xor_b64 exec, exec, s[42:43]
	s_cbranch_execnz .LBB6_3206
.LBB6_3106:                             ;   in Loop: Header=BB6_2666 Depth=4
	s_or_b64 exec, exec, s[42:43]
	s_and_saveexec_b64 s[38:39], s[40:41]
	s_cbranch_execz .LBB6_3108
.LBB6_3107:                             ;   in Loop: Header=BB6_2666 Depth=4
	v_and_b32_e32 v33, 3, v1
	v_and_b32_e32 v35, 0x7c, v1
	v_cmp_eq_u32_e64 s[28:29], s81, v35
	v_ffbh_u32_e32 v35, v33
	v_min_u32_e32 v38, 32, v35
	v_mov_b32_e32 v2, v34
	v_subrev_u32_e32 v35, 29, v38
	v_bfe_u32 v37, v1, 2, 5
	v_lshlrev_b64 v[35:36], v35, v[1:2]
	v_cmp_eq_u32_e64 s[40:41], 0, v37
	v_sub_u32_e32 v2, 30, v38
	v_lshlrev_b32_e32 v1, 24, v1
	v_and_b32_e32 v35, 3, v35
	v_cndmask_b32_e64 v2, v37, v2, s[40:41]
	v_and_b32_e32 v1, 0x80000000, v1
	v_cndmask_b32_e64 v35, v33, v35, s[40:41]
	v_lshl_add_u32 v1, v2, 23, v1
	v_cmp_lt_i16_e64 s[42:43], -1, v0
	v_mov_b32_e32 v0, 0xff800000
	v_mov_b32_e32 v2, 0x7f800000
	v_lshl_or_b32 v1, v35, 21, v1
	v_cmp_eq_u32_e64 s[40:41], 0, v33
	v_cndmask_b32_e64 v0, v0, v2, s[42:43]
	v_mov_b32_e32 v2, 0x7f800001
	v_add_u32_e32 v1, 0x38000000, v1
	v_cndmask_b32_e64 v0, v2, v0, s[40:41]
	v_cndmask_b32_e64 v2, v1, v0, s[28:29]
.LBB6_3108:                             ;   in Loop: Header=BB6_2666 Depth=4
	s_or_b64 exec, exec, s[38:39]
	v_mul_f32_e32 v0, v32, v2
	v_and_b32_e32 v1, 0x7f800000, v0
	v_mov_b32_e32 v2, v34
	v_cmp_ne_u64_e64 s[28:29], s[76:77], v[1:2]
	v_and_b32_e32 v33, 0x7fffff, v0
                                        ; implicit-def: $vgpr32
	s_and_saveexec_b64 s[40:41], s[28:29]
	s_xor_b64 s[42:43], exec, s[40:41]
	s_cbranch_execz .LBB6_3122
; %bb.3109:                             ;   in Loop: Header=BB6_2666 Depth=4
	v_and_b32_e32 v1, 0x7fffffff, v0
	v_mov_b32_e32 v2, v34
	v_cmp_gt_u64_e64 s[28:29], s[78:79], v[1:2]
	v_and_b32_sdwa v35, v0, s44 dst_sel:DWORD dst_unused:UNUSED_PAD src0_sel:BYTE_3 src1_sel:DWORD
                                        ; implicit-def: $vgpr32
	s_and_saveexec_b64 s[40:41], s[28:29]
	s_xor_b64 s[38:39], exec, s[40:41]
	s_cbranch_execz .LBB6_3119
; %bb.3110:                             ;   in Loop: Header=BB6_2666 Depth=4
	v_mov_b32_e32 v32, 0
	v_cmp_ne_u32_e64 s[28:29], 0, v0
	s_and_saveexec_b64 s[48:49], s[28:29]
	s_cbranch_execz .LBB6_3118
; %bb.3111:                             ;   in Loop: Header=BB6_2666 Depth=4
	v_bfe_u32 v32, v0, 23, 8
	v_cmp_gt_u32_e64 s[40:41], s45, v32
	v_sub_u32_e32 v0, 0x71, v32
	v_cmp_eq_u32_e64 s[28:29], 0, v32
	v_cndmask_b32_e64 v0, 0, v0, s[40:41]
	v_mov_b32_e32 v2, 0x70
	v_cndmask_b32_e64 v36, v0, v2, s[28:29]
	v_add_u32_e32 v2, 21, v36
	v_or_b32_e32 v1, 0x800000, v33
	v_lshlrev_b64 v[37:38], v2, -1
	v_cndmask_b32_e64 v0, v1, v33, s[28:29]
	v_mov_b32_e32 v1, v34
	v_add_u32_e32 v2, 20, v36
	v_bfi_b32 v37, v37, 0, v0
	v_lshlrev_b64 v[48:49], v2, 1
	v_lshrrev_b64 v[0:1], v36, v[0:1]
	v_bfi_b32 v38, v38, 0, 0
	v_cmp_eq_u64_e64 s[40:41], v[37:38], v[48:49]
	v_mov_b32_e32 v2, v1
	v_mov_b32_e32 v1, v0
	s_and_saveexec_b64 s[50:51], s[40:41]
; %bb.3112:                             ;   in Loop: Header=BB6_2666 Depth=4
	v_bfe_u32 v1, v0, 21, 1
	v_add_co_u32_e64 v1, s[40:41], v0, v1
	v_add_co_u32_e64 v1, s[40:41], -1, v1
; %bb.3113:                             ;   in Loop: Header=BB6_2666 Depth=4
	s_or_b64 exec, exec, s[50:51]
	v_add_u32_e32 v2, 0xffffff81, v32
	v_mov_b32_e32 v32, 0xffffff82
	v_cndmask_b32_e64 v2, v2, v32, s[28:29]
	v_lshrrev_b32_e32 v32, 23, v0
	v_add3_u32 v36, v36, v2, v32
	v_add_u32_e32 v32, 14, v36
	v_and_b32_e32 v1, 0x1fffff, v1
	v_add_u32_e32 v33, v1, v0
	v_cmp_ne_u32_e64 s[28:29], 0, v32
                                        ; implicit-def: $vgpr0_vgpr1
                                        ; implicit-def: $vgpr2
	s_and_saveexec_b64 s[40:41], s[28:29]
	s_xor_b64 s[40:41], exec, s[40:41]
; %bb.3114:                             ;   in Loop: Header=BB6_2666 Depth=4
	v_cmp_lt_u64_e64 s[28:29], s[88:89], v[33:34]
	v_add_u32_e32 v0, 15, v36
	v_cndmask_b32_e64 v2, v32, v0, s[28:29]
	v_cndmask_b32_e64 v0, 0, 1, s[28:29]
	v_lshrrev_b64 v[0:1], v0, v[33:34]
; %bb.3115:                             ;   in Loop: Header=BB6_2666 Depth=4
	s_andn2_saveexec_b64 s[28:29], s[40:41]
; %bb.3116:                             ;   in Loop: Header=BB6_2666 Depth=4
	v_mov_b32_e32 v0, v33
	v_mov_b32_e32 v1, v34
	v_bfe_u32 v2, v33, 23, 1
; %bb.3117:                             ;   in Loop: Header=BB6_2666 Depth=4
	s_or_b64 exec, exec, s[28:29]
	v_lshrrev_b64 v[0:1], 21, v[0:1]
	v_cmp_gt_i32_e64 s[28:29], 32, v2
	v_cndmask_b32_e64 v1, 0, v1, s[28:29]
	v_cndmask_b32_e64 v0, 3, v0, s[28:29]
	v_cmp_eq_u64_e64 s[40:41], 0, v[0:1]
	v_min_i32_e32 v1, 31, v2
	v_lshlrev_b32_e32 v1, 2, v1
	v_cmp_eq_u32_e64 s[28:29], 0, v2
	v_and_b32_e32 v1, 0xfc, v1
	v_and_or_b32 v0, v0, 3, v1
	s_and_b64 s[28:29], s[28:29], s[40:41]
	v_cndmask_b32_e64 v0, v0, 0, s[28:29]
	v_or_b32_e32 v32, v0, v35
.LBB6_3118:                             ;   in Loop: Header=BB6_2666 Depth=4
	s_or_b64 exec, exec, s[48:49]
                                        ; implicit-def: $vgpr35
.LBB6_3119:                             ;   in Loop: Header=BB6_2666 Depth=4
	s_andn2_saveexec_b64 s[28:29], s[38:39]
; %bb.3120:                             ;   in Loop: Header=BB6_2666 Depth=4
	v_or_b32_e32 v32, 0x7b, v35
; %bb.3121:                             ;   in Loop: Header=BB6_2666 Depth=4
	s_or_b64 exec, exec, s[28:29]
                                        ; implicit-def: $vgpr0
.LBB6_3122:                             ;   in Loop: Header=BB6_2666 Depth=4
	s_andn2_saveexec_b64 s[40:41], s[42:43]
	s_cbranch_execz .LBB6_3128
; %bb.3123:                             ;   in Loop: Header=BB6_2666 Depth=4
	v_cmp_ne_u64_e64 s[28:29], 0, v[33:34]
                                        ; implicit-def: $vgpr32
	s_and_saveexec_b64 s[42:43], s[28:29]
	s_xor_b64 s[28:29], exec, s[42:43]
; %bb.3124:                             ;   in Loop: Header=BB6_2666 Depth=4
	v_or_b32_sdwa v32, v0, s83 dst_sel:DWORD dst_unused:UNUSED_PAD src0_sel:BYTE_3 src1_sel:DWORD
                                        ; implicit-def: $vgpr0
; %bb.3125:                             ;   in Loop: Header=BB6_2666 Depth=4
	s_andn2_saveexec_b64 s[42:43], s[28:29]
; %bb.3126:                             ;   in Loop: Header=BB6_2666 Depth=4
	v_cmp_lt_i32_e64 s[28:29], -1, v0
	v_bfrev_b32_e32 v0, 0.5
	v_mov_b32_e32 v1, 0x7c
	v_cndmask_b32_e64 v32, v0, v1, s[28:29]
; %bb.3127:                             ;   in Loop: Header=BB6_2666 Depth=4
	s_or_b64 exec, exec, s[42:43]
.LBB6_3128:                             ;   in Loop: Header=BB6_2666 Depth=4
	s_or_b64 exec, exec, s[40:41]
	v_lshrrev_b32_e32 v0, 16, v15
	v_cmp_ne_u16_sdwa s[28:29], v0, v34 src0_sel:BYTE_0 src1_sel:DWORD
	v_mov_b32_e32 v1, 0
	s_and_saveexec_b64 s[40:41], s[28:29]
	s_cbranch_execz .LBB6_3136
; %bb.3129:                             ;   in Loop: Header=BB6_2666 Depth=4
	v_cmp_ne_u16_sdwa s[28:29], v0, s44 src0_sel:BYTE_0 src1_sel:DWORD
	v_bfrev_b32_e32 v1, 1
	s_and_saveexec_b64 s[42:43], s[28:29]
	s_cbranch_execz .LBB6_3135
; %bb.3130:                             ;   in Loop: Header=BB6_2666 Depth=4
	v_and_b32_e32 v1, 0x7c0000, v15
	v_bfe_u32 v2, v15, 16, 2
	v_cmp_ne_u32_e64 s[28:29], s9, v1
                                        ; implicit-def: $vgpr1
	s_and_saveexec_b64 s[38:39], s[28:29]
	s_xor_b64 s[38:39], exec, s[38:39]
	s_cbranch_execz .LBB6_3132
; %bb.3131:                             ;   in Loop: Header=BB6_2666 Depth=4
	v_ffbh_u32_e32 v1, v2
	v_min_u32_e32 v35, 32, v1
	v_subrev_u32_e32 v1, 29, v35
	v_lshlrev_b64 v[0:1], v1, v[0:1]
	v_bfe_u32 v33, v15, 18, 5
	v_and_b32_e32 v0, 3, v0
	v_cmp_eq_u32_e64 s[28:29], 0, v33
	v_sub_u32_e32 v1, 30, v35
	v_cndmask_b32_e64 v0, v2, v0, s[28:29]
	v_lshlrev_b32_e32 v2, 8, v15
	v_cndmask_b32_e64 v1, v33, v1, s[28:29]
	v_and_b32_e32 v2, 0x80000000, v2
	v_lshl_add_u32 v1, v1, 23, v2
	v_lshl_or_b32 v0, v0, 21, v1
	v_add_u32_e32 v1, 0x38000000, v0
                                        ; implicit-def: $vgpr2
                                        ; implicit-def: $vgpr0
.LBB6_3132:                             ;   in Loop: Header=BB6_2666 Depth=4
	s_andn2_saveexec_b64 s[38:39], s[38:39]
; %bb.3133:                             ;   in Loop: Header=BB6_2666 Depth=4
	v_mov_b32_e32 v1, -1
	v_cmp_gt_i16_sdwa s[28:29], sext(v0), v1 src0_sel:BYTE_0 src1_sel:DWORD
	v_mov_b32_e32 v0, 0xff800000
	v_mov_b32_e32 v1, 0x7f800000
	v_cndmask_b32_e64 v0, v0, v1, s[28:29]
	v_cmp_eq_u32_e64 s[28:29], 0, v2
	v_mov_b32_e32 v1, 0x7f800001
	v_cndmask_b32_e64 v1, v1, v0, s[28:29]
; %bb.3134:                             ;   in Loop: Header=BB6_2666 Depth=4
	s_or_b64 exec, exec, s[38:39]
.LBB6_3135:                             ;   in Loop: Header=BB6_2666 Depth=4
	s_or_b64 exec, exec, s[42:43]
.LBB6_3136:                             ;   in Loop: Header=BB6_2666 Depth=4
	s_or_b64 exec, exec, s[40:41]
	v_lshrrev_b32_e32 v0, 16, v11
	v_cmp_gt_i16_sdwa s[40:41], v0, s83 src0_sel:BYTE_0 src1_sel:DWORD
	s_mov_b64 s[28:29], 0
	s_and_saveexec_b64 s[42:43], s[40:41]
	s_xor_b64 s[40:41], exec, s[42:43]
	s_cbranch_execz .LBB6_3207
; %bb.3137:                             ;   in Loop: Header=BB6_2666 Depth=4
	v_cmp_eq_u16_sdwa s[38:39], v0, s44 src0_sel:BYTE_0 src1_sel:DWORD
	s_mov_b64 s[28:29], -1
	s_and_saveexec_b64 s[42:43], s[38:39]
; %bb.3138:                             ;   in Loop: Header=BB6_2666 Depth=4
	s_xor_b64 s[28:29], exec, -1
; %bb.3139:                             ;   in Loop: Header=BB6_2666 Depth=4
	s_or_b64 exec, exec, s[42:43]
	s_and_b64 s[28:29], s[28:29], exec
	s_or_saveexec_b64 s[40:41], s[40:41]
	v_bfrev_b32_e32 v2, 1
	s_xor_b64 exec, exec, s[40:41]
	s_cbranch_execnz .LBB6_3208
.LBB6_3140:                             ;   in Loop: Header=BB6_2666 Depth=4
	s_or_b64 exec, exec, s[40:41]
	s_and_saveexec_b64 s[38:39], s[28:29]
	s_cbranch_execz .LBB6_3142
.LBB6_3141:                             ;   in Loop: Header=BB6_2666 Depth=4
	v_and_b32_e32 v2, 3, v0
	v_and_b32_e32 v35, 0x7c0000, v11
	v_cmp_eq_u32_e64 s[28:29], s9, v35
	v_ffbh_u32_e32 v35, v2
	v_min_u32_e32 v37, 32, v35
	v_subrev_u32_e32 v35, 29, v37
	v_bfe_u32 v33, v11, 18, 5
	v_lshlrev_b64 v[35:36], v35, v[0:1]
	v_cmp_eq_u32_e64 s[40:41], 0, v33
	v_sub_u32_e32 v36, 30, v37
	v_and_b32_e32 v35, 3, v35
	v_cndmask_b32_e64 v33, v33, v36, s[40:41]
	v_lshlrev_b32_e32 v36, 24, v0
	v_cndmask_b32_e64 v35, v2, v35, s[40:41]
	v_and_b32_e32 v36, 0x80000000, v36
	v_cmp_eq_u32_e64 s[40:41], 0, v2
	v_mov_b32_e32 v2, -1
	v_lshl_add_u32 v33, v33, 23, v36
	v_cmp_gt_i16_sdwa s[42:43], sext(v0), v2 src0_sel:BYTE_0 src1_sel:DWORD
	v_mov_b32_e32 v0, 0xff800000
	v_mov_b32_e32 v2, 0x7f800000
	v_lshl_or_b32 v33, v35, 21, v33
	v_cndmask_b32_e64 v0, v0, v2, s[42:43]
	v_mov_b32_e32 v2, 0x7f800001
	v_add_u32_e32 v33, 0x38000000, v33
	v_cndmask_b32_e64 v0, v2, v0, s[40:41]
	v_cndmask_b32_e64 v2, v33, v0, s[28:29]
.LBB6_3142:                             ;   in Loop: Header=BB6_2666 Depth=4
	s_or_b64 exec, exec, s[38:39]
	v_mul_f32_e32 v0, v1, v2
	v_and_b32_e32 v1, 0x7f800000, v0
	v_mov_b32_e32 v2, v34
	v_cmp_ne_u64_e64 s[28:29], s[76:77], v[1:2]
	v_and_b32_e32 v33, 0x7fffff, v0
                                        ; implicit-def: $vgpr35
	s_and_saveexec_b64 s[40:41], s[28:29]
	s_xor_b64 s[42:43], exec, s[40:41]
	s_cbranch_execz .LBB6_3156
; %bb.3143:                             ;   in Loop: Header=BB6_2666 Depth=4
	v_and_b32_e32 v1, 0x7fffffff, v0
	v_mov_b32_e32 v2, v34
	v_cmp_gt_u64_e64 s[28:29], s[78:79], v[1:2]
	v_and_b32_sdwa v36, v0, s44 dst_sel:DWORD dst_unused:UNUSED_PAD src0_sel:BYTE_3 src1_sel:DWORD
                                        ; implicit-def: $vgpr35
	s_and_saveexec_b64 s[40:41], s[28:29]
	s_xor_b64 s[38:39], exec, s[40:41]
	s_cbranch_execz .LBB6_3153
; %bb.3144:                             ;   in Loop: Header=BB6_2666 Depth=4
	v_mov_b32_e32 v35, 0
	v_cmp_ne_u32_e64 s[28:29], 0, v0
	s_and_saveexec_b64 s[48:49], s[28:29]
	s_cbranch_execz .LBB6_3152
; %bb.3145:                             ;   in Loop: Header=BB6_2666 Depth=4
	v_bfe_u32 v35, v0, 23, 8
	v_cmp_gt_u32_e64 s[40:41], s45, v35
	v_sub_u32_e32 v0, 0x71, v35
	v_cmp_eq_u32_e64 s[28:29], 0, v35
	v_cndmask_b32_e64 v0, 0, v0, s[40:41]
	v_mov_b32_e32 v2, 0x70
	v_cndmask_b32_e64 v37, v0, v2, s[28:29]
	v_add_u32_e32 v2, 21, v37
	v_or_b32_e32 v1, 0x800000, v33
	v_lshlrev_b64 v[38:39], v2, -1
	v_cndmask_b32_e64 v0, v1, v33, s[28:29]
	v_mov_b32_e32 v1, v34
	v_add_u32_e32 v2, 20, v37
	v_bfi_b32 v38, v38, 0, v0
	v_lshlrev_b64 v[48:49], v2, 1
	v_lshrrev_b64 v[0:1], v37, v[0:1]
	v_bfi_b32 v39, v39, 0, 0
	v_cmp_eq_u64_e64 s[40:41], v[38:39], v[48:49]
	v_mov_b32_e32 v2, v1
	v_mov_b32_e32 v1, v0
	s_and_saveexec_b64 s[50:51], s[40:41]
; %bb.3146:                             ;   in Loop: Header=BB6_2666 Depth=4
	v_bfe_u32 v1, v0, 21, 1
	v_add_co_u32_e64 v1, s[40:41], v0, v1
	v_add_co_u32_e64 v1, s[40:41], -1, v1
; %bb.3147:                             ;   in Loop: Header=BB6_2666 Depth=4
	s_or_b64 exec, exec, s[50:51]
	v_add_u32_e32 v2, 0xffffff81, v35
	v_mov_b32_e32 v33, 0xffffff82
	v_cndmask_b32_e64 v2, v2, v33, s[28:29]
	v_lshrrev_b32_e32 v33, 23, v0
	v_add3_u32 v37, v37, v2, v33
	v_add_u32_e32 v35, 14, v37
	v_and_b32_e32 v1, 0x1fffff, v1
	v_add_u32_e32 v33, v1, v0
	v_cmp_ne_u32_e64 s[28:29], 0, v35
                                        ; implicit-def: $vgpr0_vgpr1
                                        ; implicit-def: $vgpr2
	s_and_saveexec_b64 s[40:41], s[28:29]
	s_xor_b64 s[40:41], exec, s[40:41]
; %bb.3148:                             ;   in Loop: Header=BB6_2666 Depth=4
	v_cmp_lt_u64_e64 s[28:29], s[88:89], v[33:34]
	v_add_u32_e32 v0, 15, v37
	v_cndmask_b32_e64 v2, v35, v0, s[28:29]
	v_cndmask_b32_e64 v0, 0, 1, s[28:29]
	v_lshrrev_b64 v[0:1], v0, v[33:34]
; %bb.3149:                             ;   in Loop: Header=BB6_2666 Depth=4
	s_or_saveexec_b64 s[28:29], s[40:41]
	buffer_load_dword v39, off, s[0:3], s33 offset:100 ; 4-byte Folded Reload
	s_xor_b64 exec, exec, s[28:29]
; %bb.3150:                             ;   in Loop: Header=BB6_2666 Depth=4
	v_mov_b32_e32 v0, v33
	v_mov_b32_e32 v1, v34
	v_bfe_u32 v2, v33, 23, 1
; %bb.3151:                             ;   in Loop: Header=BB6_2666 Depth=4
	s_or_b64 exec, exec, s[28:29]
	v_lshrrev_b64 v[0:1], 21, v[0:1]
	v_cmp_gt_i32_e64 s[28:29], 32, v2
	v_cndmask_b32_e64 v1, 0, v1, s[28:29]
	v_cndmask_b32_e64 v0, 3, v0, s[28:29]
	v_cmp_eq_u64_e64 s[40:41], 0, v[0:1]
	v_min_i32_e32 v1, 31, v2
	v_lshlrev_b32_e32 v1, 2, v1
	v_cmp_eq_u32_e64 s[28:29], 0, v2
	v_and_b32_e32 v1, 0xfc, v1
	v_and_or_b32 v0, v0, 3, v1
	s_and_b64 s[28:29], s[28:29], s[40:41]
	v_cndmask_b32_e64 v0, v0, 0, s[28:29]
	v_or_b32_e32 v35, v0, v36
.LBB6_3152:                             ;   in Loop: Header=BB6_2666 Depth=4
	s_or_b64 exec, exec, s[48:49]
                                        ; implicit-def: $vgpr36
.LBB6_3153:                             ;   in Loop: Header=BB6_2666 Depth=4
	s_andn2_saveexec_b64 s[28:29], s[38:39]
; %bb.3154:                             ;   in Loop: Header=BB6_2666 Depth=4
	v_or_b32_e32 v35, 0x7b, v36
; %bb.3155:                             ;   in Loop: Header=BB6_2666 Depth=4
	s_or_b64 exec, exec, s[28:29]
                                        ; implicit-def: $vgpr0
.LBB6_3156:                             ;   in Loop: Header=BB6_2666 Depth=4
	s_andn2_saveexec_b64 s[40:41], s[42:43]
	s_cbranch_execz .LBB6_3162
; %bb.3157:                             ;   in Loop: Header=BB6_2666 Depth=4
	v_cmp_ne_u64_e64 s[28:29], 0, v[33:34]
                                        ; implicit-def: $vgpr35
	s_and_saveexec_b64 s[42:43], s[28:29]
	s_xor_b64 s[28:29], exec, s[42:43]
; %bb.3158:                             ;   in Loop: Header=BB6_2666 Depth=4
	v_or_b32_sdwa v35, v0, s83 dst_sel:DWORD dst_unused:UNUSED_PAD src0_sel:BYTE_3 src1_sel:DWORD
                                        ; implicit-def: $vgpr0
; %bb.3159:                             ;   in Loop: Header=BB6_2666 Depth=4
	s_andn2_saveexec_b64 s[42:43], s[28:29]
; %bb.3160:                             ;   in Loop: Header=BB6_2666 Depth=4
	v_cmp_lt_i32_e64 s[28:29], -1, v0
	v_bfrev_b32_e32 v0, 0.5
	v_mov_b32_e32 v1, 0x7c
	v_cndmask_b32_e64 v35, v0, v1, s[28:29]
; %bb.3161:                             ;   in Loop: Header=BB6_2666 Depth=4
	s_or_b64 exec, exec, s[42:43]
.LBB6_3162:                             ;   in Loop: Header=BB6_2666 Depth=4
	s_or_b64 exec, exec, s[40:41]
	v_cmp_lt_u64_e64 s[28:29], s[56:57], v[14:15]
	v_mov_b32_e32 v1, 0
	s_and_saveexec_b64 s[40:41], s[28:29]
	s_cbranch_execz .LBB6_3170
; %bb.3163:                             ;   in Loop: Header=BB6_2666 Depth=4
	v_lshrrev_b32_e32 v0, 24, v15
	v_cmp_ne_u32_e64 s[28:29], s44, v0
	v_bfrev_b32_e32 v1, 1
	s_and_saveexec_b64 s[42:43], s[28:29]
	s_cbranch_execz .LBB6_3169
; %bb.3164:                             ;   in Loop: Header=BB6_2666 Depth=4
	v_and_b32_e32 v1, 0x7c000000, v15
	v_bfe_u32 v2, v15, 24, 2
	v_cmp_ne_u32_e64 s[28:29], s8, v1
                                        ; implicit-def: $vgpr1
	s_and_saveexec_b64 s[38:39], s[28:29]
	s_xor_b64 s[38:39], exec, s[38:39]
	s_cbranch_execz .LBB6_3166
; %bb.3165:                             ;   in Loop: Header=BB6_2666 Depth=4
	v_ffbh_u32_e32 v1, v2
	v_min_u32_e32 v33, 32, v1
	v_subrev_u32_e32 v1, 29, v33
	v_lshlrev_b64 v[0:1], v1, v[0:1]
	v_bfe_u32 v14, v15, 26, 5
	v_sub_u32_e32 v1, 30, v33
	v_and_b32_e32 v0, 3, v0
	v_cmp_eq_u32_e64 s[28:29], 0, v14
	v_cndmask_b32_e64 v1, v14, v1, s[28:29]
	v_cndmask_b32_e64 v0, v2, v0, s[28:29]
	v_and_b32_e32 v2, 0x80000000, v15
	v_lshl_add_u32 v1, v1, 23, v2
	v_lshl_or_b32 v0, v0, 21, v1
	v_add_u32_e32 v1, 0x38000000, v0
                                        ; implicit-def: $vgpr2
                                        ; implicit-def: $vgpr14_vgpr15
.LBB6_3166:                             ;   in Loop: Header=BB6_2666 Depth=4
	s_andn2_saveexec_b64 s[38:39], s[38:39]
; %bb.3167:                             ;   in Loop: Header=BB6_2666 Depth=4
	v_cmp_lt_i64_e64 s[28:29], -1, v[14:15]
	v_mov_b32_e32 v0, 0xff800000
	v_mov_b32_e32 v1, 0x7f800000
	v_cndmask_b32_e64 v0, v0, v1, s[28:29]
	v_cmp_eq_u32_e64 s[28:29], 0, v2
	v_mov_b32_e32 v1, 0x7f800001
	v_cndmask_b32_e64 v1, v1, v0, s[28:29]
; %bb.3168:                             ;   in Loop: Header=BB6_2666 Depth=4
	s_or_b64 exec, exec, s[38:39]
.LBB6_3169:                             ;   in Loop: Header=BB6_2666 Depth=4
	s_or_b64 exec, exec, s[42:43]
.LBB6_3170:                             ;   in Loop: Header=BB6_2666 Depth=4
	s_or_b64 exec, exec, s[40:41]
	v_bfe_u32 v2, v11, 24, 2
	v_and_b32_e32 v14, 0x7c000000, v11
	v_cmp_eq_u32_e64 s[28:29], s8, v14
	v_ffbh_u32_e32 v14, v2
	v_min_u32_e32 v36, 32, v14
	v_lshrrev_b32_e32 v0, 24, v11
	v_subrev_u32_e32 v14, 29, v36
	v_bfe_u32 v33, v11, 26, 5
	v_lshlrev_b64 v[14:15], v14, v[0:1]
	v_cmp_eq_u32_e64 s[40:41], 0, v33
	v_sub_u32_e32 v15, 30, v36
	v_and_b32_e32 v14, 3, v14
	v_cndmask_b32_e64 v15, v33, v15, s[40:41]
	v_and_b32_e32 v33, 0x80000000, v11
	v_cndmask_b32_e64 v14, v2, v14, s[40:41]
	v_lshl_add_u32 v15, v15, 23, v33
	v_cmp_lt_i64_e64 s[42:43], -1, v[10:11]
	v_lshl_or_b32 v14, v14, 21, v15
	v_cmp_eq_u32_e64 s[40:41], 0, v2
	v_mov_b32_e32 v2, 0xff800000
	v_mov_b32_e32 v15, 0x7f800000
	v_cndmask_b32_e64 v2, v2, v15, s[42:43]
	v_mov_b32_e32 v15, 0x7f800001
	v_add_u32_e32 v14, 0x38000000, v14
	v_cndmask_b32_e64 v2, v15, v2, s[40:41]
	v_cndmask_b32_e64 v2, v14, v2, s[28:29]
	v_cmp_ne_u32_e64 s[28:29], s44, v0
	v_bfrev_b32_e32 v0, 1
	v_cndmask_b32_e64 v0, v0, v2, s[28:29]
	v_cmp_lt_u64_e64 s[28:29], s[56:57], v[10:11]
	v_mov_b32_e32 v11, v34
	v_cndmask_b32_e64 v0, 0, v0, s[28:29]
	v_mul_f32_e32 v1, v0, v1
	v_and_b32_e32 v10, 0x7f800000, v1
	v_cmp_ne_u64_e64 s[28:29], s[76:77], v[10:11]
	v_and_b32_e32 v33, 0x7fffff, v1
                                        ; implicit-def: $vgpr0
	s_and_saveexec_b64 s[40:41], s[28:29]
	s_xor_b64 s[42:43], exec, s[40:41]
	s_cbranch_execz .LBB6_3184
; %bb.3171:                             ;   in Loop: Header=BB6_2666 Depth=4
	v_and_b32_e32 v10, 0x7fffffff, v1
	v_mov_b32_e32 v11, v34
	v_cmp_gt_u64_e64 s[28:29], s[78:79], v[10:11]
	v_and_b32_sdwa v10, v1, s44 dst_sel:DWORD dst_unused:UNUSED_PAD src0_sel:BYTE_3 src1_sel:DWORD
                                        ; implicit-def: $vgpr0
	s_and_saveexec_b64 s[40:41], s[28:29]
	s_xor_b64 s[38:39], exec, s[40:41]
	s_cbranch_execz .LBB6_3181
; %bb.3172:                             ;   in Loop: Header=BB6_2666 Depth=4
	v_mov_b32_e32 v0, 0
	v_cmp_ne_u32_e64 s[28:29], 0, v1
	s_and_saveexec_b64 s[48:49], s[28:29]
	s_cbranch_execz .LBB6_3180
; %bb.3173:                             ;   in Loop: Header=BB6_2666 Depth=4
	v_bfe_u32 v11, v1, 23, 8
	v_cmp_gt_u32_e64 s[40:41], s45, v11
	v_sub_u32_e32 v0, 0x71, v11
	v_cmp_eq_u32_e64 s[28:29], 0, v11
	v_cndmask_b32_e64 v0, 0, v0, s[40:41]
	v_mov_b32_e32 v2, 0x70
	v_cndmask_b32_e64 v14, v0, v2, s[28:29]
	v_add_u32_e32 v2, 21, v14
	v_or_b32_e32 v1, 0x800000, v33
	v_lshlrev_b64 v[36:37], v2, -1
	v_cndmask_b32_e64 v0, v1, v33, s[28:29]
	v_mov_b32_e32 v1, v34
	v_add_u32_e32 v2, 20, v14
	v_bfi_b32 v36, v36, 0, v0
	s_waitcnt vmcnt(0)
	v_lshlrev_b64 v[38:39], v2, 1
	v_lshrrev_b64 v[0:1], v14, v[0:1]
	v_bfi_b32 v37, v37, 0, 0
	v_cmp_eq_u64_e64 s[40:41], v[36:37], v[38:39]
	v_mov_b32_e32 v2, v1
	v_mov_b32_e32 v1, v0
	s_and_saveexec_b64 s[50:51], s[40:41]
; %bb.3174:                             ;   in Loop: Header=BB6_2666 Depth=4
	v_bfe_u32 v1, v0, 21, 1
	v_add_co_u32_e64 v1, s[40:41], v0, v1
	v_add_co_u32_e64 v1, s[40:41], -1, v1
; %bb.3175:                             ;   in Loop: Header=BB6_2666 Depth=4
	s_or_b64 exec, exec, s[50:51]
	v_add_u32_e32 v2, 0xffffff81, v11
	v_mov_b32_e32 v11, 0xffffff82
	v_cndmask_b32_e64 v2, v2, v11, s[28:29]
	v_lshrrev_b32_e32 v11, 23, v0
	v_add3_u32 v14, v14, v2, v11
	v_add_u32_e32 v11, 14, v14
	v_and_b32_e32 v1, 0x1fffff, v1
	v_add_u32_e32 v33, v1, v0
	v_cmp_ne_u32_e64 s[28:29], 0, v11
                                        ; implicit-def: $vgpr0_vgpr1
                                        ; implicit-def: $vgpr2
	s_and_saveexec_b64 s[40:41], s[28:29]
	s_xor_b64 s[40:41], exec, s[40:41]
; %bb.3176:                             ;   in Loop: Header=BB6_2666 Depth=4
	v_cmp_lt_u64_e64 s[28:29], s[88:89], v[33:34]
	v_add_u32_e32 v0, 15, v14
	v_cndmask_b32_e64 v2, v11, v0, s[28:29]
	v_cndmask_b32_e64 v0, 0, 1, s[28:29]
	v_lshrrev_b64 v[0:1], v0, v[33:34]
; %bb.3177:                             ;   in Loop: Header=BB6_2666 Depth=4
	s_or_saveexec_b64 s[28:29], s[40:41]
	buffer_load_dword v39, off, s[0:3], s33 offset:100 ; 4-byte Folded Reload
	s_xor_b64 exec, exec, s[28:29]
; %bb.3178:                             ;   in Loop: Header=BB6_2666 Depth=4
	v_mov_b32_e32 v0, v33
	v_mov_b32_e32 v1, v34
	v_bfe_u32 v2, v33, 23, 1
; %bb.3179:                             ;   in Loop: Header=BB6_2666 Depth=4
	s_or_b64 exec, exec, s[28:29]
	v_lshrrev_b64 v[0:1], 21, v[0:1]
	v_cmp_gt_i32_e64 s[28:29], 32, v2
	v_cndmask_b32_e64 v1, 0, v1, s[28:29]
	v_cndmask_b32_e64 v0, 3, v0, s[28:29]
	v_cmp_eq_u64_e64 s[40:41], 0, v[0:1]
	v_min_i32_e32 v1, 31, v2
	v_lshlrev_b32_e32 v1, 2, v1
	v_cmp_eq_u32_e64 s[28:29], 0, v2
	v_and_b32_e32 v1, 0xfc, v1
	v_and_or_b32 v0, v0, 3, v1
	s_and_b64 s[28:29], s[28:29], s[40:41]
	v_cndmask_b32_e64 v0, v0, 0, s[28:29]
	v_or_b32_e32 v0, v0, v10
.LBB6_3180:                             ;   in Loop: Header=BB6_2666 Depth=4
	s_or_b64 exec, exec, s[48:49]
                                        ; implicit-def: $vgpr10
.LBB6_3181:                             ;   in Loop: Header=BB6_2666 Depth=4
	s_andn2_saveexec_b64 s[28:29], s[38:39]
; %bb.3182:                             ;   in Loop: Header=BB6_2666 Depth=4
	v_or_b32_e32 v0, 0x7b, v10
; %bb.3183:                             ;   in Loop: Header=BB6_2666 Depth=4
	s_or_b64 exec, exec, s[28:29]
                                        ; implicit-def: $vgpr1
.LBB6_3184:                             ;   in Loop: Header=BB6_2666 Depth=4
	s_andn2_saveexec_b64 s[40:41], s[42:43]
	s_cbranch_execz .LBB6_2665
; %bb.3185:                             ;   in Loop: Header=BB6_2666 Depth=4
	v_cmp_ne_u64_e64 s[28:29], 0, v[33:34]
                                        ; implicit-def: $vgpr0
	s_and_saveexec_b64 s[42:43], s[28:29]
	s_xor_b64 s[28:29], exec, s[42:43]
; %bb.3186:                             ;   in Loop: Header=BB6_2666 Depth=4
	v_or_b32_sdwa v0, v1, s83 dst_sel:DWORD dst_unused:UNUSED_PAD src0_sel:BYTE_3 src1_sel:DWORD
                                        ; implicit-def: $vgpr1
; %bb.3187:                             ;   in Loop: Header=BB6_2666 Depth=4
	s_andn2_saveexec_b64 s[42:43], s[28:29]
	s_cbranch_execz .LBB6_2664
; %bb.3188:                             ;   in Loop: Header=BB6_2666 Depth=4
	v_cmp_lt_i32_e64 s[28:29], -1, v1
	v_bfrev_b32_e32 v0, 0.5
	v_mov_b32_e32 v1, 0x7c
	v_cndmask_b32_e64 v0, v0, v1, s[28:29]
	s_branch .LBB6_2664
.LBB6_3189:                             ;   in Loop: Header=BB6_2666 Depth=4
	s_or_saveexec_b64 s[40:41], s[40:41]
	v_bfrev_b32_e32 v1, 1
	s_xor_b64 exec, exec, s[40:41]
	s_cbranch_execz .LBB6_2678
.LBB6_3190:                             ;   in Loop: Header=BB6_2666 Depth=4
	v_cmp_ne_u16_sdwa s[42:43], v8, v34 src0_sel:BYTE_0 src1_sel:DWORD
	s_andn2_b64 s[28:29], s[28:29], exec
	s_and_b64 s[42:43], s[42:43], exec
	v_mov_b32_e32 v1, 0
	s_or_b64 s[28:29], s[28:29], s[42:43]
	s_or_b64 exec, exec, s[40:41]
	s_and_saveexec_b64 s[38:39], s[28:29]
	s_cbranch_execnz .LBB6_2679
	s_branch .LBB6_2680
.LBB6_3191:                             ;   in Loop: Header=BB6_2666 Depth=4
	s_or_saveexec_b64 s[42:43], s[42:43]
	v_bfrev_b32_e32 v1, 1
	s_xor_b64 exec, exec, s[42:43]
	s_cbranch_execz .LBB6_2712
.LBB6_3192:                             ;   in Loop: Header=BB6_2666 Depth=4
	v_cmp_ne_u16_e64 s[28:29], 0, v0
	s_andn2_b64 s[40:41], s[40:41], exec
	s_and_b64 s[28:29], s[28:29], exec
	v_mov_b32_e32 v1, 0
	s_or_b64 s[40:41], s[40:41], s[28:29]
	s_or_b64 exec, exec, s[42:43]
	s_and_saveexec_b64 s[38:39], s[40:41]
	s_cbranch_execnz .LBB6_2713
	s_branch .LBB6_2714
.LBB6_3193:                             ;   in Loop: Header=BB6_2666 Depth=4
	s_or_saveexec_b64 s[40:41], s[40:41]
	v_bfrev_b32_e32 v2, 1
	s_xor_b64 exec, exec, s[40:41]
	s_cbranch_execz .LBB6_2746
.LBB6_3194:                             ;   in Loop: Header=BB6_2666 Depth=4
	v_cmp_ne_u16_sdwa s[42:43], v0, v34 src0_sel:BYTE_0 src1_sel:DWORD
	s_andn2_b64 s[28:29], s[28:29], exec
	s_and_b64 s[42:43], s[42:43], exec
	v_mov_b32_e32 v2, 0
	s_or_b64 s[28:29], s[28:29], s[42:43]
	s_or_b64 exec, exec, s[40:41]
	s_and_saveexec_b64 s[38:39], s[28:29]
	s_cbranch_execnz .LBB6_2747
	s_branch .LBB6_2748
.LBB6_3195:                             ;   in Loop: Header=BB6_2666 Depth=4
	s_or_saveexec_b64 s[42:43], s[42:43]
	v_bfrev_b32_e32 v2, 1
	s_xor_b64 exec, exec, s[42:43]
	s_cbranch_execz .LBB6_2844
.LBB6_3196:                             ;   in Loop: Header=BB6_2666 Depth=4
	v_cmp_ne_u16_e64 s[28:29], 0, v1
	s_andn2_b64 s[40:41], s[40:41], exec
	s_and_b64 s[28:29], s[28:29], exec
	v_mov_b32_e32 v2, 0
	s_or_b64 s[40:41], s[40:41], s[28:29]
	s_or_b64 exec, exec, s[42:43]
	s_and_saveexec_b64 s[38:39], s[40:41]
	s_cbranch_execnz .LBB6_2845
	s_branch .LBB6_2846
.LBB6_3197:                             ;   in Loop: Header=BB6_2666 Depth=4
	s_or_saveexec_b64 s[40:41], s[40:41]
	v_bfrev_b32_e32 v2, 1
	s_xor_b64 exec, exec, s[40:41]
	s_cbranch_execz .LBB6_2878
.LBB6_3198:                             ;   in Loop: Header=BB6_2666 Depth=4
	v_cmp_ne_u16_sdwa s[42:43], v0, v34 src0_sel:BYTE_0 src1_sel:DWORD
	s_andn2_b64 s[28:29], s[28:29], exec
	s_and_b64 s[42:43], s[42:43], exec
	v_mov_b32_e32 v2, 0
	s_or_b64 s[28:29], s[28:29], s[42:43]
	s_or_b64 exec, exec, s[40:41]
	s_and_saveexec_b64 s[38:39], s[28:29]
	s_cbranch_execnz .LBB6_2879
	s_branch .LBB6_2880
.LBB6_3199:                             ;   in Loop: Header=BB6_2666 Depth=4
	s_or_saveexec_b64 s[40:41], s[40:41]
	v_bfrev_b32_e32 v1, 1
	s_xor_b64 exec, exec, s[40:41]
	s_cbranch_execz .LBB6_2940
.LBB6_3200:                             ;   in Loop: Header=BB6_2666 Depth=4
	v_cmp_ne_u16_sdwa s[42:43], v10, v34 src0_sel:BYTE_0 src1_sel:DWORD
	s_andn2_b64 s[28:29], s[28:29], exec
	s_and_b64 s[42:43], s[42:43], exec
	v_mov_b32_e32 v1, 0
	s_or_b64 s[28:29], s[28:29], s[42:43]
	s_or_b64 exec, exec, s[40:41]
	s_and_saveexec_b64 s[38:39], s[28:29]
	s_cbranch_execnz .LBB6_2941
	s_branch .LBB6_2942
.LBB6_3201:                             ;   in Loop: Header=BB6_2666 Depth=4
	s_or_saveexec_b64 s[42:43], s[42:43]
	v_bfrev_b32_e32 v1, 1
	s_xor_b64 exec, exec, s[42:43]
	s_cbranch_execz .LBB6_2974
.LBB6_3202:                             ;   in Loop: Header=BB6_2666 Depth=4
	v_cmp_ne_u16_e64 s[28:29], 0, v0
	s_andn2_b64 s[40:41], s[40:41], exec
	s_and_b64 s[28:29], s[28:29], exec
	v_mov_b32_e32 v1, 0
	s_or_b64 s[40:41], s[40:41], s[28:29]
	s_or_b64 exec, exec, s[42:43]
	s_and_saveexec_b64 s[38:39], s[40:41]
	s_cbranch_execnz .LBB6_2975
	s_branch .LBB6_2976
.LBB6_3203:                             ;   in Loop: Header=BB6_2666 Depth=4
	s_or_saveexec_b64 s[40:41], s[40:41]
	v_bfrev_b32_e32 v2, 1
	s_xor_b64 exec, exec, s[40:41]
	s_cbranch_execz .LBB6_3008
.LBB6_3204:                             ;   in Loop: Header=BB6_2666 Depth=4
	v_cmp_ne_u16_sdwa s[42:43], v0, v34 src0_sel:BYTE_0 src1_sel:DWORD
	s_andn2_b64 s[28:29], s[28:29], exec
	s_and_b64 s[42:43], s[42:43], exec
	v_mov_b32_e32 v2, 0
	s_or_b64 s[28:29], s[28:29], s[42:43]
	s_or_b64 exec, exec, s[40:41]
	s_and_saveexec_b64 s[38:39], s[28:29]
	s_cbranch_execnz .LBB6_3009
	s_branch .LBB6_3010
.LBB6_3205:                             ;   in Loop: Header=BB6_2666 Depth=4
	s_or_saveexec_b64 s[42:43], s[42:43]
	v_bfrev_b32_e32 v2, 1
	s_xor_b64 exec, exec, s[42:43]
	s_cbranch_execz .LBB6_3106
.LBB6_3206:                             ;   in Loop: Header=BB6_2666 Depth=4
	v_cmp_ne_u16_e64 s[28:29], 0, v1
	s_andn2_b64 s[40:41], s[40:41], exec
	s_and_b64 s[28:29], s[28:29], exec
	v_mov_b32_e32 v2, 0
	s_or_b64 s[40:41], s[40:41], s[28:29]
	s_or_b64 exec, exec, s[42:43]
	s_and_saveexec_b64 s[38:39], s[40:41]
	s_cbranch_execnz .LBB6_3107
	s_branch .LBB6_3108
.LBB6_3207:                             ;   in Loop: Header=BB6_2666 Depth=4
	s_or_saveexec_b64 s[40:41], s[40:41]
	v_bfrev_b32_e32 v2, 1
	s_xor_b64 exec, exec, s[40:41]
	s_cbranch_execz .LBB6_3140
.LBB6_3208:                             ;   in Loop: Header=BB6_2666 Depth=4
	v_cmp_ne_u16_sdwa s[42:43], v0, v34 src0_sel:BYTE_0 src1_sel:DWORD
	s_andn2_b64 s[28:29], s[28:29], exec
	s_and_b64 s[42:43], s[42:43], exec
	v_mov_b32_e32 v2, 0
	s_or_b64 s[28:29], s[28:29], s[42:43]
	s_or_b64 exec, exec, s[40:41]
	s_and_saveexec_b64 s[38:39], s[28:29]
	s_cbranch_execnz .LBB6_3141
	s_branch .LBB6_3142
.LBB6_3209:                             ;   in Loop: Header=BB6_274 Depth=3
	s_or_b64 exec, exec, s[36:37]
.LBB6_3210:                             ;   in Loop: Header=BB6_274 Depth=3
	s_or_b64 exec, exec, s[34:35]
	v_and_b32_e32 v1, 15, v52
	v_cndmask_b32_e32 v8, v22, v1, vcc
	v_mov_b32_e32 v3, 0
	v_cmp_ne_u32_e64 s[28:29], 0, v8
	s_mov_b64 s[42:43], 0
                                        ; implicit-def: $vgpr2
                                        ; implicit-def: $vgpr0
	s_and_saveexec_b64 s[40:41], s[28:29]
	s_cbranch_execz .LBB6_3212
; %bb.3211:                             ;   in Loop: Header=BB6_274 Depth=3
	v_sub_u32_e32 v0, v22, v1
	v_cndmask_b32_e32 v0, 0, v0, vcc
	v_cmp_lt_i32_e32 vcc, 0, v7
	v_add3_u32 v3, v6, v4, v0
	v_cndmask_b32_e32 v0, 0, v39, vcc
	v_sub_u32_e32 v0, v0, v7
	v_lshl_add_u32 v2, v0, 6, v5
	v_ashrrev_i32_e32 v0, 31, v2
	v_lshrrev_b32_e32 v0, 26, v0
	v_add_u32_e32 v0, v2, v0
	v_ashrrev_i32_e32 v0, 6, v0
	s_mov_b64 s[42:43], exec
.LBB6_3212:                             ;   in Loop: Header=BB6_274 Depth=3
	s_or_b64 exec, exec, s[40:41]
	s_and_b64 s[28:29], s[42:43], exec
.LBB6_3213:                             ;   in Loop: Header=BB6_274 Depth=3
	s_or_b64 exec, exec, s[30:31]
	s_and_saveexec_b64 s[40:41], s[28:29]
	s_cbranch_execz .LBB6_4542
.LBB6_3214:                             ;   in Loop: Header=BB6_274 Depth=3
	v_ashrrev_i32_e32 v1, 31, v8
	v_lshrrev_b32_e32 v1, 21, v1
	v_add_u32_e32 v1, v8, v1
	v_ashrrev_i32_e32 v5, 11, v1
	s_waitcnt vmcnt(0)
	v_sub_u32_e32 v4, v5, v0
	v_ashrrev_i32_e32 v1, 31, v2
	v_cmp_lt_i32_e32 vcc, 0, v4
	v_lshrrev_b32_e32 v1, 26, v1
	s_and_saveexec_b64 s[42:43], vcc
	s_cbranch_execz .LBB6_4498
; %bb.3215:                             ;   in Loop: Header=BB6_274 Depth=3
	buffer_store_dword v5, off, s[0:3], s33 offset:452 ; 4-byte Folded Spill
	buffer_store_dword v8, off, s[0:3], s33 offset:432 ; 4-byte Folded Spill
	;; [unrolled: 1-line block ×5, first 2 shown]
	s_nop 0
	buffer_store_dword v52, off, s[0:3], s33 offset:380 ; 4-byte Folded Spill
	buffer_store_dword v1, off, s[0:3], s33 offset:444 ; 4-byte Folded Spill
	v_add_u32_e32 v1, v2, v1
	v_and_b32_e32 v1, 0xffffffc0, v1
	v_sub_u32_e32 v1, v2, v1
	v_lshlrev_b32_e32 v0, 11, v0
	buffer_store_dword v2, off, s[0:3], s33 offset:440 ; 4-byte Folded Spill
	buffer_store_dword v3, off, s[0:3], s33 offset:416 ; 4-byte Folded Spill
	v_add3_u32 v2, v3, v1, v0
	s_trap 2
	ds_read_b64 v[0:1], v0
	v_ashrrev_i32_e32 v3, 31, v2
	v_add_co_u32_e32 v8, vcc, v2, v42
	v_addc_co_u32_e32 v9, vcc, v3, v43, vcc
	s_waitcnt lgkmcnt(0)
	v_add_co_u32_e32 v10, vcc, v0, v2
	v_addc_co_u32_e32 v11, vcc, v1, v3, vcc
	v_add_co_u32_e32 v0, vcc, 0x7c0, v40
	v_addc_co_u32_e32 v1, vcc, 0, v41, vcc
	;; [unrolled: 2-line block ×3, first 2 shown]
	s_mov_b64 s[30:31], 0
	s_branch .LBB6_3218
.LBB6_3216:                             ;   in Loop: Header=BB6_3218 Depth=4
	s_or_b64 exec, exec, s[34:35]
.LBB6_3217:                             ;   in Loop: Header=BB6_3218 Depth=4
	s_or_b64 exec, exec, s[28:29]
	v_add_co_u32_e32 v51, vcc, 0xfffff840, v12
	s_waitcnt vmcnt(0)
	v_addc_co_u32_e32 v52, vcc, -1, v13, vcc
	flat_store_byte v[51:52], v32 glc slc
	v_add_co_u32_e32 v32, vcc, 0xfffff880, v12
	v_addc_co_u32_e32 v33, vcc, -1, v13, vcc
	flat_store_byte v[32:33], v30 glc slc
	v_add_co_u32_e32 v32, vcc, 0xfffff8c0, v12
	;; [unrolled: 3-line block ×7, first 2 shown]
	v_addc_co_u32_e32 v25, vcc, -1, v13, vcc
	v_add_co_u32_e32 v2, vcc, 0xfffffa40, v12
	flat_store_byte v[24:25], v3 glc slc
	v_addc_co_u32_e32 v3, vcc, -1, v13, vcc
	flat_store_byte v[2:3], v16 glc slc
	v_add_co_u32_e32 v2, vcc, 0xfffffa80, v12
	v_addc_co_u32_e32 v3, vcc, -1, v13, vcc
	flat_store_byte v[2:3], v14 glc slc
	v_add_co_u32_e32 v2, vcc, 0xfffffac0, v12
	v_addc_co_u32_e32 v3, vcc, -1, v13, vcc
	flat_store_byte v[2:3], v15 glc slc
	v_add_co_u32_e32 v2, vcc, 0xfffffb00, v12
	v_addc_co_u32_e32 v3, vcc, -1, v13, vcc
	flat_store_byte v[2:3], v17 glc slc
	v_add_co_u32_e32 v2, vcc, 0xfffffb40, v12
	v_addc_co_u32_e32 v3, vcc, -1, v13, vcc
	flat_store_byte v[2:3], v19 glc slc
	v_add_co_u32_e32 v2, vcc, 0xfffffb80, v12
	v_addc_co_u32_e32 v3, vcc, -1, v13, vcc
	flat_store_byte v[2:3], v21 glc slc
	v_add_co_u32_e32 v2, vcc, 0xfffffbc0, v12
	v_addc_co_u32_e32 v3, vcc, -1, v13, vcc
	flat_store_byte v[2:3], v23 glc slc
	v_add_co_u32_e32 v2, vcc, s69, v12
	v_addc_co_u32_e32 v3, vcc, -1, v13, vcc
	flat_store_byte v[2:3], v5 glc slc
	v_add_co_u32_e32 v2, vcc, 0xfffffc40, v12
	v_addc_co_u32_e32 v3, vcc, -1, v13, vcc
	flat_store_byte v[2:3], v6 glc slc
	v_add_co_u32_e32 v2, vcc, 0xfffffc80, v12
	v_addc_co_u32_e32 v3, vcc, -1, v13, vcc
	flat_store_byte v[2:3], v7 glc slc
	v_add_co_u32_e32 v2, vcc, 0xfffffcc0, v12
	v_addc_co_u32_e32 v3, vcc, -1, v13, vcc
	flat_store_byte v[2:3], v28 glc slc
	v_add_co_u32_e32 v2, vcc, 0xfffffd00, v12
	v_addc_co_u32_e32 v3, vcc, -1, v13, vcc
	flat_store_byte v[2:3], v29 glc slc
	v_add_co_u32_e32 v2, vcc, 0xfffffd40, v12
	v_addc_co_u32_e32 v3, vcc, -1, v13, vcc
	flat_store_byte v[2:3], v31 glc slc
	v_add_co_u32_e32 v2, vcc, 0xfffffd80, v12
	v_addc_co_u32_e32 v3, vcc, -1, v13, vcc
	flat_store_byte v[2:3], v35 glc slc
	v_add_co_u32_e32 v2, vcc, 0xfffffdc0, v12
	v_addc_co_u32_e32 v3, vcc, -1, v13, vcc
	flat_store_byte v[2:3], v36 glc slc
	v_add_co_u32_e32 v2, vcc, 0xfffffe00, v12
	v_addc_co_u32_e32 v3, vcc, -1, v13, vcc
	flat_store_byte v[2:3], v37 glc slc
	v_add_co_u32_e32 v2, vcc, 0xfffffe40, v12
	v_addc_co_u32_e32 v3, vcc, -1, v13, vcc
	flat_store_byte v[2:3], v38 glc slc
	v_add_co_u32_e32 v2, vcc, 0xfffffe80, v12
	v_addc_co_u32_e32 v3, vcc, -1, v13, vcc
	flat_store_byte v[2:3], v26 glc slc
	v_add_co_u32_e32 v2, vcc, 0xfffffec0, v12
	v_addc_co_u32_e32 v3, vcc, -1, v13, vcc
	flat_store_byte v[2:3], v27 glc slc
	v_add_co_u32_e32 v2, vcc, 0xffffff00, v12
	v_addc_co_u32_e32 v3, vcc, -1, v13, vcc
	flat_store_byte v[2:3], v39 glc slc
	v_add_co_u32_e32 v2, vcc, 0xffffff40, v12
	v_addc_co_u32_e32 v3, vcc, -1, v13, vcc
	flat_store_byte v[2:3], v48 glc slc
	v_add_co_u32_e32 v2, vcc, s80, v12
	v_addc_co_u32_e32 v3, vcc, -1, v13, vcc
	flat_store_byte v[2:3], v49 glc slc
	v_add_co_u32_e32 v2, vcc, s68, v12
	v_addc_co_u32_e32 v3, vcc, -1, v13, vcc
	flat_store_byte v[2:3], v50 glc slc
	flat_store_byte v[12:13], v1 glc slc
	buffer_load_dword v0, off, s[0:3], s33 offset:272 ; 4-byte Folded Reload
	buffer_load_dword v39, off, s[0:3], s33 offset:100 ; 4-byte Folded Reload
	s_waitcnt vmcnt(0)
	v_add_co_u32_e32 v8, vcc, v8, v0
	v_addc_co_u32_e32 v9, vcc, 0, v9, vcc
	v_add_co_u32_e32 v10, vcc, v10, v0
	v_addc_co_u32_e32 v11, vcc, 0, v11, vcc
	v_sub_u32_e32 v4, v4, v39
	v_cmp_gt_i32_e32 vcc, 1, v4
	s_or_b64 s[30:31], vcc, s[30:31]
	v_add_co_u32_e32 v12, vcc, v12, v0
	v_addc_co_u32_e32 v13, vcc, 0, v13, vcc
	s_andn2_b64 exec, exec, s[30:31]
	s_cbranch_execz .LBB6_4497
.LBB6_3218:                             ;   Parent Loop BB6_47 Depth=1
                                        ;     Parent Loop BB6_271 Depth=2
                                        ;       Parent Loop BB6_274 Depth=3
                                        ; =>      This Inner Loop Header: Depth=4
	flat_load_sbyte v32, v[8:9] glc slc
	flat_load_sbyte v30, v[8:9] offset:64 glc slc
	flat_load_sbyte v24, v[8:9] offset:128 glc slc
	;; [unrolled: 1-line block ×20, first 2 shown]
	v_mov_b32_e32 v3, 0
	v_mov_b32_e32 v7, 0
	s_waitcnt vmcnt(0) lgkmcnt(0)
	buffer_store_dword v0, off, s[0:3], s33 offset:264 ; 4-byte Folded Spill
	s_nop 0
	buffer_store_dword v1, off, s[0:3], s33 offset:268 ; 4-byte Folded Spill
	flat_load_sbyte v0, v[8:9] offset:1344 glc slc
	v_cmp_ne_u16_e32 vcc, 0, v32
	s_waitcnt vmcnt(0) lgkmcnt(0)
	buffer_store_dword v0, off, s[0:3], s33 offset:256 ; 4-byte Folded Spill
	s_nop 0
	buffer_store_dword v1, off, s[0:3], s33 offset:260 ; 4-byte Folded Spill
	flat_load_sbyte v0, v[8:9] offset:1408 glc slc
	s_waitcnt vmcnt(0) lgkmcnt(0)
	buffer_store_dword v0, off, s[0:3], s33 offset:240 ; 4-byte Folded Spill
	s_nop 0
	buffer_store_dword v1, off, s[0:3], s33 offset:244 ; 4-byte Folded Spill
	flat_load_sbyte v0, v[8:9] offset:1472 glc slc
	;; [unrolled: 5-line block ×4, first 2 shown]
	s_nop 0
	flat_load_sbyte v0, v[8:9] offset:1664 glc slc
	s_waitcnt vmcnt(0) lgkmcnt(0)
	buffer_store_dword v0, off, s[0:3], s33 offset:184 ; 4-byte Folded Spill
	s_nop 0
	buffer_store_dword v1, off, s[0:3], s33 offset:188 ; 4-byte Folded Spill
	flat_load_sbyte v0, v[8:9] offset:1728 glc slc
	s_waitcnt vmcnt(0) lgkmcnt(0)
	buffer_store_dword v0, off, s[0:3], s33 offset:176 ; 4-byte Folded Spill
	s_nop 0
	buffer_store_dword v1, off, s[0:3], s33 offset:180 ; 4-byte Folded Spill
	;; [unrolled: 5-line block ×6, first 2 shown]
	flat_load_sbyte v31, v[10:11] glc slc
	flat_load_sbyte v29, v[10:11] offset:64 glc slc
	flat_load_sbyte v2, v[10:11] offset:128 glc slc
	;; [unrolled: 1-line block ×21, first 2 shown]
	s_waitcnt vmcnt(0) lgkmcnt(0)
	buffer_store_dword v25, off, s[0:3], s33 offset:248 ; 4-byte Folded Spill
	s_nop 0
	buffer_store_dword v26, off, s[0:3], s33 offset:252 ; 4-byte Folded Spill
	flat_load_sbyte v25, v[10:11] offset:1408 glc slc
	s_waitcnt vmcnt(0) lgkmcnt(0)
	buffer_store_dword v25, off, s[0:3], s33 offset:232 ; 4-byte Folded Spill
	s_nop 0
	buffer_store_dword v26, off, s[0:3], s33 offset:236 ; 4-byte Folded Spill
	flat_load_sbyte v25, v[10:11] offset:1472 glc slc
	;; [unrolled: 5-line block ×5, first 2 shown]
	s_nop 0
	flat_load_sbyte v25, v[10:11] offset:1728 glc slc
	s_waitcnt vmcnt(0) lgkmcnt(0)
	buffer_store_dword v25, off, s[0:3], s33 offset:168 ; 4-byte Folded Spill
	s_nop 0
	buffer_store_dword v26, off, s[0:3], s33 offset:172 ; 4-byte Folded Spill
	flat_load_sbyte v25, v[10:11] offset:1792 glc slc
	s_waitcnt vmcnt(0) lgkmcnt(0)
	buffer_store_dword v25, off, s[0:3], s33 offset:152 ; 4-byte Folded Spill
	s_nop 0
	buffer_store_dword v26, off, s[0:3], s33 offset:156 ; 4-byte Folded Spill
	;; [unrolled: 5-line block ×5, first 2 shown]
	s_mov_b64 s[28:29], exec
	s_and_b64 vcc, s[28:29], vcc
	v_mov_b32_e32 v25, v48
	buffer_store_dword v25, off, s[0:3], s33 offset:92 ; 4-byte Folded Spill
	s_nop 0
	buffer_store_dword v26, off, s[0:3], s33 offset:96 ; 4-byte Folded Spill
	s_mov_b64 exec, vcc
	s_cbranch_execz .LBB6_3226
; %bb.3219:                             ;   in Loop: Header=BB6_3218 Depth=4
	v_cmp_ne_u16_e32 vcc, s80, v32
	v_bfrev_b32_e32 v7, 1
	s_and_saveexec_b64 s[34:35], vcc
	s_cbranch_execz .LBB6_3225
; %bb.3220:                             ;   in Loop: Header=BB6_3218 Depth=4
	v_and_b32_e32 v7, 0x7c, v32
	v_and_b32_e32 v25, 3, v32
	v_cmp_ne_u32_e32 vcc, s81, v7
                                        ; implicit-def: $vgpr7
	s_and_saveexec_b64 s[36:37], vcc
	s_xor_b64 s[36:37], exec, s[36:37]
	s_cbranch_execz .LBB6_3222
; %bb.3221:                             ;   in Loop: Header=BB6_3218 Depth=4
	v_ffbh_u32_e32 v36, v25
	v_min_u32_e32 v48, 32, v36
	v_mov_b32_e32 v33, v34
	v_subrev_u32_e32 v36, 29, v48
	v_lshlrev_b64 v[36:37], v36, v[32:33]
	v_sub_u32_e32 v33, 30, v48
	buffer_load_dword v47, off, s[0:3], s33 offset:92 ; 4-byte Folded Reload
	buffer_load_dword v48, off, s[0:3], s33 offset:96 ; 4-byte Folded Reload
	v_and_b32_e32 v7, 0xff, v32
	v_bfe_u32 v7, v7, 2, 5
	v_cmp_eq_u32_e32 vcc, 0, v7
	v_and_b32_e32 v36, 3, v36
	v_cndmask_b32_e32 v7, v7, v33, vcc
	v_and_b32_sdwa v32, sext(v32), s82 dst_sel:DWORD dst_unused:UNUSED_PAD src0_sel:WORD_0 src1_sel:DWORD
	v_cndmask_b32_e32 v25, v25, v36, vcc
	v_lshl_add_u32 v7, v7, 23, v32
	v_lshl_or_b32 v7, v25, 21, v7
	v_add_u32_e32 v7, 0x38000000, v7
                                        ; implicit-def: $vgpr25
                                        ; implicit-def: $vgpr32
	s_waitcnt vmcnt(0)
	v_mov_b32_e32 v48, v47
.LBB6_3222:                             ;   in Loop: Header=BB6_3218 Depth=4
	s_andn2_saveexec_b64 s[36:37], s[36:37]
; %bb.3223:                             ;   in Loop: Header=BB6_3218 Depth=4
	v_cmp_lt_i16_e32 vcc, -1, v32
	v_mov_b32_e32 v7, 0xff800000
	v_mov_b32_e32 v32, 0x7f800000
	v_cndmask_b32_e32 v7, v7, v32, vcc
	v_cmp_eq_u32_e32 vcc, 0, v25
	v_mov_b32_e32 v25, 0x7f800001
	v_cndmask_b32_e32 v7, v25, v7, vcc
; %bb.3224:                             ;   in Loop: Header=BB6_3218 Depth=4
	s_or_b64 exec, exec, s[36:37]
.LBB6_3225:                             ;   in Loop: Header=BB6_3218 Depth=4
	s_or_b64 exec, exec, s[34:35]
.LBB6_3226:                             ;   in Loop: Header=BB6_3218 Depth=4
	s_or_b64 exec, exec, s[28:29]
	v_cmp_ne_u16_e32 vcc, 0, v31
	s_and_saveexec_b64 s[28:29], vcc
	s_cbranch_execz .LBB6_3234
; %bb.3227:                             ;   in Loop: Header=BB6_3218 Depth=4
	v_cmp_ne_u16_e32 vcc, s80, v31
	v_bfrev_b32_e32 v3, 1
	s_and_saveexec_b64 s[34:35], vcc
	s_cbranch_execz .LBB6_3233
; %bb.3228:                             ;   in Loop: Header=BB6_3218 Depth=4
	v_and_b32_e32 v3, 0x7c, v31
	v_and_b32_e32 v25, 3, v31
	v_cmp_ne_u32_e32 vcc, s81, v3
                                        ; implicit-def: $vgpr3
	s_and_saveexec_b64 s[36:37], vcc
	s_xor_b64 s[36:37], exec, s[36:37]
	s_cbranch_execz .LBB6_3230
; %bb.3229:                             ;   in Loop: Header=BB6_3218 Depth=4
	v_ffbh_u32_e32 v33, v25
	v_min_u32_e32 v36, 32, v33
	v_and_b32_e32 v3, 0xff, v31
	v_mov_b32_e32 v32, v34
	v_subrev_u32_e32 v33, 29, v36
	v_bfe_u32 v3, v3, 2, 5
	v_lshlrev_b64 v[32:33], v33, v[31:32]
	v_sub_u32_e32 v33, 30, v36
	v_cmp_eq_u32_e32 vcc, 0, v3
	v_and_b32_e32 v32, 3, v32
	v_cndmask_b32_e32 v3, v3, v33, vcc
	v_and_b32_sdwa v31, sext(v31), s82 dst_sel:DWORD dst_unused:UNUSED_PAD src0_sel:WORD_0 src1_sel:DWORD
	v_cndmask_b32_e32 v25, v25, v32, vcc
	v_lshl_add_u32 v3, v3, 23, v31
	v_lshl_or_b32 v3, v25, 21, v3
	v_add_u32_e32 v3, 0x38000000, v3
                                        ; implicit-def: $vgpr25
                                        ; implicit-def: $vgpr31
.LBB6_3230:                             ;   in Loop: Header=BB6_3218 Depth=4
	s_andn2_saveexec_b64 s[36:37], s[36:37]
; %bb.3231:                             ;   in Loop: Header=BB6_3218 Depth=4
	v_cmp_lt_i16_e32 vcc, -1, v31
	v_mov_b32_e32 v3, 0xff800000
	v_mov_b32_e32 v31, 0x7f800000
	v_cndmask_b32_e32 v3, v3, v31, vcc
	v_cmp_eq_u32_e32 vcc, 0, v25
	v_mov_b32_e32 v25, 0x7f800001
	v_cndmask_b32_e32 v3, v25, v3, vcc
; %bb.3232:                             ;   in Loop: Header=BB6_3218 Depth=4
	s_or_b64 exec, exec, s[36:37]
.LBB6_3233:                             ;   in Loop: Header=BB6_3218 Depth=4
	s_or_b64 exec, exec, s[34:35]
.LBB6_3234:                             ;   in Loop: Header=BB6_3218 Depth=4
	s_or_b64 exec, exec, s[28:29]
	v_mul_f32_e32 v7, v7, v3
	v_and_b32_e32 v31, 0x7f800000, v7
	v_mov_b32_e32 v32, v34
	v_cmp_ne_u64_e32 vcc, s[76:77], v[31:32]
	v_and_b32_e32 v33, 0x7fffff, v7
                                        ; implicit-def: $vgpr32
	s_and_saveexec_b64 s[28:29], vcc
	s_xor_b64 s[34:35], exec, s[28:29]
	s_cbranch_execz .LBB6_3252
; %bb.3235:                             ;   in Loop: Header=BB6_3218 Depth=4
	v_and_b32_e32 v31, 0x7fffffff, v7
	v_mov_b32_e32 v32, v34
	v_cmp_gt_u64_e32 vcc, s[78:79], v[31:32]
	v_and_b32_sdwa v3, v7, s44 dst_sel:DWORD dst_unused:UNUSED_PAD src0_sel:BYTE_3 src1_sel:DWORD
                                        ; implicit-def: $vgpr32
	s_and_saveexec_b64 s[28:29], vcc
	s_xor_b64 s[36:37], exec, s[28:29]
	s_cbranch_execz .LBB6_3249
; %bb.3236:                             ;   in Loop: Header=BB6_3218 Depth=4
	v_cmp_ne_u32_e32 vcc, 0, v7
	v_mov_b32_e32 v32, 0
	s_and_saveexec_b64 s[38:39], vcc
	s_cbranch_execz .LBB6_3248
; %bb.3237:                             ;   in Loop: Header=BB6_3218 Depth=4
	v_bfe_u32 v7, v7, 23, 8
	v_cmp_gt_u32_e64 s[28:29], s45, v7
	v_sub_u32_e32 v25, 0x71, v7
	v_cmp_eq_u32_e32 vcc, 0, v7
	v_cndmask_b32_e64 v25, 0, v25, s[28:29]
	v_mov_b32_e32 v32, 0x70
	v_or_b32_e32 v31, 0x800000, v33
	v_cndmask_b32_e32 v25, v25, v32, vcc
	v_cndmask_b32_e32 v31, v31, v33, vcc
	v_add_u32_e32 v33, 21, v25
	v_lshlrev_b64 v[36:37], v33, -1
	v_mov_b32_e32 v32, v34
	v_add_u32_e32 v33, 20, v25
	v_bfi_b32 v36, v36, 0, v31
	v_lshlrev_b64 v[47:48], v33, 1
	v_lshrrev_b64 v[31:32], v25, v[31:32]
	v_bfi_b32 v37, v37, 0, 0
	v_cmp_eq_u64_e64 s[28:29], v[36:37], v[47:48]
	v_mov_b32_e32 v33, v32
	v_mov_b32_e32 v32, v31
	s_and_saveexec_b64 s[48:49], s[28:29]
; %bb.3238:                             ;   in Loop: Header=BB6_3218 Depth=4
	v_bfe_u32 v32, v31, 21, 1
	v_add_co_u32_e64 v32, s[28:29], v31, v32
	v_add_co_u32_e64 v32, s[28:29], -1, v32
; %bb.3239:                             ;   in Loop: Header=BB6_3218 Depth=4
	s_or_b64 exec, exec, s[48:49]
	v_add_u32_e32 v7, 0xffffff81, v7
	v_mov_b32_e32 v33, 0xffffff82
	v_cndmask_b32_e32 v7, v7, v33, vcc
	v_lshrrev_b32_e32 v33, 23, v31
	v_add3_u32 v36, v25, v7, v33
	v_add_u32_e32 v25, 14, v36
	v_and_b32_e32 v7, 0x1fffff, v32
	v_add_u32_e32 v33, v7, v31
	v_cmp_ne_u32_e32 vcc, 0, v25
                                        ; implicit-def: $vgpr31_vgpr32
                                        ; implicit-def: $vgpr7
	s_and_saveexec_b64 s[28:29], vcc
	s_xor_b64 s[28:29], exec, s[28:29]
; %bb.3240:                             ;   in Loop: Header=BB6_3218 Depth=4
	v_cmp_lt_u64_e32 vcc, s[88:89], v[33:34]
	v_add_u32_e32 v7, 15, v36
	v_cndmask_b32_e32 v7, v25, v7, vcc
	v_cndmask_b32_e64 v25, 0, 1, vcc
	v_lshrrev_b64 v[31:32], v25, v[33:34]
; %bb.3241:                             ;   in Loop: Header=BB6_3218 Depth=4
	s_or_saveexec_b64 s[28:29], s[28:29]
	buffer_load_dword v36, off, s[0:3], s33 offset:92 ; 4-byte Folded Reload
	buffer_load_dword v37, off, s[0:3], s33 offset:96 ; 4-byte Folded Reload
	s_waitcnt vmcnt(1)
	v_mov_b32_e32 v48, v36
	s_xor_b64 exec, exec, s[28:29]
; %bb.3242:                             ;   in Loop: Header=BB6_3218 Depth=4
	v_mov_b32_e32 v31, v33
	v_mov_b32_e32 v32, v34
	v_bfe_u32 v7, v33, 23, 1
; %bb.3243:                             ;   in Loop: Header=BB6_3218 Depth=4
	s_or_b64 exec, exec, s[28:29]
	v_lshrrev_b64 v[31:32], 21, v[31:32]
	v_cmp_gt_i32_e32 vcc, 32, v7
	v_cndmask_b32_e32 v32, 0, v32, vcc
	v_cndmask_b32_e32 v31, 3, v31, vcc
	v_cmp_ne_u64_e32 vcc, 0, v[31:32]
	v_cmp_ne_u32_e64 s[28:29], 0, v7
	s_or_b64 s[28:29], s[28:29], vcc
                                        ; implicit-def: $vgpr32
	s_and_saveexec_b64 vcc, s[28:29]
	s_xor_b64 s[28:29], exec, vcc
; %bb.3244:                             ;   in Loop: Header=BB6_3218 Depth=4
	v_min_i32_e32 v7, 31, v7
	v_lshl_or_b32 v3, v7, 2, v3
	v_and_or_b32 v32, v31, 3, v3
                                        ; implicit-def: $vgpr3
; %bb.3245:                             ;   in Loop: Header=BB6_3218 Depth=4
	s_andn2_saveexec_b64 s[28:29], s[28:29]
; %bb.3246:                             ;   in Loop: Header=BB6_3218 Depth=4
	v_mov_b32_e32 v32, v3
; %bb.3247:                             ;   in Loop: Header=BB6_3218 Depth=4
	s_or_b64 exec, exec, s[28:29]
.LBB6_3248:                             ;   in Loop: Header=BB6_3218 Depth=4
	s_or_b64 exec, exec, s[38:39]
                                        ; implicit-def: $vgpr3
.LBB6_3249:                             ;   in Loop: Header=BB6_3218 Depth=4
	s_andn2_saveexec_b64 s[28:29], s[36:37]
; %bb.3250:                             ;   in Loop: Header=BB6_3218 Depth=4
	v_or_b32_e32 v32, 0x7b, v3
; %bb.3251:                             ;   in Loop: Header=BB6_3218 Depth=4
	s_or_b64 exec, exec, s[28:29]
                                        ; implicit-def: $vgpr7
.LBB6_3252:                             ;   in Loop: Header=BB6_3218 Depth=4
	s_andn2_saveexec_b64 s[28:29], s[34:35]
	s_cbranch_execz .LBB6_3258
; %bb.3253:                             ;   in Loop: Header=BB6_3218 Depth=4
	v_cmp_ne_u64_e32 vcc, 0, v[33:34]
                                        ; implicit-def: $vgpr32
	s_and_saveexec_b64 s[34:35], vcc
	s_xor_b64 vcc, exec, s[34:35]
; %bb.3254:                             ;   in Loop: Header=BB6_3218 Depth=4
	v_or_b32_sdwa v32, v7, s83 dst_sel:DWORD dst_unused:UNUSED_PAD src0_sel:BYTE_3 src1_sel:DWORD
                                        ; implicit-def: $vgpr7
; %bb.3255:                             ;   in Loop: Header=BB6_3218 Depth=4
	s_andn2_saveexec_b64 s[34:35], vcc
; %bb.3256:                             ;   in Loop: Header=BB6_3218 Depth=4
	v_cmp_lt_i32_e32 vcc, -1, v7
	v_mov_b32_e32 v3, 0x7c
	v_cndmask_b32_e32 v32, -4, v3, vcc
; %bb.3257:                             ;   in Loop: Header=BB6_3218 Depth=4
	s_or_b64 exec, exec, s[34:35]
.LBB6_3258:                             ;   in Loop: Header=BB6_3218 Depth=4
	s_or_b64 exec, exec, s[28:29]
	v_cmp_ne_u16_e32 vcc, 0, v30
	v_mov_b32_e32 v3, 0
	v_mov_b32_e32 v7, 0
	s_and_saveexec_b64 s[28:29], vcc
	s_cbranch_execz .LBB6_3266
; %bb.3259:                             ;   in Loop: Header=BB6_3218 Depth=4
	v_cmp_ne_u16_e32 vcc, s80, v30
	v_bfrev_b32_e32 v7, 1
	s_and_saveexec_b64 s[34:35], vcc
	s_cbranch_execz .LBB6_3265
; %bb.3260:                             ;   in Loop: Header=BB6_3218 Depth=4
	v_and_b32_e32 v7, 0x7c, v30
	v_and_b32_e32 v25, 3, v30
	v_cmp_ne_u32_e32 vcc, s81, v7
                                        ; implicit-def: $vgpr7
	s_and_saveexec_b64 s[36:37], vcc
	s_xor_b64 s[36:37], exec, s[36:37]
	s_cbranch_execz .LBB6_3262
; %bb.3261:                             ;   in Loop: Header=BB6_3218 Depth=4
	v_ffbh_u32_e32 v33, v25
	v_min_u32_e32 v33, 32, v33
	v_and_b32_e32 v7, 0xff, v30
	v_mov_b32_e32 v31, v34
	v_subrev_u32_e32 v36, 29, v33
	v_bfe_u32 v7, v7, 2, 5
	s_waitcnt vmcnt(0)
	v_lshlrev_b64 v[36:37], v36, v[30:31]
	v_sub_u32_e32 v31, 30, v33
	v_cmp_eq_u32_e32 vcc, 0, v7
	v_and_b32_e32 v33, 3, v36
	v_cndmask_b32_e32 v7, v7, v31, vcc
	v_and_b32_sdwa v30, sext(v30), s82 dst_sel:DWORD dst_unused:UNUSED_PAD src0_sel:WORD_0 src1_sel:DWORD
	v_cndmask_b32_e32 v25, v25, v33, vcc
	v_lshl_add_u32 v7, v7, 23, v30
	v_lshl_or_b32 v7, v25, 21, v7
	v_add_u32_e32 v7, 0x38000000, v7
                                        ; implicit-def: $vgpr25
                                        ; implicit-def: $vgpr30
.LBB6_3262:                             ;   in Loop: Header=BB6_3218 Depth=4
	s_andn2_saveexec_b64 s[36:37], s[36:37]
; %bb.3263:                             ;   in Loop: Header=BB6_3218 Depth=4
	v_cmp_lt_i16_e32 vcc, -1, v30
	v_mov_b32_e32 v7, 0xff800000
	v_mov_b32_e32 v30, 0x7f800000
	v_cndmask_b32_e32 v7, v7, v30, vcc
	v_cmp_eq_u32_e32 vcc, 0, v25
	v_mov_b32_e32 v25, 0x7f800001
	v_cndmask_b32_e32 v7, v25, v7, vcc
; %bb.3264:                             ;   in Loop: Header=BB6_3218 Depth=4
	s_or_b64 exec, exec, s[36:37]
.LBB6_3265:                             ;   in Loop: Header=BB6_3218 Depth=4
	s_or_b64 exec, exec, s[34:35]
.LBB6_3266:                             ;   in Loop: Header=BB6_3218 Depth=4
	s_or_b64 exec, exec, s[28:29]
	v_cmp_ne_u16_e32 vcc, 0, v29
	s_and_saveexec_b64 s[28:29], vcc
	s_cbranch_execz .LBB6_3274
; %bb.3267:                             ;   in Loop: Header=BB6_3218 Depth=4
	v_cmp_ne_u16_e32 vcc, s80, v29
	v_bfrev_b32_e32 v3, 1
	s_and_saveexec_b64 s[34:35], vcc
	s_cbranch_execz .LBB6_3273
; %bb.3268:                             ;   in Loop: Header=BB6_3218 Depth=4
	v_and_b32_e32 v3, 0x7c, v29
	v_and_b32_e32 v25, 3, v29
	v_cmp_ne_u32_e32 vcc, s81, v3
                                        ; implicit-def: $vgpr3
	s_and_saveexec_b64 s[36:37], vcc
	s_xor_b64 s[36:37], exec, s[36:37]
	s_cbranch_execz .LBB6_3270
; %bb.3269:                             ;   in Loop: Header=BB6_3218 Depth=4
	v_ffbh_u32_e32 v31, v25
	v_min_u32_e32 v33, 32, v31
	v_and_b32_e32 v3, 0xff, v29
	v_mov_b32_e32 v30, v34
	v_subrev_u32_e32 v31, 29, v33
	v_bfe_u32 v3, v3, 2, 5
	v_lshlrev_b64 v[30:31], v31, v[29:30]
	v_sub_u32_e32 v31, 30, v33
	v_cmp_eq_u32_e32 vcc, 0, v3
	v_and_b32_e32 v30, 3, v30
	v_cndmask_b32_e32 v3, v3, v31, vcc
	v_and_b32_sdwa v29, sext(v29), s82 dst_sel:DWORD dst_unused:UNUSED_PAD src0_sel:WORD_0 src1_sel:DWORD
	v_cndmask_b32_e32 v25, v25, v30, vcc
	v_lshl_add_u32 v3, v3, 23, v29
	v_lshl_or_b32 v3, v25, 21, v3
	v_add_u32_e32 v3, 0x38000000, v3
                                        ; implicit-def: $vgpr25
                                        ; implicit-def: $vgpr29
.LBB6_3270:                             ;   in Loop: Header=BB6_3218 Depth=4
	s_andn2_saveexec_b64 s[36:37], s[36:37]
; %bb.3271:                             ;   in Loop: Header=BB6_3218 Depth=4
	v_cmp_lt_i16_e32 vcc, -1, v29
	v_mov_b32_e32 v3, 0xff800000
	v_mov_b32_e32 v29, 0x7f800000
	v_cndmask_b32_e32 v3, v3, v29, vcc
	v_cmp_eq_u32_e32 vcc, 0, v25
	v_mov_b32_e32 v25, 0x7f800001
	v_cndmask_b32_e32 v3, v25, v3, vcc
; %bb.3272:                             ;   in Loop: Header=BB6_3218 Depth=4
	s_or_b64 exec, exec, s[36:37]
.LBB6_3273:                             ;   in Loop: Header=BB6_3218 Depth=4
	s_or_b64 exec, exec, s[34:35]
.LBB6_3274:                             ;   in Loop: Header=BB6_3218 Depth=4
	s_or_b64 exec, exec, s[28:29]
	v_mul_f32_e32 v7, v7, v3
	v_and_b32_e32 v29, 0x7f800000, v7
	v_mov_b32_e32 v30, v34
	v_cmp_ne_u64_e32 vcc, s[76:77], v[29:30]
	v_and_b32_e32 v33, 0x7fffff, v7
                                        ; implicit-def: $vgpr30
	s_and_saveexec_b64 s[28:29], vcc
	s_xor_b64 s[34:35], exec, s[28:29]
	s_cbranch_execz .LBB6_3292
; %bb.3275:                             ;   in Loop: Header=BB6_3218 Depth=4
	v_and_b32_e32 v29, 0x7fffffff, v7
	v_mov_b32_e32 v30, v34
	v_cmp_gt_u64_e32 vcc, s[78:79], v[29:30]
	v_and_b32_sdwa v3, v7, s44 dst_sel:DWORD dst_unused:UNUSED_PAD src0_sel:BYTE_3 src1_sel:DWORD
                                        ; implicit-def: $vgpr30
	s_and_saveexec_b64 s[28:29], vcc
	s_xor_b64 s[36:37], exec, s[28:29]
	s_cbranch_execz .LBB6_3289
; %bb.3276:                             ;   in Loop: Header=BB6_3218 Depth=4
	v_cmp_ne_u32_e32 vcc, 0, v7
	v_mov_b32_e32 v30, 0
	s_and_saveexec_b64 s[38:39], vcc
	s_cbranch_execz .LBB6_3288
; %bb.3277:                             ;   in Loop: Header=BB6_3218 Depth=4
	v_bfe_u32 v7, v7, 23, 8
	v_cmp_gt_u32_e64 s[28:29], s45, v7
	v_sub_u32_e32 v25, 0x71, v7
	v_cmp_eq_u32_e32 vcc, 0, v7
	v_cndmask_b32_e64 v25, 0, v25, s[28:29]
	v_mov_b32_e32 v30, 0x70
	v_cndmask_b32_e32 v25, v25, v30, vcc
	v_add_u32_e32 v31, 21, v25
	v_or_b32_e32 v29, 0x800000, v33
	s_waitcnt vmcnt(0)
	v_lshlrev_b64 v[36:37], v31, -1
	v_cndmask_b32_e32 v29, v29, v33, vcc
	v_mov_b32_e32 v30, v34
	v_add_u32_e32 v31, 20, v25
	v_bfi_b32 v36, v36, 0, v29
	v_lshlrev_b64 v[47:48], v31, 1
	v_lshrrev_b64 v[29:30], v25, v[29:30]
	v_bfi_b32 v37, v37, 0, 0
	v_cmp_eq_u64_e64 s[28:29], v[36:37], v[47:48]
	v_mov_b32_e32 v31, v30
	v_mov_b32_e32 v30, v29
	s_and_saveexec_b64 s[48:49], s[28:29]
; %bb.3278:                             ;   in Loop: Header=BB6_3218 Depth=4
	v_bfe_u32 v30, v29, 21, 1
	v_add_co_u32_e64 v30, s[28:29], v29, v30
	v_add_co_u32_e64 v30, s[28:29], -1, v30
; %bb.3279:                             ;   in Loop: Header=BB6_3218 Depth=4
	s_or_b64 exec, exec, s[48:49]
	v_add_u32_e32 v7, 0xffffff81, v7
	v_mov_b32_e32 v31, 0xffffff82
	v_cndmask_b32_e32 v7, v7, v31, vcc
	v_lshrrev_b32_e32 v31, 23, v29
	v_add3_u32 v31, v25, v7, v31
	v_add_u32_e32 v25, 14, v31
	v_and_b32_e32 v7, 0x1fffff, v30
	v_add_u32_e32 v33, v7, v29
	v_cmp_ne_u32_e32 vcc, 0, v25
                                        ; implicit-def: $vgpr29_vgpr30
                                        ; implicit-def: $vgpr7
	s_and_saveexec_b64 s[28:29], vcc
	s_xor_b64 s[28:29], exec, s[28:29]
; %bb.3280:                             ;   in Loop: Header=BB6_3218 Depth=4
	v_cmp_lt_u64_e32 vcc, s[88:89], v[33:34]
	v_add_u32_e32 v7, 15, v31
	v_cndmask_b32_e32 v7, v25, v7, vcc
	v_cndmask_b32_e64 v25, 0, 1, vcc
	v_lshrrev_b64 v[29:30], v25, v[33:34]
; %bb.3281:                             ;   in Loop: Header=BB6_3218 Depth=4
	s_or_saveexec_b64 s[28:29], s[28:29]
	buffer_load_dword v36, off, s[0:3], s33 offset:92 ; 4-byte Folded Reload
	buffer_load_dword v37, off, s[0:3], s33 offset:96 ; 4-byte Folded Reload
	s_waitcnt vmcnt(1)
	v_mov_b32_e32 v48, v36
	s_xor_b64 exec, exec, s[28:29]
; %bb.3282:                             ;   in Loop: Header=BB6_3218 Depth=4
	v_mov_b32_e32 v29, v33
	v_mov_b32_e32 v30, v34
	v_bfe_u32 v7, v33, 23, 1
; %bb.3283:                             ;   in Loop: Header=BB6_3218 Depth=4
	s_or_b64 exec, exec, s[28:29]
	v_lshrrev_b64 v[29:30], 21, v[29:30]
	v_cmp_gt_i32_e32 vcc, 32, v7
	v_cndmask_b32_e32 v30, 0, v30, vcc
	v_cndmask_b32_e32 v29, 3, v29, vcc
	v_cmp_ne_u64_e32 vcc, 0, v[29:30]
	v_cmp_ne_u32_e64 s[28:29], 0, v7
	s_or_b64 s[28:29], s[28:29], vcc
                                        ; implicit-def: $vgpr30
	s_and_saveexec_b64 vcc, s[28:29]
	s_xor_b64 s[28:29], exec, vcc
; %bb.3284:                             ;   in Loop: Header=BB6_3218 Depth=4
	v_min_i32_e32 v7, 31, v7
	v_lshl_or_b32 v3, v7, 2, v3
	v_and_or_b32 v30, v29, 3, v3
                                        ; implicit-def: $vgpr3
; %bb.3285:                             ;   in Loop: Header=BB6_3218 Depth=4
	s_andn2_saveexec_b64 s[28:29], s[28:29]
; %bb.3286:                             ;   in Loop: Header=BB6_3218 Depth=4
	v_mov_b32_e32 v30, v3
; %bb.3287:                             ;   in Loop: Header=BB6_3218 Depth=4
	s_or_b64 exec, exec, s[28:29]
.LBB6_3288:                             ;   in Loop: Header=BB6_3218 Depth=4
	s_or_b64 exec, exec, s[38:39]
                                        ; implicit-def: $vgpr3
.LBB6_3289:                             ;   in Loop: Header=BB6_3218 Depth=4
	s_andn2_saveexec_b64 s[28:29], s[36:37]
; %bb.3290:                             ;   in Loop: Header=BB6_3218 Depth=4
	v_or_b32_e32 v30, 0x7b, v3
; %bb.3291:                             ;   in Loop: Header=BB6_3218 Depth=4
	s_or_b64 exec, exec, s[28:29]
                                        ; implicit-def: $vgpr7
.LBB6_3292:                             ;   in Loop: Header=BB6_3218 Depth=4
	s_andn2_saveexec_b64 s[28:29], s[34:35]
	s_cbranch_execz .LBB6_3298
; %bb.3293:                             ;   in Loop: Header=BB6_3218 Depth=4
	v_cmp_ne_u64_e32 vcc, 0, v[33:34]
                                        ; implicit-def: $vgpr30
	s_and_saveexec_b64 s[34:35], vcc
	s_xor_b64 vcc, exec, s[34:35]
; %bb.3294:                             ;   in Loop: Header=BB6_3218 Depth=4
	v_or_b32_sdwa v30, v7, s83 dst_sel:DWORD dst_unused:UNUSED_PAD src0_sel:BYTE_3 src1_sel:DWORD
                                        ; implicit-def: $vgpr7
; %bb.3295:                             ;   in Loop: Header=BB6_3218 Depth=4
	s_andn2_saveexec_b64 s[34:35], vcc
; %bb.3296:                             ;   in Loop: Header=BB6_3218 Depth=4
	v_cmp_lt_i32_e32 vcc, -1, v7
	v_mov_b32_e32 v3, 0x7c
	v_cndmask_b32_e32 v30, -4, v3, vcc
; %bb.3297:                             ;   in Loop: Header=BB6_3218 Depth=4
	s_or_b64 exec, exec, s[34:35]
.LBB6_3298:                             ;   in Loop: Header=BB6_3218 Depth=4
	s_or_b64 exec, exec, s[28:29]
	v_cmp_ne_u16_e32 vcc, 0, v24
	v_mov_b32_e32 v3, 0
	v_mov_b32_e32 v7, 0
	s_and_saveexec_b64 s[28:29], vcc
	s_cbranch_execz .LBB6_3306
; %bb.3299:                             ;   in Loop: Header=BB6_3218 Depth=4
	v_cmp_ne_u16_e32 vcc, s80, v24
	v_bfrev_b32_e32 v7, 1
	s_and_saveexec_b64 s[34:35], vcc
	s_cbranch_execz .LBB6_3305
; %bb.3300:                             ;   in Loop: Header=BB6_3218 Depth=4
	v_and_b32_e32 v7, 0x7c, v24
	v_and_b32_e32 v29, 3, v24
	v_cmp_ne_u32_e32 vcc, s81, v7
                                        ; implicit-def: $vgpr7
	s_and_saveexec_b64 s[36:37], vcc
	s_xor_b64 s[36:37], exec, s[36:37]
	s_cbranch_execz .LBB6_3302
; %bb.3301:                             ;   in Loop: Header=BB6_3218 Depth=4
	v_ffbh_u32_e32 v31, v29
	v_min_u32_e32 v31, 32, v31
	v_and_b32_e32 v7, 0xff, v24
	v_mov_b32_e32 v25, v34
	v_subrev_u32_e32 v33, 29, v31
	v_bfe_u32 v7, v7, 2, 5
	s_waitcnt vmcnt(0)
	v_lshlrev_b64 v[36:37], v33, v[24:25]
	v_sub_u32_e32 v25, 30, v31
	v_cmp_eq_u32_e32 vcc, 0, v7
	v_and_b32_e32 v31, 3, v36
	v_cndmask_b32_e32 v7, v7, v25, vcc
	v_and_b32_sdwa v24, sext(v24), s82 dst_sel:DWORD dst_unused:UNUSED_PAD src0_sel:WORD_0 src1_sel:DWORD
	v_cndmask_b32_e32 v25, v29, v31, vcc
	v_lshl_add_u32 v7, v7, 23, v24
	v_lshl_or_b32 v7, v25, 21, v7
	v_add_u32_e32 v7, 0x38000000, v7
                                        ; implicit-def: $vgpr29
                                        ; implicit-def: $vgpr24
.LBB6_3302:                             ;   in Loop: Header=BB6_3218 Depth=4
	s_andn2_saveexec_b64 s[36:37], s[36:37]
; %bb.3303:                             ;   in Loop: Header=BB6_3218 Depth=4
	v_cmp_lt_i16_e32 vcc, -1, v24
	v_mov_b32_e32 v7, 0xff800000
	v_mov_b32_e32 v24, 0x7f800000
	v_cndmask_b32_e32 v7, v7, v24, vcc
	v_cmp_eq_u32_e32 vcc, 0, v29
	v_mov_b32_e32 v24, 0x7f800001
	v_cndmask_b32_e32 v7, v24, v7, vcc
; %bb.3304:                             ;   in Loop: Header=BB6_3218 Depth=4
	s_or_b64 exec, exec, s[36:37]
.LBB6_3305:                             ;   in Loop: Header=BB6_3218 Depth=4
	s_or_b64 exec, exec, s[34:35]
.LBB6_3306:                             ;   in Loop: Header=BB6_3218 Depth=4
	s_or_b64 exec, exec, s[28:29]
	v_cmp_ne_u16_e32 vcc, 0, v2
	s_and_saveexec_b64 s[28:29], vcc
	s_cbranch_execz .LBB6_3314
; %bb.3307:                             ;   in Loop: Header=BB6_3218 Depth=4
	v_cmp_ne_u16_e32 vcc, s80, v2
	v_bfrev_b32_e32 v3, 1
	s_and_saveexec_b64 s[34:35], vcc
	s_cbranch_execz .LBB6_3313
; %bb.3308:                             ;   in Loop: Header=BB6_3218 Depth=4
	v_and_b32_e32 v3, 0x7c, v2
	v_and_b32_e32 v24, 3, v2
	v_cmp_ne_u32_e32 vcc, s81, v3
                                        ; implicit-def: $vgpr3
	s_and_saveexec_b64 s[36:37], vcc
	s_xor_b64 s[36:37], exec, s[36:37]
	s_cbranch_execz .LBB6_3310
; %bb.3309:                             ;   in Loop: Header=BB6_3218 Depth=4
	v_ffbh_u32_e32 v29, v24
	v_min_u32_e32 v29, 32, v29
	v_and_b32_e32 v25, 0xff, v2
	v_mov_b32_e32 v3, v34
	v_subrev_u32_e32 v31, 29, v29
	v_bfe_u32 v25, v25, 2, 5
	s_waitcnt vmcnt(0)
	v_lshlrev_b64 v[36:37], v31, v[2:3]
	v_sub_u32_e32 v3, 30, v29
	v_cmp_eq_u32_e32 vcc, 0, v25
	v_and_b32_e32 v29, 3, v36
	v_cndmask_b32_e32 v3, v25, v3, vcc
	v_and_b32_sdwa v2, sext(v2), s82 dst_sel:DWORD dst_unused:UNUSED_PAD src0_sel:WORD_0 src1_sel:DWORD
	v_cndmask_b32_e32 v24, v24, v29, vcc
	v_lshl_add_u32 v2, v3, 23, v2
	v_lshl_or_b32 v2, v24, 21, v2
	v_add_u32_e32 v3, 0x38000000, v2
                                        ; implicit-def: $vgpr24
                                        ; implicit-def: $vgpr2
.LBB6_3310:                             ;   in Loop: Header=BB6_3218 Depth=4
	s_andn2_saveexec_b64 s[36:37], s[36:37]
; %bb.3311:                             ;   in Loop: Header=BB6_3218 Depth=4
	v_cmp_lt_i16_e32 vcc, -1, v2
	v_mov_b32_e32 v2, 0xff800000
	v_mov_b32_e32 v3, 0x7f800000
	v_cndmask_b32_e32 v2, v2, v3, vcc
	v_cmp_eq_u32_e32 vcc, 0, v24
	v_mov_b32_e32 v3, 0x7f800001
	v_cndmask_b32_e32 v3, v3, v2, vcc
; %bb.3312:                             ;   in Loop: Header=BB6_3218 Depth=4
	s_or_b64 exec, exec, s[36:37]
.LBB6_3313:                             ;   in Loop: Header=BB6_3218 Depth=4
	s_or_b64 exec, exec, s[34:35]
.LBB6_3314:                             ;   in Loop: Header=BB6_3218 Depth=4
	s_or_b64 exec, exec, s[28:29]
	v_mul_f32_e32 v2, v7, v3
	v_and_b32_e32 v24, 0x7f800000, v2
	v_mov_b32_e32 v25, v34
	v_cmp_ne_u64_e32 vcc, s[76:77], v[24:25]
	v_and_b32_e32 v33, 0x7fffff, v2
                                        ; implicit-def: $vgpr25
	s_and_saveexec_b64 s[28:29], vcc
	s_xor_b64 s[34:35], exec, s[28:29]
	s_cbranch_execz .LBB6_3332
; %bb.3315:                             ;   in Loop: Header=BB6_3218 Depth=4
	v_and_b32_e32 v24, 0x7fffffff, v2
	v_mov_b32_e32 v25, v34
	v_cmp_gt_u64_e32 vcc, s[78:79], v[24:25]
	v_and_b32_sdwa v7, v2, s44 dst_sel:DWORD dst_unused:UNUSED_PAD src0_sel:BYTE_3 src1_sel:DWORD
                                        ; implicit-def: $vgpr25
	s_and_saveexec_b64 s[28:29], vcc
	s_xor_b64 s[36:37], exec, s[28:29]
	s_cbranch_execz .LBB6_3329
; %bb.3316:                             ;   in Loop: Header=BB6_3218 Depth=4
	v_cmp_ne_u32_e32 vcc, 0, v2
	v_mov_b32_e32 v25, 0
	s_and_saveexec_b64 s[38:39], vcc
	s_cbranch_execz .LBB6_3328
; %bb.3317:                             ;   in Loop: Header=BB6_3218 Depth=4
	v_bfe_u32 v29, v2, 23, 8
	v_cmp_gt_u32_e64 s[28:29], s45, v29
	v_sub_u32_e32 v2, 0x71, v29
	v_cmp_eq_u32_e32 vcc, 0, v29
	v_cndmask_b32_e64 v2, 0, v2, s[28:29]
	v_mov_b32_e32 v24, 0x70
	v_cndmask_b32_e32 v31, v2, v24, vcc
	v_add_u32_e32 v24, 21, v31
	v_or_b32_e32 v3, 0x800000, v33
	v_lshlrev_b64 v[24:25], v24, -1
	v_cndmask_b32_e32 v2, v3, v33, vcc
	v_mov_b32_e32 v3, v34
	v_add_u32_e32 v33, 20, v31
	v_bfi_b32 v24, v24, 0, v2
	s_waitcnt vmcnt(0)
	v_lshlrev_b64 v[36:37], v33, 1
	v_lshrrev_b64 v[2:3], v31, v[2:3]
	v_bfi_b32 v25, v25, 0, 0
	v_cmp_eq_u64_e64 s[28:29], v[24:25], v[36:37]
	v_mov_b32_e32 v25, v3
	v_mov_b32_e32 v24, v2
	s_and_saveexec_b64 s[48:49], s[28:29]
; %bb.3318:                             ;   in Loop: Header=BB6_3218 Depth=4
	v_bfe_u32 v3, v2, 21, 1
	v_add_co_u32_e64 v3, s[28:29], v2, v3
	v_add_co_u32_e64 v24, s[28:29], -1, v3
; %bb.3319:                             ;   in Loop: Header=BB6_3218 Depth=4
	s_or_b64 exec, exec, s[48:49]
	v_add_u32_e32 v3, 0xffffff81, v29
	v_mov_b32_e32 v25, 0xffffff82
	v_cndmask_b32_e32 v3, v3, v25, vcc
	v_lshrrev_b32_e32 v25, 23, v2
	v_add3_u32 v29, v31, v3, v25
	v_add_u32_e32 v25, 14, v29
	v_and_b32_e32 v3, 0x1fffff, v24
	v_add_u32_e32 v33, v3, v2
	v_cmp_ne_u32_e32 vcc, 0, v25
                                        ; implicit-def: $vgpr2_vgpr3
                                        ; implicit-def: $vgpr24
	s_and_saveexec_b64 s[28:29], vcc
	s_xor_b64 s[28:29], exec, s[28:29]
; %bb.3320:                             ;   in Loop: Header=BB6_3218 Depth=4
	v_cmp_lt_u64_e32 vcc, s[88:89], v[33:34]
	v_add_u32_e32 v2, 15, v29
	v_cndmask_b32_e32 v24, v25, v2, vcc
	v_cndmask_b32_e64 v2, 0, 1, vcc
	v_lshrrev_b64 v[2:3], v2, v[33:34]
; %bb.3321:                             ;   in Loop: Header=BB6_3218 Depth=4
	s_andn2_saveexec_b64 s[28:29], s[28:29]
; %bb.3322:                             ;   in Loop: Header=BB6_3218 Depth=4
	v_mov_b32_e32 v2, v33
	v_mov_b32_e32 v3, v34
	v_bfe_u32 v24, v33, 23, 1
; %bb.3323:                             ;   in Loop: Header=BB6_3218 Depth=4
	s_or_b64 exec, exec, s[28:29]
	v_lshrrev_b64 v[2:3], 21, v[2:3]
	v_cmp_gt_i32_e32 vcc, 32, v24
	v_cndmask_b32_e32 v3, 0, v3, vcc
	v_cndmask_b32_e32 v2, 3, v2, vcc
	v_cmp_ne_u64_e32 vcc, 0, v[2:3]
	v_cmp_ne_u32_e64 s[28:29], 0, v24
	s_or_b64 s[28:29], s[28:29], vcc
                                        ; implicit-def: $vgpr25
	s_and_saveexec_b64 vcc, s[28:29]
	s_xor_b64 s[28:29], exec, vcc
; %bb.3324:                             ;   in Loop: Header=BB6_3218 Depth=4
	v_min_i32_e32 v3, 31, v24
	v_lshl_or_b32 v3, v3, 2, v7
	v_and_or_b32 v25, v2, 3, v3
                                        ; implicit-def: $vgpr7
; %bb.3325:                             ;   in Loop: Header=BB6_3218 Depth=4
	s_andn2_saveexec_b64 s[28:29], s[28:29]
; %bb.3326:                             ;   in Loop: Header=BB6_3218 Depth=4
	v_mov_b32_e32 v25, v7
; %bb.3327:                             ;   in Loop: Header=BB6_3218 Depth=4
	s_or_b64 exec, exec, s[28:29]
.LBB6_3328:                             ;   in Loop: Header=BB6_3218 Depth=4
	s_or_b64 exec, exec, s[38:39]
                                        ; implicit-def: $vgpr7
.LBB6_3329:                             ;   in Loop: Header=BB6_3218 Depth=4
	s_andn2_saveexec_b64 s[28:29], s[36:37]
; %bb.3330:                             ;   in Loop: Header=BB6_3218 Depth=4
	v_or_b32_e32 v25, 0x7b, v7
; %bb.3331:                             ;   in Loop: Header=BB6_3218 Depth=4
	s_or_b64 exec, exec, s[28:29]
                                        ; implicit-def: $vgpr2
.LBB6_3332:                             ;   in Loop: Header=BB6_3218 Depth=4
	s_andn2_saveexec_b64 s[28:29], s[34:35]
	s_cbranch_execz .LBB6_3338
; %bb.3333:                             ;   in Loop: Header=BB6_3218 Depth=4
	v_cmp_ne_u64_e32 vcc, 0, v[33:34]
                                        ; implicit-def: $vgpr25
	s_and_saveexec_b64 s[34:35], vcc
	s_xor_b64 vcc, exec, s[34:35]
; %bb.3334:                             ;   in Loop: Header=BB6_3218 Depth=4
	v_or_b32_sdwa v25, v2, s83 dst_sel:DWORD dst_unused:UNUSED_PAD src0_sel:BYTE_3 src1_sel:DWORD
                                        ; implicit-def: $vgpr2
; %bb.3335:                             ;   in Loop: Header=BB6_3218 Depth=4
	s_andn2_saveexec_b64 s[34:35], vcc
; %bb.3336:                             ;   in Loop: Header=BB6_3218 Depth=4
	v_cmp_lt_i32_e32 vcc, -1, v2
	v_mov_b32_e32 v2, 0x7c
	v_cndmask_b32_e32 v25, -4, v2, vcc
; %bb.3337:                             ;   in Loop: Header=BB6_3218 Depth=4
	s_or_b64 exec, exec, s[34:35]
.LBB6_3338:                             ;   in Loop: Header=BB6_3218 Depth=4
	s_or_b64 exec, exec, s[28:29]
	v_cmp_ne_u16_e32 vcc, 0, v35
	v_mov_b32_e32 v2, 0
	v_mov_b32_e32 v3, 0
	s_and_saveexec_b64 s[28:29], vcc
	s_cbranch_execz .LBB6_3346
; %bb.3339:                             ;   in Loop: Header=BB6_3218 Depth=4
	v_cmp_ne_u16_e32 vcc, s80, v35
	v_bfrev_b32_e32 v3, 1
	s_and_saveexec_b64 s[34:35], vcc
	s_cbranch_execz .LBB6_3345
; %bb.3340:                             ;   in Loop: Header=BB6_3218 Depth=4
	v_and_b32_e32 v3, 0x7c, v35
	v_and_b32_e32 v7, 3, v35
	v_cmp_ne_u32_e32 vcc, s81, v3
                                        ; implicit-def: $vgpr3
	s_and_saveexec_b64 s[36:37], vcc
	s_xor_b64 s[36:37], exec, s[36:37]
	s_cbranch_execz .LBB6_3342
; %bb.3341:                             ;   in Loop: Header=BB6_3218 Depth=4
	v_ffbh_u32_e32 v24, v7
	v_min_u32_e32 v24, 32, v24
	v_and_b32_e32 v3, 0xff, v35
	v_mov_b32_e32 v36, v34
	v_subrev_u32_e32 v29, 29, v24
	v_bfe_u32 v3, v3, 2, 5
	s_waitcnt vmcnt(0)
	v_lshlrev_b64 v[36:37], v29, v[35:36]
	v_sub_u32_e32 v24, 30, v24
	v_cmp_eq_u32_e32 vcc, 0, v3
	v_and_b32_e32 v29, 3, v36
	v_cndmask_b32_e32 v3, v3, v24, vcc
	v_and_b32_sdwa v24, sext(v35), s82 dst_sel:DWORD dst_unused:UNUSED_PAD src0_sel:WORD_0 src1_sel:DWORD
	v_cndmask_b32_e32 v7, v7, v29, vcc
	v_lshl_add_u32 v3, v3, 23, v24
	v_lshl_or_b32 v3, v7, 21, v3
	v_add_u32_e32 v3, 0x38000000, v3
                                        ; implicit-def: $vgpr7
                                        ; implicit-def: $vgpr35
.LBB6_3342:                             ;   in Loop: Header=BB6_3218 Depth=4
	s_andn2_saveexec_b64 s[36:37], s[36:37]
; %bb.3343:                             ;   in Loop: Header=BB6_3218 Depth=4
	v_cmp_lt_i16_e32 vcc, -1, v35
	v_mov_b32_e32 v3, 0xff800000
	v_mov_b32_e32 v24, 0x7f800000
	v_cndmask_b32_e32 v3, v3, v24, vcc
	v_cmp_eq_u32_e32 vcc, 0, v7
	v_mov_b32_e32 v7, 0x7f800001
	v_cndmask_b32_e32 v3, v7, v3, vcc
; %bb.3344:                             ;   in Loop: Header=BB6_3218 Depth=4
	s_or_b64 exec, exec, s[36:37]
.LBB6_3345:                             ;   in Loop: Header=BB6_3218 Depth=4
	s_or_b64 exec, exec, s[34:35]
.LBB6_3346:                             ;   in Loop: Header=BB6_3218 Depth=4
	s_or_b64 exec, exec, s[28:29]
	v_cmp_ne_u16_e32 vcc, 0, v23
	s_and_saveexec_b64 s[28:29], vcc
	s_cbranch_execz .LBB6_3354
; %bb.3347:                             ;   in Loop: Header=BB6_3218 Depth=4
	v_cmp_ne_u16_e32 vcc, s80, v23
	v_bfrev_b32_e32 v2, 1
	s_and_saveexec_b64 s[34:35], vcc
	s_cbranch_execz .LBB6_3353
; %bb.3348:                             ;   in Loop: Header=BB6_3218 Depth=4
	v_and_b32_e32 v2, 0x7c, v23
	v_and_b32_e32 v7, 3, v23
	v_cmp_ne_u32_e32 vcc, s81, v2
                                        ; implicit-def: $vgpr2
	s_and_saveexec_b64 s[36:37], vcc
	s_xor_b64 s[36:37], exec, s[36:37]
	s_cbranch_execz .LBB6_3350
; %bb.3349:                             ;   in Loop: Header=BB6_3218 Depth=4
	v_ffbh_u32_e32 v29, v7
	v_min_u32_e32 v29, 32, v29
	v_and_b32_e32 v2, 0xff, v23
	v_mov_b32_e32 v24, v34
	v_subrev_u32_e32 v31, 29, v29
	v_bfe_u32 v2, v2, 2, 5
	v_lshlrev_b64 v[35:36], v31, v[23:24]
	v_sub_u32_e32 v24, 30, v29
	v_cmp_eq_u32_e32 vcc, 0, v2
	v_and_b32_e32 v29, 3, v35
	v_cndmask_b32_e32 v2, v2, v24, vcc
	v_and_b32_sdwa v23, sext(v23), s82 dst_sel:DWORD dst_unused:UNUSED_PAD src0_sel:WORD_0 src1_sel:DWORD
	v_cndmask_b32_e32 v7, v7, v29, vcc
	v_lshl_add_u32 v2, v2, 23, v23
	v_lshl_or_b32 v2, v7, 21, v2
	v_add_u32_e32 v2, 0x38000000, v2
                                        ; implicit-def: $vgpr7
                                        ; implicit-def: $vgpr23
.LBB6_3350:                             ;   in Loop: Header=BB6_3218 Depth=4
	s_andn2_saveexec_b64 s[36:37], s[36:37]
; %bb.3351:                             ;   in Loop: Header=BB6_3218 Depth=4
	v_cmp_lt_i16_e32 vcc, -1, v23
	v_mov_b32_e32 v2, 0xff800000
	v_mov_b32_e32 v23, 0x7f800000
	v_cndmask_b32_e32 v2, v2, v23, vcc
	v_cmp_eq_u32_e32 vcc, 0, v7
	v_mov_b32_e32 v7, 0x7f800001
	v_cndmask_b32_e32 v2, v7, v2, vcc
; %bb.3352:                             ;   in Loop: Header=BB6_3218 Depth=4
	s_or_b64 exec, exec, s[36:37]
.LBB6_3353:                             ;   in Loop: Header=BB6_3218 Depth=4
	s_or_b64 exec, exec, s[34:35]
.LBB6_3354:                             ;   in Loop: Header=BB6_3218 Depth=4
	s_or_b64 exec, exec, s[28:29]
	v_mul_f32_e32 v2, v3, v2
	v_and_b32_e32 v23, 0x7f800000, v2
	v_mov_b32_e32 v24, v34
	v_cmp_ne_u64_e32 vcc, s[76:77], v[23:24]
	v_and_b32_e32 v33, 0x7fffff, v2
                                        ; implicit-def: $vgpr24
	s_and_saveexec_b64 s[28:29], vcc
	s_xor_b64 s[34:35], exec, s[28:29]
	s_cbranch_execz .LBB6_3372
; %bb.3355:                             ;   in Loop: Header=BB6_3218 Depth=4
	v_and_b32_e32 v23, 0x7fffffff, v2
	v_mov_b32_e32 v24, v34
	v_cmp_gt_u64_e32 vcc, s[78:79], v[23:24]
	v_and_b32_sdwa v7, v2, s44 dst_sel:DWORD dst_unused:UNUSED_PAD src0_sel:BYTE_3 src1_sel:DWORD
                                        ; implicit-def: $vgpr24
	s_and_saveexec_b64 s[28:29], vcc
	s_xor_b64 s[36:37], exec, s[28:29]
	s_cbranch_execz .LBB6_3369
; %bb.3356:                             ;   in Loop: Header=BB6_3218 Depth=4
	v_cmp_ne_u32_e32 vcc, 0, v2
	v_mov_b32_e32 v24, 0
	s_and_saveexec_b64 s[38:39], vcc
	s_cbranch_execz .LBB6_3368
; %bb.3357:                             ;   in Loop: Header=BB6_3218 Depth=4
	v_bfe_u32 v29, v2, 23, 8
	v_cmp_gt_u32_e64 s[28:29], s45, v29
	v_sub_u32_e32 v2, 0x71, v29
	v_cmp_eq_u32_e32 vcc, 0, v29
	v_cndmask_b32_e64 v2, 0, v2, s[28:29]
	v_mov_b32_e32 v23, 0x70
	v_cndmask_b32_e32 v31, v2, v23, vcc
	v_add_u32_e32 v23, 21, v31
	v_or_b32_e32 v3, 0x800000, v33
	v_lshlrev_b64 v[23:24], v23, -1
	v_cndmask_b32_e32 v2, v3, v33, vcc
	v_mov_b32_e32 v3, v34
	v_add_u32_e32 v33, 20, v31
	v_bfi_b32 v23, v23, 0, v2
	v_lshlrev_b64 v[35:36], v33, 1
	v_lshrrev_b64 v[2:3], v31, v[2:3]
	v_bfi_b32 v24, v24, 0, 0
	v_cmp_eq_u64_e64 s[28:29], v[23:24], v[35:36]
	v_mov_b32_e32 v24, v3
	v_mov_b32_e32 v23, v2
	s_and_saveexec_b64 s[48:49], s[28:29]
; %bb.3358:                             ;   in Loop: Header=BB6_3218 Depth=4
	v_bfe_u32 v3, v2, 21, 1
	v_add_co_u32_e64 v3, s[28:29], v2, v3
	v_add_co_u32_e64 v23, s[28:29], -1, v3
; %bb.3359:                             ;   in Loop: Header=BB6_3218 Depth=4
	s_or_b64 exec, exec, s[48:49]
	v_add_u32_e32 v3, 0xffffff81, v29
	v_mov_b32_e32 v24, 0xffffff82
	v_cndmask_b32_e32 v3, v3, v24, vcc
	v_lshrrev_b32_e32 v24, 23, v2
	v_add3_u32 v29, v31, v3, v24
	v_add_u32_e32 v24, 14, v29
	v_and_b32_e32 v3, 0x1fffff, v23
	v_add_u32_e32 v33, v3, v2
	v_cmp_ne_u32_e32 vcc, 0, v24
                                        ; implicit-def: $vgpr2_vgpr3
                                        ; implicit-def: $vgpr23
	s_and_saveexec_b64 s[28:29], vcc
	s_xor_b64 s[28:29], exec, s[28:29]
; %bb.3360:                             ;   in Loop: Header=BB6_3218 Depth=4
	v_cmp_lt_u64_e32 vcc, s[88:89], v[33:34]
	v_add_u32_e32 v2, 15, v29
	v_cndmask_b32_e32 v23, v24, v2, vcc
	v_cndmask_b32_e64 v2, 0, 1, vcc
	v_lshrrev_b64 v[2:3], v2, v[33:34]
; %bb.3361:                             ;   in Loop: Header=BB6_3218 Depth=4
	s_andn2_saveexec_b64 s[28:29], s[28:29]
; %bb.3362:                             ;   in Loop: Header=BB6_3218 Depth=4
	v_mov_b32_e32 v2, v33
	v_mov_b32_e32 v3, v34
	v_bfe_u32 v23, v33, 23, 1
; %bb.3363:                             ;   in Loop: Header=BB6_3218 Depth=4
	s_or_b64 exec, exec, s[28:29]
	v_lshrrev_b64 v[2:3], 21, v[2:3]
	v_cmp_gt_i32_e32 vcc, 32, v23
	v_cndmask_b32_e32 v3, 0, v3, vcc
	v_cndmask_b32_e32 v2, 3, v2, vcc
	v_cmp_ne_u64_e32 vcc, 0, v[2:3]
	v_cmp_ne_u32_e64 s[28:29], 0, v23
	s_or_b64 s[28:29], s[28:29], vcc
                                        ; implicit-def: $vgpr24
	s_and_saveexec_b64 vcc, s[28:29]
	s_xor_b64 s[28:29], exec, vcc
; %bb.3364:                             ;   in Loop: Header=BB6_3218 Depth=4
	v_min_i32_e32 v3, 31, v23
	v_lshl_or_b32 v3, v3, 2, v7
	v_and_or_b32 v24, v2, 3, v3
                                        ; implicit-def: $vgpr7
; %bb.3365:                             ;   in Loop: Header=BB6_3218 Depth=4
	s_andn2_saveexec_b64 s[28:29], s[28:29]
; %bb.3366:                             ;   in Loop: Header=BB6_3218 Depth=4
	v_mov_b32_e32 v24, v7
; %bb.3367:                             ;   in Loop: Header=BB6_3218 Depth=4
	s_or_b64 exec, exec, s[28:29]
.LBB6_3368:                             ;   in Loop: Header=BB6_3218 Depth=4
	s_or_b64 exec, exec, s[38:39]
                                        ; implicit-def: $vgpr7
.LBB6_3369:                             ;   in Loop: Header=BB6_3218 Depth=4
	s_andn2_saveexec_b64 s[28:29], s[36:37]
; %bb.3370:                             ;   in Loop: Header=BB6_3218 Depth=4
	v_or_b32_e32 v24, 0x7b, v7
; %bb.3371:                             ;   in Loop: Header=BB6_3218 Depth=4
	s_or_b64 exec, exec, s[28:29]
                                        ; implicit-def: $vgpr2
.LBB6_3372:                             ;   in Loop: Header=BB6_3218 Depth=4
	s_andn2_saveexec_b64 s[28:29], s[34:35]
	s_cbranch_execz .LBB6_3378
; %bb.3373:                             ;   in Loop: Header=BB6_3218 Depth=4
	v_cmp_ne_u64_e32 vcc, 0, v[33:34]
                                        ; implicit-def: $vgpr24
	s_and_saveexec_b64 s[34:35], vcc
	s_xor_b64 vcc, exec, s[34:35]
; %bb.3374:                             ;   in Loop: Header=BB6_3218 Depth=4
	v_or_b32_sdwa v24, v2, s83 dst_sel:DWORD dst_unused:UNUSED_PAD src0_sel:BYTE_3 src1_sel:DWORD
                                        ; implicit-def: $vgpr2
; %bb.3375:                             ;   in Loop: Header=BB6_3218 Depth=4
	s_andn2_saveexec_b64 s[34:35], vcc
; %bb.3376:                             ;   in Loop: Header=BB6_3218 Depth=4
	v_cmp_lt_i32_e32 vcc, -1, v2
	v_mov_b32_e32 v2, 0x7c
	v_cndmask_b32_e32 v24, -4, v2, vcc
; %bb.3377:                             ;   in Loop: Header=BB6_3218 Depth=4
	s_or_b64 exec, exec, s[34:35]
.LBB6_3378:                             ;   in Loop: Header=BB6_3218 Depth=4
	s_or_b64 exec, exec, s[28:29]
	v_cmp_ne_u16_e32 vcc, 0, v22
	v_mov_b32_e32 v2, 0
	v_mov_b32_e32 v3, 0
	s_and_saveexec_b64 s[28:29], vcc
	s_cbranch_execz .LBB6_3386
; %bb.3379:                             ;   in Loop: Header=BB6_3218 Depth=4
	v_cmp_ne_u16_e32 vcc, s80, v22
	v_bfrev_b32_e32 v3, 1
	s_and_saveexec_b64 s[34:35], vcc
	s_cbranch_execz .LBB6_3385
; %bb.3380:                             ;   in Loop: Header=BB6_3218 Depth=4
	v_and_b32_e32 v3, 0x7c, v22
	v_and_b32_e32 v7, 3, v22
	v_cmp_ne_u32_e32 vcc, s81, v3
                                        ; implicit-def: $vgpr3
	s_and_saveexec_b64 s[36:37], vcc
	s_xor_b64 s[36:37], exec, s[36:37]
	s_cbranch_execz .LBB6_3382
; %bb.3381:                             ;   in Loop: Header=BB6_3218 Depth=4
	v_ffbh_u32_e32 v29, v7
	v_min_u32_e32 v29, 32, v29
	v_and_b32_e32 v3, 0xff, v22
	v_mov_b32_e32 v23, v34
	v_subrev_u32_e32 v31, 29, v29
	v_bfe_u32 v3, v3, 2, 5
	v_lshlrev_b64 v[35:36], v31, v[22:23]
	v_sub_u32_e32 v23, 30, v29
	v_cmp_eq_u32_e32 vcc, 0, v3
	v_and_b32_e32 v29, 3, v35
	v_cndmask_b32_e32 v3, v3, v23, vcc
	v_and_b32_sdwa v22, sext(v22), s82 dst_sel:DWORD dst_unused:UNUSED_PAD src0_sel:WORD_0 src1_sel:DWORD
	v_cndmask_b32_e32 v7, v7, v29, vcc
	v_lshl_add_u32 v3, v3, 23, v22
	v_lshl_or_b32 v3, v7, 21, v3
	v_add_u32_e32 v3, 0x38000000, v3
                                        ; implicit-def: $vgpr7
                                        ; implicit-def: $vgpr22
.LBB6_3382:                             ;   in Loop: Header=BB6_3218 Depth=4
	s_andn2_saveexec_b64 s[36:37], s[36:37]
; %bb.3383:                             ;   in Loop: Header=BB6_3218 Depth=4
	v_cmp_lt_i16_e32 vcc, -1, v22
	v_mov_b32_e32 v3, 0xff800000
	v_mov_b32_e32 v22, 0x7f800000
	v_cndmask_b32_e32 v3, v3, v22, vcc
	v_cmp_eq_u32_e32 vcc, 0, v7
	v_mov_b32_e32 v7, 0x7f800001
	v_cndmask_b32_e32 v3, v7, v3, vcc
; %bb.3384:                             ;   in Loop: Header=BB6_3218 Depth=4
	s_or_b64 exec, exec, s[36:37]
.LBB6_3385:                             ;   in Loop: Header=BB6_3218 Depth=4
	s_or_b64 exec, exec, s[34:35]
.LBB6_3386:                             ;   in Loop: Header=BB6_3218 Depth=4
	s_or_b64 exec, exec, s[28:29]
	v_cmp_ne_u16_e32 vcc, 0, v21
	s_and_saveexec_b64 s[28:29], vcc
	s_cbranch_execz .LBB6_3394
; %bb.3387:                             ;   in Loop: Header=BB6_3218 Depth=4
	v_cmp_ne_u16_e32 vcc, s80, v21
	v_bfrev_b32_e32 v2, 1
	s_and_saveexec_b64 s[34:35], vcc
	s_cbranch_execz .LBB6_3393
; %bb.3388:                             ;   in Loop: Header=BB6_3218 Depth=4
	v_and_b32_e32 v2, 0x7c, v21
	v_and_b32_e32 v7, 3, v21
	v_cmp_ne_u32_e32 vcc, s81, v2
                                        ; implicit-def: $vgpr2
	s_and_saveexec_b64 s[36:37], vcc
	s_xor_b64 s[36:37], exec, s[36:37]
	s_cbranch_execz .LBB6_3390
; %bb.3389:                             ;   in Loop: Header=BB6_3218 Depth=4
	v_ffbh_u32_e32 v23, v7
	v_min_u32_e32 v29, 32, v23
	v_and_b32_e32 v2, 0xff, v21
	v_mov_b32_e32 v22, v34
	v_subrev_u32_e32 v23, 29, v29
	v_bfe_u32 v2, v2, 2, 5
	v_lshlrev_b64 v[22:23], v23, v[21:22]
	v_sub_u32_e32 v23, 30, v29
	v_cmp_eq_u32_e32 vcc, 0, v2
	v_and_b32_e32 v22, 3, v22
	v_cndmask_b32_e32 v2, v2, v23, vcc
	v_and_b32_sdwa v21, sext(v21), s82 dst_sel:DWORD dst_unused:UNUSED_PAD src0_sel:WORD_0 src1_sel:DWORD
	v_cndmask_b32_e32 v7, v7, v22, vcc
	v_lshl_add_u32 v2, v2, 23, v21
	v_lshl_or_b32 v2, v7, 21, v2
	v_add_u32_e32 v2, 0x38000000, v2
                                        ; implicit-def: $vgpr7
                                        ; implicit-def: $vgpr21
.LBB6_3390:                             ;   in Loop: Header=BB6_3218 Depth=4
	s_andn2_saveexec_b64 s[36:37], s[36:37]
; %bb.3391:                             ;   in Loop: Header=BB6_3218 Depth=4
	v_cmp_lt_i16_e32 vcc, -1, v21
	v_mov_b32_e32 v2, 0xff800000
	v_mov_b32_e32 v21, 0x7f800000
	v_cndmask_b32_e32 v2, v2, v21, vcc
	v_cmp_eq_u32_e32 vcc, 0, v7
	v_mov_b32_e32 v7, 0x7f800001
	v_cndmask_b32_e32 v2, v7, v2, vcc
; %bb.3392:                             ;   in Loop: Header=BB6_3218 Depth=4
	s_or_b64 exec, exec, s[36:37]
.LBB6_3393:                             ;   in Loop: Header=BB6_3218 Depth=4
	s_or_b64 exec, exec, s[34:35]
.LBB6_3394:                             ;   in Loop: Header=BB6_3218 Depth=4
	s_or_b64 exec, exec, s[28:29]
	v_mul_f32_e32 v2, v3, v2
	v_and_b32_e32 v21, 0x7f800000, v2
	v_mov_b32_e32 v22, v34
	v_cmp_ne_u64_e32 vcc, s[76:77], v[21:22]
	v_and_b32_e32 v33, 0x7fffff, v2
                                        ; implicit-def: $vgpr22
	s_and_saveexec_b64 s[28:29], vcc
	s_xor_b64 s[34:35], exec, s[28:29]
	s_cbranch_execz .LBB6_3412
; %bb.3395:                             ;   in Loop: Header=BB6_3218 Depth=4
	v_and_b32_e32 v21, 0x7fffffff, v2
	v_mov_b32_e32 v22, v34
	v_cmp_gt_u64_e32 vcc, s[78:79], v[21:22]
	v_and_b32_sdwa v7, v2, s44 dst_sel:DWORD dst_unused:UNUSED_PAD src0_sel:BYTE_3 src1_sel:DWORD
                                        ; implicit-def: $vgpr22
	s_and_saveexec_b64 s[28:29], vcc
	s_xor_b64 s[36:37], exec, s[28:29]
	s_cbranch_execz .LBB6_3409
; %bb.3396:                             ;   in Loop: Header=BB6_3218 Depth=4
	v_cmp_ne_u32_e32 vcc, 0, v2
	v_mov_b32_e32 v22, 0
	s_and_saveexec_b64 s[38:39], vcc
	s_cbranch_execz .LBB6_3408
; %bb.3397:                             ;   in Loop: Header=BB6_3218 Depth=4
	v_bfe_u32 v23, v2, 23, 8
	v_cmp_gt_u32_e64 s[28:29], s45, v23
	v_sub_u32_e32 v2, 0x71, v23
	v_cmp_eq_u32_e32 vcc, 0, v23
	v_cndmask_b32_e64 v2, 0, v2, s[28:29]
	v_mov_b32_e32 v21, 0x70
	v_cndmask_b32_e32 v29, v2, v21, vcc
	v_add_u32_e32 v21, 21, v29
	v_or_b32_e32 v3, 0x800000, v33
	v_lshlrev_b64 v[21:22], v21, -1
	v_cndmask_b32_e32 v2, v3, v33, vcc
	v_mov_b32_e32 v3, v34
	v_add_u32_e32 v31, 20, v29
	v_bfi_b32 v21, v21, 0, v2
	v_lshlrev_b64 v[35:36], v31, 1
	v_lshrrev_b64 v[2:3], v29, v[2:3]
	v_bfi_b32 v22, v22, 0, 0
	v_cmp_eq_u64_e64 s[28:29], v[21:22], v[35:36]
	v_mov_b32_e32 v22, v3
	v_mov_b32_e32 v21, v2
	s_and_saveexec_b64 s[48:49], s[28:29]
; %bb.3398:                             ;   in Loop: Header=BB6_3218 Depth=4
	v_bfe_u32 v3, v2, 21, 1
	v_add_co_u32_e64 v3, s[28:29], v2, v3
	v_add_co_u32_e64 v21, s[28:29], -1, v3
; %bb.3399:                             ;   in Loop: Header=BB6_3218 Depth=4
	s_or_b64 exec, exec, s[48:49]
	v_add_u32_e32 v3, 0xffffff81, v23
	v_mov_b32_e32 v22, 0xffffff82
	v_cndmask_b32_e32 v3, v3, v22, vcc
	v_lshrrev_b32_e32 v22, 23, v2
	v_add3_u32 v23, v29, v3, v22
	v_add_u32_e32 v22, 14, v23
	v_and_b32_e32 v3, 0x1fffff, v21
	v_add_u32_e32 v33, v3, v2
	v_cmp_ne_u32_e32 vcc, 0, v22
                                        ; implicit-def: $vgpr2_vgpr3
                                        ; implicit-def: $vgpr21
	s_and_saveexec_b64 s[28:29], vcc
	s_xor_b64 s[28:29], exec, s[28:29]
; %bb.3400:                             ;   in Loop: Header=BB6_3218 Depth=4
	v_cmp_lt_u64_e32 vcc, s[88:89], v[33:34]
	v_add_u32_e32 v2, 15, v23
	v_cndmask_b32_e32 v21, v22, v2, vcc
	v_cndmask_b32_e64 v2, 0, 1, vcc
	v_lshrrev_b64 v[2:3], v2, v[33:34]
; %bb.3401:                             ;   in Loop: Header=BB6_3218 Depth=4
	s_andn2_saveexec_b64 s[28:29], s[28:29]
; %bb.3402:                             ;   in Loop: Header=BB6_3218 Depth=4
	v_mov_b32_e32 v2, v33
	v_mov_b32_e32 v3, v34
	v_bfe_u32 v21, v33, 23, 1
; %bb.3403:                             ;   in Loop: Header=BB6_3218 Depth=4
	s_or_b64 exec, exec, s[28:29]
	v_lshrrev_b64 v[2:3], 21, v[2:3]
	v_cmp_gt_i32_e32 vcc, 32, v21
	v_cndmask_b32_e32 v3, 0, v3, vcc
	v_cndmask_b32_e32 v2, 3, v2, vcc
	v_cmp_ne_u64_e32 vcc, 0, v[2:3]
	v_cmp_ne_u32_e64 s[28:29], 0, v21
	s_or_b64 s[28:29], s[28:29], vcc
                                        ; implicit-def: $vgpr22
	s_and_saveexec_b64 vcc, s[28:29]
	s_xor_b64 s[28:29], exec, vcc
; %bb.3404:                             ;   in Loop: Header=BB6_3218 Depth=4
	v_min_i32_e32 v3, 31, v21
	v_lshl_or_b32 v3, v3, 2, v7
	v_and_or_b32 v22, v2, 3, v3
                                        ; implicit-def: $vgpr7
; %bb.3405:                             ;   in Loop: Header=BB6_3218 Depth=4
	s_andn2_saveexec_b64 s[28:29], s[28:29]
; %bb.3406:                             ;   in Loop: Header=BB6_3218 Depth=4
	v_mov_b32_e32 v22, v7
; %bb.3407:                             ;   in Loop: Header=BB6_3218 Depth=4
	s_or_b64 exec, exec, s[28:29]
.LBB6_3408:                             ;   in Loop: Header=BB6_3218 Depth=4
	s_or_b64 exec, exec, s[38:39]
                                        ; implicit-def: $vgpr7
.LBB6_3409:                             ;   in Loop: Header=BB6_3218 Depth=4
	s_andn2_saveexec_b64 s[28:29], s[36:37]
; %bb.3410:                             ;   in Loop: Header=BB6_3218 Depth=4
	v_or_b32_e32 v22, 0x7b, v7
; %bb.3411:                             ;   in Loop: Header=BB6_3218 Depth=4
	s_or_b64 exec, exec, s[28:29]
                                        ; implicit-def: $vgpr2
.LBB6_3412:                             ;   in Loop: Header=BB6_3218 Depth=4
	s_andn2_saveexec_b64 s[28:29], s[34:35]
	s_cbranch_execz .LBB6_3418
; %bb.3413:                             ;   in Loop: Header=BB6_3218 Depth=4
	v_cmp_ne_u64_e32 vcc, 0, v[33:34]
                                        ; implicit-def: $vgpr22
	s_and_saveexec_b64 s[34:35], vcc
	s_xor_b64 vcc, exec, s[34:35]
; %bb.3414:                             ;   in Loop: Header=BB6_3218 Depth=4
	v_or_b32_sdwa v22, v2, s83 dst_sel:DWORD dst_unused:UNUSED_PAD src0_sel:BYTE_3 src1_sel:DWORD
                                        ; implicit-def: $vgpr2
; %bb.3415:                             ;   in Loop: Header=BB6_3218 Depth=4
	s_andn2_saveexec_b64 s[34:35], vcc
; %bb.3416:                             ;   in Loop: Header=BB6_3218 Depth=4
	v_cmp_lt_i32_e32 vcc, -1, v2
	v_mov_b32_e32 v2, 0x7c
	v_cndmask_b32_e32 v22, -4, v2, vcc
; %bb.3417:                             ;   in Loop: Header=BB6_3218 Depth=4
	s_or_b64 exec, exec, s[34:35]
.LBB6_3418:                             ;   in Loop: Header=BB6_3218 Depth=4
	s_or_b64 exec, exec, s[28:29]
	v_cmp_ne_u16_e32 vcc, 0, v20
	v_mov_b32_e32 v2, 0
	v_mov_b32_e32 v3, 0
	s_and_saveexec_b64 s[28:29], vcc
	s_cbranch_execz .LBB6_3426
; %bb.3419:                             ;   in Loop: Header=BB6_3218 Depth=4
	v_cmp_ne_u16_e32 vcc, s80, v20
	v_bfrev_b32_e32 v3, 1
	s_and_saveexec_b64 s[34:35], vcc
	s_cbranch_execz .LBB6_3425
; %bb.3420:                             ;   in Loop: Header=BB6_3218 Depth=4
	v_and_b32_e32 v3, 0x7c, v20
	v_and_b32_e32 v7, 3, v20
	v_cmp_ne_u32_e32 vcc, s81, v3
                                        ; implicit-def: $vgpr3
	s_and_saveexec_b64 s[36:37], vcc
	s_xor_b64 s[36:37], exec, s[36:37]
	s_cbranch_execz .LBB6_3422
; %bb.3421:                             ;   in Loop: Header=BB6_3218 Depth=4
	v_ffbh_u32_e32 v23, v7
	v_min_u32_e32 v23, 32, v23
	v_and_b32_e32 v3, 0xff, v20
	v_mov_b32_e32 v21, v34
	v_subrev_u32_e32 v29, 29, v23
	v_bfe_u32 v3, v3, 2, 5
	v_lshlrev_b64 v[35:36], v29, v[20:21]
	v_sub_u32_e32 v21, 30, v23
	v_cmp_eq_u32_e32 vcc, 0, v3
	v_and_b32_e32 v23, 3, v35
	v_cndmask_b32_e32 v3, v3, v21, vcc
	v_and_b32_sdwa v20, sext(v20), s82 dst_sel:DWORD dst_unused:UNUSED_PAD src0_sel:WORD_0 src1_sel:DWORD
	v_cndmask_b32_e32 v7, v7, v23, vcc
	v_lshl_add_u32 v3, v3, 23, v20
	v_lshl_or_b32 v3, v7, 21, v3
	v_add_u32_e32 v3, 0x38000000, v3
                                        ; implicit-def: $vgpr7
                                        ; implicit-def: $vgpr20
.LBB6_3422:                             ;   in Loop: Header=BB6_3218 Depth=4
	s_andn2_saveexec_b64 s[36:37], s[36:37]
; %bb.3423:                             ;   in Loop: Header=BB6_3218 Depth=4
	v_cmp_lt_i16_e32 vcc, -1, v20
	v_mov_b32_e32 v3, 0xff800000
	v_mov_b32_e32 v20, 0x7f800000
	v_cndmask_b32_e32 v3, v3, v20, vcc
	v_cmp_eq_u32_e32 vcc, 0, v7
	v_mov_b32_e32 v7, 0x7f800001
	v_cndmask_b32_e32 v3, v7, v3, vcc
; %bb.3424:                             ;   in Loop: Header=BB6_3218 Depth=4
	s_or_b64 exec, exec, s[36:37]
.LBB6_3425:                             ;   in Loop: Header=BB6_3218 Depth=4
	s_or_b64 exec, exec, s[34:35]
.LBB6_3426:                             ;   in Loop: Header=BB6_3218 Depth=4
	s_or_b64 exec, exec, s[28:29]
	v_cmp_ne_u16_e32 vcc, 0, v19
	s_and_saveexec_b64 s[28:29], vcc
	s_cbranch_execz .LBB6_3434
; %bb.3427:                             ;   in Loop: Header=BB6_3218 Depth=4
	v_cmp_ne_u16_e32 vcc, s80, v19
	v_bfrev_b32_e32 v2, 1
	s_and_saveexec_b64 s[34:35], vcc
	s_cbranch_execz .LBB6_3433
; %bb.3428:                             ;   in Loop: Header=BB6_3218 Depth=4
	v_and_b32_e32 v2, 0x7c, v19
	v_and_b32_e32 v7, 3, v19
	v_cmp_ne_u32_e32 vcc, s81, v2
                                        ; implicit-def: $vgpr2
	s_and_saveexec_b64 s[36:37], vcc
	s_xor_b64 s[36:37], exec, s[36:37]
	s_cbranch_execz .LBB6_3430
; %bb.3429:                             ;   in Loop: Header=BB6_3218 Depth=4
	v_ffbh_u32_e32 v21, v7
	v_min_u32_e32 v23, 32, v21
	v_and_b32_e32 v2, 0xff, v19
	v_mov_b32_e32 v20, v34
	v_subrev_u32_e32 v21, 29, v23
	v_bfe_u32 v2, v2, 2, 5
	v_lshlrev_b64 v[20:21], v21, v[19:20]
	v_sub_u32_e32 v21, 30, v23
	v_cmp_eq_u32_e32 vcc, 0, v2
	v_and_b32_e32 v20, 3, v20
	v_cndmask_b32_e32 v2, v2, v21, vcc
	v_and_b32_sdwa v19, sext(v19), s82 dst_sel:DWORD dst_unused:UNUSED_PAD src0_sel:WORD_0 src1_sel:DWORD
	v_cndmask_b32_e32 v7, v7, v20, vcc
	v_lshl_add_u32 v2, v2, 23, v19
	v_lshl_or_b32 v2, v7, 21, v2
	v_add_u32_e32 v2, 0x38000000, v2
                                        ; implicit-def: $vgpr7
                                        ; implicit-def: $vgpr19
.LBB6_3430:                             ;   in Loop: Header=BB6_3218 Depth=4
	s_andn2_saveexec_b64 s[36:37], s[36:37]
; %bb.3431:                             ;   in Loop: Header=BB6_3218 Depth=4
	v_cmp_lt_i16_e32 vcc, -1, v19
	v_mov_b32_e32 v2, 0xff800000
	v_mov_b32_e32 v19, 0x7f800000
	v_cndmask_b32_e32 v2, v2, v19, vcc
	v_cmp_eq_u32_e32 vcc, 0, v7
	v_mov_b32_e32 v7, 0x7f800001
	v_cndmask_b32_e32 v2, v7, v2, vcc
; %bb.3432:                             ;   in Loop: Header=BB6_3218 Depth=4
	s_or_b64 exec, exec, s[36:37]
.LBB6_3433:                             ;   in Loop: Header=BB6_3218 Depth=4
	s_or_b64 exec, exec, s[34:35]
.LBB6_3434:                             ;   in Loop: Header=BB6_3218 Depth=4
	s_or_b64 exec, exec, s[28:29]
	v_mul_f32_e32 v2, v3, v2
	v_and_b32_e32 v19, 0x7f800000, v2
	v_mov_b32_e32 v20, v34
	v_cmp_ne_u64_e32 vcc, s[76:77], v[19:20]
	v_and_b32_e32 v33, 0x7fffff, v2
                                        ; implicit-def: $vgpr20
	s_and_saveexec_b64 s[28:29], vcc
	s_xor_b64 s[34:35], exec, s[28:29]
	s_cbranch_execz .LBB6_3452
; %bb.3435:                             ;   in Loop: Header=BB6_3218 Depth=4
	v_and_b32_e32 v19, 0x7fffffff, v2
	v_mov_b32_e32 v20, v34
	v_cmp_gt_u64_e32 vcc, s[78:79], v[19:20]
	v_and_b32_sdwa v7, v2, s44 dst_sel:DWORD dst_unused:UNUSED_PAD src0_sel:BYTE_3 src1_sel:DWORD
                                        ; implicit-def: $vgpr20
	s_and_saveexec_b64 s[28:29], vcc
	s_xor_b64 s[36:37], exec, s[28:29]
	s_cbranch_execz .LBB6_3449
; %bb.3436:                             ;   in Loop: Header=BB6_3218 Depth=4
	v_cmp_ne_u32_e32 vcc, 0, v2
	v_mov_b32_e32 v20, 0
	s_and_saveexec_b64 s[38:39], vcc
	s_cbranch_execz .LBB6_3448
; %bb.3437:                             ;   in Loop: Header=BB6_3218 Depth=4
	v_bfe_u32 v21, v2, 23, 8
	v_cmp_gt_u32_e64 s[28:29], s45, v21
	v_sub_u32_e32 v2, 0x71, v21
	v_cmp_eq_u32_e32 vcc, 0, v21
	v_cndmask_b32_e64 v2, 0, v2, s[28:29]
	v_mov_b32_e32 v19, 0x70
	v_cndmask_b32_e32 v23, v2, v19, vcc
	v_add_u32_e32 v19, 21, v23
	v_or_b32_e32 v3, 0x800000, v33
	v_lshlrev_b64 v[19:20], v19, -1
	v_cndmask_b32_e32 v2, v3, v33, vcc
	v_mov_b32_e32 v3, v34
	v_add_u32_e32 v29, 20, v23
	v_bfi_b32 v19, v19, 0, v2
	v_lshlrev_b64 v[35:36], v29, 1
	v_lshrrev_b64 v[2:3], v23, v[2:3]
	v_bfi_b32 v20, v20, 0, 0
	v_cmp_eq_u64_e64 s[28:29], v[19:20], v[35:36]
	v_mov_b32_e32 v20, v3
	v_mov_b32_e32 v19, v2
	s_and_saveexec_b64 s[48:49], s[28:29]
; %bb.3438:                             ;   in Loop: Header=BB6_3218 Depth=4
	v_bfe_u32 v3, v2, 21, 1
	v_add_co_u32_e64 v3, s[28:29], v2, v3
	v_add_co_u32_e64 v19, s[28:29], -1, v3
; %bb.3439:                             ;   in Loop: Header=BB6_3218 Depth=4
	s_or_b64 exec, exec, s[48:49]
	v_add_u32_e32 v3, 0xffffff81, v21
	v_mov_b32_e32 v20, 0xffffff82
	v_cndmask_b32_e32 v3, v3, v20, vcc
	v_lshrrev_b32_e32 v20, 23, v2
	v_add3_u32 v21, v23, v3, v20
	v_add_u32_e32 v20, 14, v21
	v_and_b32_e32 v3, 0x1fffff, v19
	v_add_u32_e32 v33, v3, v2
	v_cmp_ne_u32_e32 vcc, 0, v20
                                        ; implicit-def: $vgpr2_vgpr3
                                        ; implicit-def: $vgpr19
	s_and_saveexec_b64 s[28:29], vcc
	s_xor_b64 s[28:29], exec, s[28:29]
; %bb.3440:                             ;   in Loop: Header=BB6_3218 Depth=4
	v_cmp_lt_u64_e32 vcc, s[88:89], v[33:34]
	v_add_u32_e32 v2, 15, v21
	v_cndmask_b32_e32 v19, v20, v2, vcc
	v_cndmask_b32_e64 v2, 0, 1, vcc
	v_lshrrev_b64 v[2:3], v2, v[33:34]
; %bb.3441:                             ;   in Loop: Header=BB6_3218 Depth=4
	s_andn2_saveexec_b64 s[28:29], s[28:29]
; %bb.3442:                             ;   in Loop: Header=BB6_3218 Depth=4
	v_mov_b32_e32 v2, v33
	v_mov_b32_e32 v3, v34
	v_bfe_u32 v19, v33, 23, 1
; %bb.3443:                             ;   in Loop: Header=BB6_3218 Depth=4
	s_or_b64 exec, exec, s[28:29]
	v_lshrrev_b64 v[2:3], 21, v[2:3]
	v_cmp_gt_i32_e32 vcc, 32, v19
	v_cndmask_b32_e32 v3, 0, v3, vcc
	v_cndmask_b32_e32 v2, 3, v2, vcc
	v_cmp_ne_u64_e32 vcc, 0, v[2:3]
	v_cmp_ne_u32_e64 s[28:29], 0, v19
	s_or_b64 s[28:29], s[28:29], vcc
                                        ; implicit-def: $vgpr20
	s_and_saveexec_b64 vcc, s[28:29]
	s_xor_b64 s[28:29], exec, vcc
; %bb.3444:                             ;   in Loop: Header=BB6_3218 Depth=4
	v_min_i32_e32 v3, 31, v19
	v_lshl_or_b32 v3, v3, 2, v7
	v_and_or_b32 v20, v2, 3, v3
                                        ; implicit-def: $vgpr7
; %bb.3445:                             ;   in Loop: Header=BB6_3218 Depth=4
	s_andn2_saveexec_b64 s[28:29], s[28:29]
; %bb.3446:                             ;   in Loop: Header=BB6_3218 Depth=4
	v_mov_b32_e32 v20, v7
; %bb.3447:                             ;   in Loop: Header=BB6_3218 Depth=4
	s_or_b64 exec, exec, s[28:29]
.LBB6_3448:                             ;   in Loop: Header=BB6_3218 Depth=4
	s_or_b64 exec, exec, s[38:39]
                                        ; implicit-def: $vgpr7
.LBB6_3449:                             ;   in Loop: Header=BB6_3218 Depth=4
	s_andn2_saveexec_b64 s[28:29], s[36:37]
; %bb.3450:                             ;   in Loop: Header=BB6_3218 Depth=4
	v_or_b32_e32 v20, 0x7b, v7
; %bb.3451:                             ;   in Loop: Header=BB6_3218 Depth=4
	s_or_b64 exec, exec, s[28:29]
                                        ; implicit-def: $vgpr2
.LBB6_3452:                             ;   in Loop: Header=BB6_3218 Depth=4
	s_andn2_saveexec_b64 s[28:29], s[34:35]
	s_cbranch_execz .LBB6_3458
; %bb.3453:                             ;   in Loop: Header=BB6_3218 Depth=4
	v_cmp_ne_u64_e32 vcc, 0, v[33:34]
                                        ; implicit-def: $vgpr20
	s_and_saveexec_b64 s[34:35], vcc
	s_xor_b64 vcc, exec, s[34:35]
; %bb.3454:                             ;   in Loop: Header=BB6_3218 Depth=4
	v_or_b32_sdwa v20, v2, s83 dst_sel:DWORD dst_unused:UNUSED_PAD src0_sel:BYTE_3 src1_sel:DWORD
                                        ; implicit-def: $vgpr2
; %bb.3455:                             ;   in Loop: Header=BB6_3218 Depth=4
	s_andn2_saveexec_b64 s[34:35], vcc
; %bb.3456:                             ;   in Loop: Header=BB6_3218 Depth=4
	v_cmp_lt_i32_e32 vcc, -1, v2
	v_mov_b32_e32 v2, 0x7c
	v_cndmask_b32_e32 v20, -4, v2, vcc
; %bb.3457:                             ;   in Loop: Header=BB6_3218 Depth=4
	s_or_b64 exec, exec, s[34:35]
.LBB6_3458:                             ;   in Loop: Header=BB6_3218 Depth=4
	s_or_b64 exec, exec, s[28:29]
	v_cmp_ne_u16_e32 vcc, 0, v18
	v_mov_b32_e32 v2, 0
	v_mov_b32_e32 v3, 0
	s_and_saveexec_b64 s[28:29], vcc
	s_cbranch_execz .LBB6_3466
; %bb.3459:                             ;   in Loop: Header=BB6_3218 Depth=4
	v_cmp_ne_u16_e32 vcc, s80, v18
	v_bfrev_b32_e32 v3, 1
	s_and_saveexec_b64 s[34:35], vcc
	s_cbranch_execz .LBB6_3465
; %bb.3460:                             ;   in Loop: Header=BB6_3218 Depth=4
	v_and_b32_e32 v3, 0x7c, v18
	v_and_b32_e32 v7, 3, v18
	v_cmp_ne_u32_e32 vcc, s81, v3
                                        ; implicit-def: $vgpr3
	s_and_saveexec_b64 s[36:37], vcc
	s_xor_b64 s[36:37], exec, s[36:37]
	s_cbranch_execz .LBB6_3462
; %bb.3461:                             ;   in Loop: Header=BB6_3218 Depth=4
	v_ffbh_u32_e32 v21, v7
	v_min_u32_e32 v21, 32, v21
	v_and_b32_e32 v3, 0xff, v18
	v_mov_b32_e32 v19, v34
	v_subrev_u32_e32 v23, 29, v21
	v_bfe_u32 v3, v3, 2, 5
	v_lshlrev_b64 v[35:36], v23, v[18:19]
	v_sub_u32_e32 v19, 30, v21
	v_cmp_eq_u32_e32 vcc, 0, v3
	v_and_b32_e32 v21, 3, v35
	v_cndmask_b32_e32 v3, v3, v19, vcc
	v_and_b32_sdwa v18, sext(v18), s82 dst_sel:DWORD dst_unused:UNUSED_PAD src0_sel:WORD_0 src1_sel:DWORD
	v_cndmask_b32_e32 v7, v7, v21, vcc
	v_lshl_add_u32 v3, v3, 23, v18
	v_lshl_or_b32 v3, v7, 21, v3
	v_add_u32_e32 v3, 0x38000000, v3
                                        ; implicit-def: $vgpr7
                                        ; implicit-def: $vgpr18
.LBB6_3462:                             ;   in Loop: Header=BB6_3218 Depth=4
	s_andn2_saveexec_b64 s[36:37], s[36:37]
; %bb.3463:                             ;   in Loop: Header=BB6_3218 Depth=4
	v_cmp_lt_i16_e32 vcc, -1, v18
	v_mov_b32_e32 v3, 0xff800000
	v_mov_b32_e32 v18, 0x7f800000
	v_cndmask_b32_e32 v3, v3, v18, vcc
	v_cmp_eq_u32_e32 vcc, 0, v7
	v_mov_b32_e32 v7, 0x7f800001
	v_cndmask_b32_e32 v3, v7, v3, vcc
; %bb.3464:                             ;   in Loop: Header=BB6_3218 Depth=4
	s_or_b64 exec, exec, s[36:37]
.LBB6_3465:                             ;   in Loop: Header=BB6_3218 Depth=4
	s_or_b64 exec, exec, s[34:35]
.LBB6_3466:                             ;   in Loop: Header=BB6_3218 Depth=4
	s_or_b64 exec, exec, s[28:29]
	v_cmp_ne_u16_e32 vcc, 0, v17
	s_and_saveexec_b64 s[28:29], vcc
	s_cbranch_execz .LBB6_3474
; %bb.3467:                             ;   in Loop: Header=BB6_3218 Depth=4
	v_cmp_ne_u16_e32 vcc, s80, v17
	v_bfrev_b32_e32 v2, 1
	s_and_saveexec_b64 s[34:35], vcc
	s_cbranch_execz .LBB6_3473
; %bb.3468:                             ;   in Loop: Header=BB6_3218 Depth=4
	v_and_b32_e32 v2, 0x7c, v17
	v_and_b32_e32 v7, 3, v17
	v_cmp_ne_u32_e32 vcc, s81, v2
                                        ; implicit-def: $vgpr2
	s_and_saveexec_b64 s[36:37], vcc
	s_xor_b64 s[36:37], exec, s[36:37]
	s_cbranch_execz .LBB6_3470
; %bb.3469:                             ;   in Loop: Header=BB6_3218 Depth=4
	v_ffbh_u32_e32 v19, v7
	v_min_u32_e32 v21, 32, v19
	v_and_b32_e32 v2, 0xff, v17
	v_mov_b32_e32 v18, v34
	v_subrev_u32_e32 v19, 29, v21
	v_bfe_u32 v2, v2, 2, 5
	v_lshlrev_b64 v[18:19], v19, v[17:18]
	v_sub_u32_e32 v19, 30, v21
	v_cmp_eq_u32_e32 vcc, 0, v2
	v_and_b32_e32 v18, 3, v18
	v_cndmask_b32_e32 v2, v2, v19, vcc
	v_and_b32_sdwa v17, sext(v17), s82 dst_sel:DWORD dst_unused:UNUSED_PAD src0_sel:WORD_0 src1_sel:DWORD
	v_cndmask_b32_e32 v7, v7, v18, vcc
	v_lshl_add_u32 v2, v2, 23, v17
	v_lshl_or_b32 v2, v7, 21, v2
	v_add_u32_e32 v2, 0x38000000, v2
                                        ; implicit-def: $vgpr7
                                        ; implicit-def: $vgpr17
.LBB6_3470:                             ;   in Loop: Header=BB6_3218 Depth=4
	s_andn2_saveexec_b64 s[36:37], s[36:37]
; %bb.3471:                             ;   in Loop: Header=BB6_3218 Depth=4
	v_cmp_lt_i16_e32 vcc, -1, v17
	v_mov_b32_e32 v2, 0xff800000
	v_mov_b32_e32 v17, 0x7f800000
	v_cndmask_b32_e32 v2, v2, v17, vcc
	v_cmp_eq_u32_e32 vcc, 0, v7
	v_mov_b32_e32 v7, 0x7f800001
	v_cndmask_b32_e32 v2, v7, v2, vcc
; %bb.3472:                             ;   in Loop: Header=BB6_3218 Depth=4
	s_or_b64 exec, exec, s[36:37]
.LBB6_3473:                             ;   in Loop: Header=BB6_3218 Depth=4
	s_or_b64 exec, exec, s[34:35]
.LBB6_3474:                             ;   in Loop: Header=BB6_3218 Depth=4
	s_or_b64 exec, exec, s[28:29]
	v_mul_f32_e32 v2, v3, v2
	v_and_b32_e32 v17, 0x7f800000, v2
	v_mov_b32_e32 v18, v34
	v_cmp_ne_u64_e32 vcc, s[76:77], v[17:18]
	v_and_b32_e32 v33, 0x7fffff, v2
                                        ; implicit-def: $vgpr18
	s_and_saveexec_b64 s[28:29], vcc
	s_xor_b64 s[34:35], exec, s[28:29]
	s_cbranch_execz .LBB6_3492
; %bb.3475:                             ;   in Loop: Header=BB6_3218 Depth=4
	v_and_b32_e32 v17, 0x7fffffff, v2
	v_mov_b32_e32 v18, v34
	v_cmp_gt_u64_e32 vcc, s[78:79], v[17:18]
	v_and_b32_sdwa v7, v2, s44 dst_sel:DWORD dst_unused:UNUSED_PAD src0_sel:BYTE_3 src1_sel:DWORD
                                        ; implicit-def: $vgpr18
	s_and_saveexec_b64 s[28:29], vcc
	s_xor_b64 s[36:37], exec, s[28:29]
	s_cbranch_execz .LBB6_3489
; %bb.3476:                             ;   in Loop: Header=BB6_3218 Depth=4
	v_cmp_ne_u32_e32 vcc, 0, v2
	v_mov_b32_e32 v18, 0
	s_and_saveexec_b64 s[38:39], vcc
	s_cbranch_execz .LBB6_3488
; %bb.3477:                             ;   in Loop: Header=BB6_3218 Depth=4
	v_bfe_u32 v19, v2, 23, 8
	v_cmp_gt_u32_e64 s[28:29], s45, v19
	v_sub_u32_e32 v2, 0x71, v19
	v_cmp_eq_u32_e32 vcc, 0, v19
	v_cndmask_b32_e64 v2, 0, v2, s[28:29]
	v_mov_b32_e32 v17, 0x70
	v_cndmask_b32_e32 v21, v2, v17, vcc
	v_add_u32_e32 v17, 21, v21
	v_or_b32_e32 v3, 0x800000, v33
	v_lshlrev_b64 v[17:18], v17, -1
	v_cndmask_b32_e32 v2, v3, v33, vcc
	v_mov_b32_e32 v3, v34
	v_add_u32_e32 v23, 20, v21
	v_bfi_b32 v17, v17, 0, v2
	v_lshlrev_b64 v[35:36], v23, 1
	v_lshrrev_b64 v[2:3], v21, v[2:3]
	v_bfi_b32 v18, v18, 0, 0
	v_cmp_eq_u64_e64 s[28:29], v[17:18], v[35:36]
	v_mov_b32_e32 v18, v3
	v_mov_b32_e32 v17, v2
	s_and_saveexec_b64 s[48:49], s[28:29]
; %bb.3478:                             ;   in Loop: Header=BB6_3218 Depth=4
	v_bfe_u32 v3, v2, 21, 1
	v_add_co_u32_e64 v3, s[28:29], v2, v3
	v_add_co_u32_e64 v17, s[28:29], -1, v3
; %bb.3479:                             ;   in Loop: Header=BB6_3218 Depth=4
	s_or_b64 exec, exec, s[48:49]
	v_add_u32_e32 v3, 0xffffff81, v19
	v_mov_b32_e32 v18, 0xffffff82
	v_cndmask_b32_e32 v3, v3, v18, vcc
	v_lshrrev_b32_e32 v18, 23, v2
	v_add3_u32 v19, v21, v3, v18
	v_add_u32_e32 v18, 14, v19
	v_and_b32_e32 v3, 0x1fffff, v17
	v_add_u32_e32 v33, v3, v2
	v_cmp_ne_u32_e32 vcc, 0, v18
                                        ; implicit-def: $vgpr2_vgpr3
                                        ; implicit-def: $vgpr17
	s_and_saveexec_b64 s[28:29], vcc
	s_xor_b64 s[28:29], exec, s[28:29]
; %bb.3480:                             ;   in Loop: Header=BB6_3218 Depth=4
	v_cmp_lt_u64_e32 vcc, s[88:89], v[33:34]
	v_add_u32_e32 v2, 15, v19
	v_cndmask_b32_e32 v17, v18, v2, vcc
	v_cndmask_b32_e64 v2, 0, 1, vcc
	v_lshrrev_b64 v[2:3], v2, v[33:34]
; %bb.3481:                             ;   in Loop: Header=BB6_3218 Depth=4
	s_andn2_saveexec_b64 s[28:29], s[28:29]
; %bb.3482:                             ;   in Loop: Header=BB6_3218 Depth=4
	v_mov_b32_e32 v2, v33
	v_mov_b32_e32 v3, v34
	v_bfe_u32 v17, v33, 23, 1
; %bb.3483:                             ;   in Loop: Header=BB6_3218 Depth=4
	s_or_b64 exec, exec, s[28:29]
	v_lshrrev_b64 v[2:3], 21, v[2:3]
	v_cmp_gt_i32_e32 vcc, 32, v17
	v_cndmask_b32_e32 v3, 0, v3, vcc
	v_cndmask_b32_e32 v2, 3, v2, vcc
	v_cmp_ne_u64_e32 vcc, 0, v[2:3]
	v_cmp_ne_u32_e64 s[28:29], 0, v17
	s_or_b64 s[28:29], s[28:29], vcc
                                        ; implicit-def: $vgpr18
	s_and_saveexec_b64 vcc, s[28:29]
	s_xor_b64 s[28:29], exec, vcc
; %bb.3484:                             ;   in Loop: Header=BB6_3218 Depth=4
	v_min_i32_e32 v3, 31, v17
	v_lshl_or_b32 v3, v3, 2, v7
	v_and_or_b32 v18, v2, 3, v3
                                        ; implicit-def: $vgpr7
; %bb.3485:                             ;   in Loop: Header=BB6_3218 Depth=4
	s_andn2_saveexec_b64 s[28:29], s[28:29]
; %bb.3486:                             ;   in Loop: Header=BB6_3218 Depth=4
	v_mov_b32_e32 v18, v7
; %bb.3487:                             ;   in Loop: Header=BB6_3218 Depth=4
	s_or_b64 exec, exec, s[28:29]
.LBB6_3488:                             ;   in Loop: Header=BB6_3218 Depth=4
	s_or_b64 exec, exec, s[38:39]
                                        ; implicit-def: $vgpr7
.LBB6_3489:                             ;   in Loop: Header=BB6_3218 Depth=4
	s_andn2_saveexec_b64 s[28:29], s[36:37]
; %bb.3490:                             ;   in Loop: Header=BB6_3218 Depth=4
	v_or_b32_e32 v18, 0x7b, v7
; %bb.3491:                             ;   in Loop: Header=BB6_3218 Depth=4
	s_or_b64 exec, exec, s[28:29]
                                        ; implicit-def: $vgpr2
.LBB6_3492:                             ;   in Loop: Header=BB6_3218 Depth=4
	s_andn2_saveexec_b64 s[28:29], s[34:35]
	s_cbranch_execz .LBB6_3498
; %bb.3493:                             ;   in Loop: Header=BB6_3218 Depth=4
	v_cmp_ne_u64_e32 vcc, 0, v[33:34]
                                        ; implicit-def: $vgpr18
	s_and_saveexec_b64 s[34:35], vcc
	s_xor_b64 vcc, exec, s[34:35]
; %bb.3494:                             ;   in Loop: Header=BB6_3218 Depth=4
	v_or_b32_sdwa v18, v2, s83 dst_sel:DWORD dst_unused:UNUSED_PAD src0_sel:BYTE_3 src1_sel:DWORD
                                        ; implicit-def: $vgpr2
; %bb.3495:                             ;   in Loop: Header=BB6_3218 Depth=4
	s_andn2_saveexec_b64 s[34:35], vcc
; %bb.3496:                             ;   in Loop: Header=BB6_3218 Depth=4
	v_cmp_lt_i32_e32 vcc, -1, v2
	v_mov_b32_e32 v2, 0x7c
	v_cndmask_b32_e32 v18, -4, v2, vcc
; %bb.3497:                             ;   in Loop: Header=BB6_3218 Depth=4
	s_or_b64 exec, exec, s[34:35]
.LBB6_3498:                             ;   in Loop: Header=BB6_3218 Depth=4
	s_or_b64 exec, exec, s[28:29]
	v_cmp_ne_u16_e32 vcc, 0, v16
	v_mov_b32_e32 v2, 0
	v_mov_b32_e32 v3, 0
	s_and_saveexec_b64 s[28:29], vcc
	s_cbranch_execz .LBB6_3506
; %bb.3499:                             ;   in Loop: Header=BB6_3218 Depth=4
	v_cmp_ne_u16_e32 vcc, s80, v16
	v_bfrev_b32_e32 v3, 1
	s_and_saveexec_b64 s[34:35], vcc
	s_cbranch_execz .LBB6_3505
; %bb.3500:                             ;   in Loop: Header=BB6_3218 Depth=4
	v_and_b32_e32 v3, 0x7c, v16
	v_and_b32_e32 v7, 3, v16
	v_cmp_ne_u32_e32 vcc, s81, v3
                                        ; implicit-def: $vgpr3
	s_and_saveexec_b64 s[36:37], vcc
	s_xor_b64 s[36:37], exec, s[36:37]
	s_cbranch_execz .LBB6_3502
; %bb.3501:                             ;   in Loop: Header=BB6_3218 Depth=4
	v_ffbh_u32_e32 v19, v7
	v_min_u32_e32 v19, 32, v19
	v_and_b32_e32 v3, 0xff, v16
	v_mov_b32_e32 v17, v34
	v_subrev_u32_e32 v21, 29, v19
	v_bfe_u32 v3, v3, 2, 5
	v_lshlrev_b64 v[35:36], v21, v[16:17]
	v_sub_u32_e32 v17, 30, v19
	v_cmp_eq_u32_e32 vcc, 0, v3
	v_and_b32_e32 v19, 3, v35
	v_cndmask_b32_e32 v3, v3, v17, vcc
	v_and_b32_sdwa v16, sext(v16), s82 dst_sel:DWORD dst_unused:UNUSED_PAD src0_sel:WORD_0 src1_sel:DWORD
	v_cndmask_b32_e32 v7, v7, v19, vcc
	v_lshl_add_u32 v3, v3, 23, v16
	v_lshl_or_b32 v3, v7, 21, v3
	v_add_u32_e32 v3, 0x38000000, v3
                                        ; implicit-def: $vgpr7
                                        ; implicit-def: $vgpr16
.LBB6_3502:                             ;   in Loop: Header=BB6_3218 Depth=4
	s_andn2_saveexec_b64 s[36:37], s[36:37]
; %bb.3503:                             ;   in Loop: Header=BB6_3218 Depth=4
	v_cmp_lt_i16_e32 vcc, -1, v16
	v_mov_b32_e32 v3, 0xff800000
	v_mov_b32_e32 v16, 0x7f800000
	v_cndmask_b32_e32 v3, v3, v16, vcc
	v_cmp_eq_u32_e32 vcc, 0, v7
	v_mov_b32_e32 v7, 0x7f800001
	v_cndmask_b32_e32 v3, v7, v3, vcc
; %bb.3504:                             ;   in Loop: Header=BB6_3218 Depth=4
	s_or_b64 exec, exec, s[36:37]
.LBB6_3505:                             ;   in Loop: Header=BB6_3218 Depth=4
	s_or_b64 exec, exec, s[34:35]
.LBB6_3506:                             ;   in Loop: Header=BB6_3218 Depth=4
	s_or_b64 exec, exec, s[28:29]
	v_cmp_ne_u16_e32 vcc, 0, v15
	s_and_saveexec_b64 s[28:29], vcc
	s_cbranch_execz .LBB6_3514
; %bb.3507:                             ;   in Loop: Header=BB6_3218 Depth=4
	v_cmp_ne_u16_e32 vcc, s80, v15
	v_bfrev_b32_e32 v2, 1
	s_and_saveexec_b64 s[34:35], vcc
	s_cbranch_execz .LBB6_3513
; %bb.3508:                             ;   in Loop: Header=BB6_3218 Depth=4
	v_and_b32_e32 v2, 0x7c, v15
	v_and_b32_e32 v7, 3, v15
	v_cmp_ne_u32_e32 vcc, s81, v2
                                        ; implicit-def: $vgpr2
	s_and_saveexec_b64 s[36:37], vcc
	s_xor_b64 s[36:37], exec, s[36:37]
	s_cbranch_execz .LBB6_3510
; %bb.3509:                             ;   in Loop: Header=BB6_3218 Depth=4
	v_ffbh_u32_e32 v17, v7
	v_min_u32_e32 v19, 32, v17
	v_and_b32_e32 v2, 0xff, v15
	v_mov_b32_e32 v16, v34
	v_subrev_u32_e32 v17, 29, v19
	v_bfe_u32 v2, v2, 2, 5
	v_lshlrev_b64 v[16:17], v17, v[15:16]
	v_sub_u32_e32 v17, 30, v19
	v_cmp_eq_u32_e32 vcc, 0, v2
	v_and_b32_e32 v16, 3, v16
	v_cndmask_b32_e32 v2, v2, v17, vcc
	v_and_b32_sdwa v15, sext(v15), s82 dst_sel:DWORD dst_unused:UNUSED_PAD src0_sel:WORD_0 src1_sel:DWORD
	v_cndmask_b32_e32 v7, v7, v16, vcc
	v_lshl_add_u32 v2, v2, 23, v15
	v_lshl_or_b32 v2, v7, 21, v2
	v_add_u32_e32 v2, 0x38000000, v2
                                        ; implicit-def: $vgpr7
                                        ; implicit-def: $vgpr15
.LBB6_3510:                             ;   in Loop: Header=BB6_3218 Depth=4
	s_andn2_saveexec_b64 s[36:37], s[36:37]
; %bb.3511:                             ;   in Loop: Header=BB6_3218 Depth=4
	v_cmp_lt_i16_e32 vcc, -1, v15
	v_mov_b32_e32 v2, 0xff800000
	v_mov_b32_e32 v15, 0x7f800000
	v_cndmask_b32_e32 v2, v2, v15, vcc
	v_cmp_eq_u32_e32 vcc, 0, v7
	v_mov_b32_e32 v7, 0x7f800001
	v_cndmask_b32_e32 v2, v7, v2, vcc
; %bb.3512:                             ;   in Loop: Header=BB6_3218 Depth=4
	s_or_b64 exec, exec, s[36:37]
.LBB6_3513:                             ;   in Loop: Header=BB6_3218 Depth=4
	s_or_b64 exec, exec, s[34:35]
.LBB6_3514:                             ;   in Loop: Header=BB6_3218 Depth=4
	s_or_b64 exec, exec, s[28:29]
	v_mul_f32_e32 v2, v3, v2
	v_and_b32_e32 v15, 0x7f800000, v2
	v_mov_b32_e32 v16, v34
	v_cmp_ne_u64_e32 vcc, s[76:77], v[15:16]
	v_and_b32_e32 v33, 0x7fffff, v2
                                        ; implicit-def: $vgpr3
	s_and_saveexec_b64 s[28:29], vcc
	s_xor_b64 s[34:35], exec, s[28:29]
	s_cbranch_execz .LBB6_3532
; %bb.3515:                             ;   in Loop: Header=BB6_3218 Depth=4
	v_and_b32_e32 v15, 0x7fffffff, v2
	v_mov_b32_e32 v16, v34
	v_cmp_gt_u64_e32 vcc, s[78:79], v[15:16]
	v_and_b32_sdwa v7, v2, s44 dst_sel:DWORD dst_unused:UNUSED_PAD src0_sel:BYTE_3 src1_sel:DWORD
                                        ; implicit-def: $vgpr3
	s_and_saveexec_b64 s[28:29], vcc
	s_xor_b64 s[36:37], exec, s[28:29]
	s_cbranch_execz .LBB6_3529
; %bb.3516:                             ;   in Loop: Header=BB6_3218 Depth=4
	v_cmp_ne_u32_e32 vcc, 0, v2
	v_mov_b32_e32 v3, 0
	s_and_saveexec_b64 s[38:39], vcc
	s_cbranch_execz .LBB6_3528
; %bb.3517:                             ;   in Loop: Header=BB6_3218 Depth=4
	v_bfe_u32 v17, v2, 23, 8
	v_cmp_gt_u32_e64 s[28:29], s45, v17
	v_sub_u32_e32 v2, 0x71, v17
	v_cmp_eq_u32_e32 vcc, 0, v17
	v_cndmask_b32_e64 v2, 0, v2, s[28:29]
	v_mov_b32_e32 v15, 0x70
	v_cndmask_b32_e32 v19, v2, v15, vcc
	v_add_u32_e32 v15, 21, v19
	v_or_b32_e32 v3, 0x800000, v33
	v_lshlrev_b64 v[15:16], v15, -1
	v_cndmask_b32_e32 v2, v3, v33, vcc
	v_mov_b32_e32 v3, v34
	v_add_u32_e32 v21, 20, v19
	v_bfi_b32 v15, v15, 0, v2
	v_lshlrev_b64 v[35:36], v21, 1
	v_lshrrev_b64 v[2:3], v19, v[2:3]
	v_bfi_b32 v16, v16, 0, 0
	v_cmp_eq_u64_e64 s[28:29], v[15:16], v[35:36]
	v_mov_b32_e32 v16, v3
	v_mov_b32_e32 v15, v2
	s_and_saveexec_b64 s[48:49], s[28:29]
; %bb.3518:                             ;   in Loop: Header=BB6_3218 Depth=4
	v_bfe_u32 v3, v2, 21, 1
	v_add_co_u32_e64 v3, s[28:29], v2, v3
	v_add_co_u32_e64 v15, s[28:29], -1, v3
; %bb.3519:                             ;   in Loop: Header=BB6_3218 Depth=4
	s_or_b64 exec, exec, s[48:49]
	v_add_u32_e32 v3, 0xffffff81, v17
	v_mov_b32_e32 v16, 0xffffff82
	v_cndmask_b32_e32 v3, v3, v16, vcc
	v_lshrrev_b32_e32 v16, 23, v2
	v_add3_u32 v17, v19, v3, v16
	v_add_u32_e32 v16, 14, v17
	v_and_b32_e32 v3, 0x1fffff, v15
	v_add_u32_e32 v33, v3, v2
	v_cmp_ne_u32_e32 vcc, 0, v16
                                        ; implicit-def: $vgpr2_vgpr3
                                        ; implicit-def: $vgpr15
	s_and_saveexec_b64 s[28:29], vcc
	s_xor_b64 s[28:29], exec, s[28:29]
; %bb.3520:                             ;   in Loop: Header=BB6_3218 Depth=4
	v_cmp_lt_u64_e32 vcc, s[88:89], v[33:34]
	v_add_u32_e32 v2, 15, v17
	v_cndmask_b32_e32 v15, v16, v2, vcc
	v_cndmask_b32_e64 v2, 0, 1, vcc
	v_lshrrev_b64 v[2:3], v2, v[33:34]
; %bb.3521:                             ;   in Loop: Header=BB6_3218 Depth=4
	s_andn2_saveexec_b64 s[28:29], s[28:29]
; %bb.3522:                             ;   in Loop: Header=BB6_3218 Depth=4
	v_mov_b32_e32 v2, v33
	v_mov_b32_e32 v3, v34
	v_bfe_u32 v15, v33, 23, 1
; %bb.3523:                             ;   in Loop: Header=BB6_3218 Depth=4
	s_or_b64 exec, exec, s[28:29]
	v_lshrrev_b64 v[2:3], 21, v[2:3]
	v_cmp_gt_i32_e32 vcc, 32, v15
	v_cndmask_b32_e32 v3, 0, v3, vcc
	v_cndmask_b32_e32 v2, 3, v2, vcc
	v_cmp_ne_u64_e32 vcc, 0, v[2:3]
	v_cmp_ne_u32_e64 s[28:29], 0, v15
	s_or_b64 s[28:29], s[28:29], vcc
                                        ; implicit-def: $vgpr3
	s_and_saveexec_b64 vcc, s[28:29]
	s_xor_b64 s[28:29], exec, vcc
; %bb.3524:                             ;   in Loop: Header=BB6_3218 Depth=4
	v_min_i32_e32 v3, 31, v15
	v_lshl_or_b32 v3, v3, 2, v7
	v_and_or_b32 v3, v2, 3, v3
                                        ; implicit-def: $vgpr7
; %bb.3525:                             ;   in Loop: Header=BB6_3218 Depth=4
	s_andn2_saveexec_b64 s[28:29], s[28:29]
; %bb.3526:                             ;   in Loop: Header=BB6_3218 Depth=4
	v_mov_b32_e32 v3, v7
; %bb.3527:                             ;   in Loop: Header=BB6_3218 Depth=4
	s_or_b64 exec, exec, s[28:29]
.LBB6_3528:                             ;   in Loop: Header=BB6_3218 Depth=4
	s_or_b64 exec, exec, s[38:39]
                                        ; implicit-def: $vgpr7
.LBB6_3529:                             ;   in Loop: Header=BB6_3218 Depth=4
	s_andn2_saveexec_b64 s[28:29], s[36:37]
; %bb.3530:                             ;   in Loop: Header=BB6_3218 Depth=4
	v_or_b32_e32 v3, 0x7b, v7
; %bb.3531:                             ;   in Loop: Header=BB6_3218 Depth=4
	s_or_b64 exec, exec, s[28:29]
                                        ; implicit-def: $vgpr2
.LBB6_3532:                             ;   in Loop: Header=BB6_3218 Depth=4
	s_andn2_saveexec_b64 s[28:29], s[34:35]
	s_cbranch_execz .LBB6_3538
; %bb.3533:                             ;   in Loop: Header=BB6_3218 Depth=4
	v_cmp_ne_u64_e32 vcc, 0, v[33:34]
                                        ; implicit-def: $vgpr3
	s_and_saveexec_b64 s[34:35], vcc
	s_xor_b64 vcc, exec, s[34:35]
; %bb.3534:                             ;   in Loop: Header=BB6_3218 Depth=4
	v_or_b32_sdwa v3, v2, s83 dst_sel:DWORD dst_unused:UNUSED_PAD src0_sel:BYTE_3 src1_sel:DWORD
                                        ; implicit-def: $vgpr2
; %bb.3535:                             ;   in Loop: Header=BB6_3218 Depth=4
	s_andn2_saveexec_b64 s[34:35], vcc
; %bb.3536:                             ;   in Loop: Header=BB6_3218 Depth=4
	v_cmp_lt_i32_e32 vcc, -1, v2
	v_mov_b32_e32 v2, 0x7c
	v_cndmask_b32_e32 v3, -4, v2, vcc
; %bb.3537:                             ;   in Loop: Header=BB6_3218 Depth=4
	s_or_b64 exec, exec, s[34:35]
.LBB6_3538:                             ;   in Loop: Header=BB6_3218 Depth=4
	s_or_b64 exec, exec, s[28:29]
	v_cmp_ne_u16_e32 vcc, 0, v1
	v_mov_b32_e32 v7, 0
	v_mov_b32_e32 v2, 0
	s_and_saveexec_b64 s[28:29], vcc
	s_cbranch_execz .LBB6_3546
; %bb.3539:                             ;   in Loop: Header=BB6_3218 Depth=4
	v_cmp_ne_u16_e32 vcc, s80, v1
	v_bfrev_b32_e32 v2, 1
	s_and_saveexec_b64 s[34:35], vcc
	s_cbranch_execz .LBB6_3545
; %bb.3540:                             ;   in Loop: Header=BB6_3218 Depth=4
	v_and_b32_e32 v2, 0x7c, v1
	v_and_b32_e32 v15, 3, v1
	v_cmp_ne_u32_e32 vcc, s81, v2
                                        ; implicit-def: $vgpr2
	s_and_saveexec_b64 s[36:37], vcc
	s_xor_b64 s[36:37], exec, s[36:37]
	s_cbranch_execz .LBB6_3542
; %bb.3541:                             ;   in Loop: Header=BB6_3218 Depth=4
	v_and_b32_e32 v16, 0xff, v1
	v_bfe_u32 v19, v16, 2, 5
	v_ffbh_u32_e32 v16, v15
	v_min_u32_e32 v21, 32, v16
	v_mov_b32_e32 v2, v34
	v_subrev_u32_e32 v16, 29, v21
	v_lshlrev_b64 v[16:17], v16, v[1:2]
	v_sub_u32_e32 v2, 30, v21
	v_cmp_eq_u32_e32 vcc, 0, v19
	v_and_b32_e32 v16, 3, v16
	v_cndmask_b32_e32 v2, v19, v2, vcc
	v_and_b32_sdwa v1, sext(v1), s82 dst_sel:DWORD dst_unused:UNUSED_PAD src0_sel:WORD_0 src1_sel:DWORD
	v_cndmask_b32_e32 v15, v15, v16, vcc
	v_lshl_add_u32 v1, v2, 23, v1
	v_lshl_or_b32 v1, v15, 21, v1
	v_add_u32_e32 v2, 0x38000000, v1
                                        ; implicit-def: $vgpr15
                                        ; implicit-def: $vgpr1
.LBB6_3542:                             ;   in Loop: Header=BB6_3218 Depth=4
	s_andn2_saveexec_b64 s[36:37], s[36:37]
; %bb.3543:                             ;   in Loop: Header=BB6_3218 Depth=4
	v_cmp_lt_i16_e32 vcc, -1, v1
	v_mov_b32_e32 v1, 0xff800000
	v_mov_b32_e32 v2, 0x7f800000
	v_cndmask_b32_e32 v1, v1, v2, vcc
	v_cmp_eq_u32_e32 vcc, 0, v15
	v_mov_b32_e32 v2, 0x7f800001
	v_cndmask_b32_e32 v2, v2, v1, vcc
; %bb.3544:                             ;   in Loop: Header=BB6_3218 Depth=4
	s_or_b64 exec, exec, s[36:37]
.LBB6_3545:                             ;   in Loop: Header=BB6_3218 Depth=4
	s_or_b64 exec, exec, s[34:35]
.LBB6_3546:                             ;   in Loop: Header=BB6_3218 Depth=4
	s_or_b64 exec, exec, s[28:29]
	v_cmp_ne_u16_e32 vcc, 0, v0
	s_and_saveexec_b64 s[28:29], vcc
	s_cbranch_execz .LBB6_3554
; %bb.3547:                             ;   in Loop: Header=BB6_3218 Depth=4
	v_cmp_ne_u16_e32 vcc, s80, v0
	v_bfrev_b32_e32 v7, 1
	s_and_saveexec_b64 s[34:35], vcc
	s_cbranch_execz .LBB6_3553
; %bb.3548:                             ;   in Loop: Header=BB6_3218 Depth=4
	v_and_b32_e32 v1, 0x7c, v0
	v_and_b32_e32 v15, 3, v0
	v_cmp_ne_u32_e32 vcc, s81, v1
                                        ; implicit-def: $vgpr7
	s_and_saveexec_b64 s[36:37], vcc
	s_xor_b64 s[36:37], exec, s[36:37]
	s_cbranch_execz .LBB6_3550
; %bb.3549:                             ;   in Loop: Header=BB6_3218 Depth=4
	v_ffbh_u32_e32 v16, v15
	v_min_u32_e32 v19, 32, v16
	v_and_b32_e32 v7, 0xff, v0
	v_mov_b32_e32 v1, v34
	v_subrev_u32_e32 v16, 29, v19
	v_bfe_u32 v7, v7, 2, 5
	v_lshlrev_b64 v[16:17], v16, v[0:1]
	v_sub_u32_e32 v1, 30, v19
	v_cmp_eq_u32_e32 vcc, 0, v7
	v_and_b32_e32 v16, 3, v16
	v_cndmask_b32_e32 v1, v7, v1, vcc
	v_and_b32_sdwa v0, sext(v0), s82 dst_sel:DWORD dst_unused:UNUSED_PAD src0_sel:WORD_0 src1_sel:DWORD
	v_cndmask_b32_e32 v7, v15, v16, vcc
	v_lshl_add_u32 v0, v1, 23, v0
	v_lshl_or_b32 v0, v7, 21, v0
	v_add_u32_e32 v7, 0x38000000, v0
                                        ; implicit-def: $vgpr15
                                        ; implicit-def: $vgpr0
.LBB6_3550:                             ;   in Loop: Header=BB6_3218 Depth=4
	s_andn2_saveexec_b64 s[36:37], s[36:37]
; %bb.3551:                             ;   in Loop: Header=BB6_3218 Depth=4
	v_cmp_lt_i16_e32 vcc, -1, v0
	v_mov_b32_e32 v0, 0xff800000
	v_mov_b32_e32 v1, 0x7f800000
	v_cndmask_b32_e32 v0, v0, v1, vcc
	v_cmp_eq_u32_e32 vcc, 0, v15
	v_mov_b32_e32 v1, 0x7f800001
	v_cndmask_b32_e32 v7, v1, v0, vcc
; %bb.3552:                             ;   in Loop: Header=BB6_3218 Depth=4
	s_or_b64 exec, exec, s[36:37]
.LBB6_3553:                             ;   in Loop: Header=BB6_3218 Depth=4
	s_or_b64 exec, exec, s[34:35]
.LBB6_3554:                             ;   in Loop: Header=BB6_3218 Depth=4
	s_or_b64 exec, exec, s[28:29]
	v_mul_f32_e32 v0, v2, v7
	v_and_b32_e32 v1, 0x7f800000, v0
	v_mov_b32_e32 v2, v34
	v_cmp_ne_u64_e32 vcc, s[76:77], v[1:2]
	v_and_b32_e32 v33, 0x7fffff, v0
                                        ; implicit-def: $vgpr16
	s_and_saveexec_b64 s[28:29], vcc
	s_xor_b64 s[34:35], exec, s[28:29]
	s_cbranch_execz .LBB6_3572
; %bb.3555:                             ;   in Loop: Header=BB6_3218 Depth=4
	v_and_b32_e32 v1, 0x7fffffff, v0
	v_mov_b32_e32 v2, v34
	v_cmp_gt_u64_e32 vcc, s[78:79], v[1:2]
	v_and_b32_sdwa v7, v0, s44 dst_sel:DWORD dst_unused:UNUSED_PAD src0_sel:BYTE_3 src1_sel:DWORD
                                        ; implicit-def: $vgpr16
	s_and_saveexec_b64 s[28:29], vcc
	s_xor_b64 s[36:37], exec, s[28:29]
	s_cbranch_execz .LBB6_3569
; %bb.3556:                             ;   in Loop: Header=BB6_3218 Depth=4
	v_cmp_ne_u32_e32 vcc, 0, v0
	v_mov_b32_e32 v16, 0
	s_and_saveexec_b64 s[38:39], vcc
	s_cbranch_execz .LBB6_3568
; %bb.3557:                             ;   in Loop: Header=BB6_3218 Depth=4
	v_bfe_u32 v15, v0, 23, 8
	v_cmp_gt_u32_e64 s[28:29], s45, v15
	v_sub_u32_e32 v0, 0x71, v15
	v_cmp_eq_u32_e32 vcc, 0, v15
	v_cndmask_b32_e64 v0, 0, v0, s[28:29]
	v_mov_b32_e32 v2, 0x70
	v_cndmask_b32_e32 v16, v0, v2, vcc
	v_add_u32_e32 v2, 21, v16
	v_or_b32_e32 v1, 0x800000, v33
	v_lshlrev_b64 v[35:36], v2, -1
	v_cndmask_b32_e32 v0, v1, v33, vcc
	v_mov_b32_e32 v1, v34
	v_add_u32_e32 v2, 20, v16
	v_bfi_b32 v35, v35, 0, v0
	v_lshlrev_b64 v[47:48], v2, 1
	v_lshrrev_b64 v[0:1], v16, v[0:1]
	v_bfi_b32 v36, v36, 0, 0
	v_cmp_eq_u64_e64 s[28:29], v[35:36], v[47:48]
	v_mov_b32_e32 v2, v1
	v_mov_b32_e32 v1, v0
	s_and_saveexec_b64 s[48:49], s[28:29]
; %bb.3558:                             ;   in Loop: Header=BB6_3218 Depth=4
	v_bfe_u32 v1, v0, 21, 1
	v_add_co_u32_e64 v1, s[28:29], v0, v1
	v_add_co_u32_e64 v1, s[28:29], -1, v1
; %bb.3559:                             ;   in Loop: Header=BB6_3218 Depth=4
	s_or_b64 exec, exec, s[48:49]
	v_add_u32_e32 v2, 0xffffff81, v15
	v_mov_b32_e32 v15, 0xffffff82
	v_cndmask_b32_e32 v2, v2, v15, vcc
	v_lshrrev_b32_e32 v15, 23, v0
	v_add3_u32 v16, v16, v2, v15
	v_add_u32_e32 v15, 14, v16
	v_and_b32_e32 v1, 0x1fffff, v1
	v_add_u32_e32 v33, v1, v0
	v_cmp_ne_u32_e32 vcc, 0, v15
                                        ; implicit-def: $vgpr0_vgpr1
                                        ; implicit-def: $vgpr2
	s_and_saveexec_b64 s[28:29], vcc
	s_xor_b64 s[28:29], exec, s[28:29]
; %bb.3560:                             ;   in Loop: Header=BB6_3218 Depth=4
	v_cmp_lt_u64_e32 vcc, s[88:89], v[33:34]
	v_add_u32_e32 v0, 15, v16
	v_cndmask_b32_e32 v2, v15, v0, vcc
	v_cndmask_b32_e64 v0, 0, 1, vcc
	v_lshrrev_b64 v[0:1], v0, v[33:34]
; %bb.3561:                             ;   in Loop: Header=BB6_3218 Depth=4
	s_or_saveexec_b64 s[28:29], s[28:29]
	buffer_load_dword v15, off, s[0:3], s33 offset:92 ; 4-byte Folded Reload
	buffer_load_dword v16, off, s[0:3], s33 offset:96 ; 4-byte Folded Reload
	s_waitcnt vmcnt(1)
	v_mov_b32_e32 v48, v15
	s_xor_b64 exec, exec, s[28:29]
; %bb.3562:                             ;   in Loop: Header=BB6_3218 Depth=4
	v_mov_b32_e32 v0, v33
	v_mov_b32_e32 v1, v34
	v_bfe_u32 v2, v33, 23, 1
; %bb.3563:                             ;   in Loop: Header=BB6_3218 Depth=4
	s_or_b64 exec, exec, s[28:29]
	v_lshrrev_b64 v[0:1], 21, v[0:1]
	v_cmp_gt_i32_e32 vcc, 32, v2
	v_cndmask_b32_e32 v1, 0, v1, vcc
	v_cndmask_b32_e32 v0, 3, v0, vcc
	v_cmp_ne_u64_e32 vcc, 0, v[0:1]
	v_cmp_ne_u32_e64 s[28:29], 0, v2
	s_or_b64 s[28:29], s[28:29], vcc
                                        ; implicit-def: $vgpr16
	s_and_saveexec_b64 vcc, s[28:29]
	s_xor_b64 s[28:29], exec, vcc
	s_cbranch_execz .LBB6_3565
; %bb.3564:                             ;   in Loop: Header=BB6_3218 Depth=4
	v_min_i32_e32 v1, 31, v2
	v_lshl_or_b32 v1, v1, 2, v7
	s_waitcnt vmcnt(0)
	v_and_or_b32 v16, v0, 3, v1
                                        ; implicit-def: $vgpr7
.LBB6_3565:                             ;   in Loop: Header=BB6_3218 Depth=4
	s_andn2_saveexec_b64 s[28:29], s[28:29]
	s_cbranch_execz .LBB6_3567
; %bb.3566:                             ;   in Loop: Header=BB6_3218 Depth=4
	s_waitcnt vmcnt(0)
	v_mov_b32_e32 v16, v7
.LBB6_3567:                             ;   in Loop: Header=BB6_3218 Depth=4
	s_or_b64 exec, exec, s[28:29]
.LBB6_3568:                             ;   in Loop: Header=BB6_3218 Depth=4
	s_or_b64 exec, exec, s[38:39]
                                        ; implicit-def: $vgpr7
.LBB6_3569:                             ;   in Loop: Header=BB6_3218 Depth=4
	s_andn2_saveexec_b64 s[28:29], s[36:37]
	s_cbranch_execz .LBB6_3571
; %bb.3570:                             ;   in Loop: Header=BB6_3218 Depth=4
	s_waitcnt vmcnt(0)
	v_or_b32_e32 v16, 0x7b, v7
.LBB6_3571:                             ;   in Loop: Header=BB6_3218 Depth=4
	s_or_b64 exec, exec, s[28:29]
                                        ; implicit-def: $vgpr0
.LBB6_3572:                             ;   in Loop: Header=BB6_3218 Depth=4
	s_andn2_saveexec_b64 s[28:29], s[34:35]
	s_cbranch_execz .LBB6_3578
; %bb.3573:                             ;   in Loop: Header=BB6_3218 Depth=4
	v_cmp_ne_u64_e32 vcc, 0, v[33:34]
                                        ; implicit-def: $vgpr16
	s_and_saveexec_b64 s[34:35], vcc
	s_xor_b64 vcc, exec, s[34:35]
	s_cbranch_execz .LBB6_3575
; %bb.3574:                             ;   in Loop: Header=BB6_3218 Depth=4
	s_waitcnt vmcnt(0)
	v_or_b32_sdwa v16, v0, s83 dst_sel:DWORD dst_unused:UNUSED_PAD src0_sel:BYTE_3 src1_sel:DWORD
                                        ; implicit-def: $vgpr0
.LBB6_3575:                             ;   in Loop: Header=BB6_3218 Depth=4
	s_andn2_saveexec_b64 s[34:35], vcc
	s_cbranch_execz .LBB6_3577
; %bb.3576:                             ;   in Loop: Header=BB6_3218 Depth=4
	v_cmp_lt_i32_e32 vcc, -1, v0
	v_mov_b32_e32 v0, 0x7c
	s_waitcnt vmcnt(0)
	v_cndmask_b32_e32 v16, -4, v0, vcc
.LBB6_3577:                             ;   in Loop: Header=BB6_3218 Depth=4
	s_or_b64 exec, exec, s[34:35]
.LBB6_3578:                             ;   in Loop: Header=BB6_3218 Depth=4
	s_or_b64 exec, exec, s[28:29]
	v_cmp_ne_u16_e32 vcc, 0, v14
	v_mov_b32_e32 v0, 0
	v_mov_b32_e32 v1, 0
	s_and_saveexec_b64 s[28:29], vcc
	s_cbranch_execz .LBB6_3586
; %bb.3579:                             ;   in Loop: Header=BB6_3218 Depth=4
	v_cmp_ne_u16_e32 vcc, s80, v14
	v_bfrev_b32_e32 v1, 1
	s_and_saveexec_b64 s[34:35], vcc
	s_cbranch_execz .LBB6_3585
; %bb.3580:                             ;   in Loop: Header=BB6_3218 Depth=4
	v_and_b32_e32 v1, 0x7c, v14
	v_and_b32_e32 v2, 3, v14
	v_cmp_ne_u32_e32 vcc, s81, v1
                                        ; implicit-def: $vgpr1
	s_and_saveexec_b64 s[36:37], vcc
	s_xor_b64 s[36:37], exec, s[36:37]
	s_cbranch_execz .LBB6_3582
; %bb.3581:                             ;   in Loop: Header=BB6_3218 Depth=4
	v_ffbh_u32_e32 v7, v2
	v_min_u32_e32 v7, 32, v7
	v_and_b32_e32 v1, 0xff, v14
	v_mov_b32_e32 v15, v34
	v_subrev_u32_e32 v17, 29, v7
	v_bfe_u32 v1, v1, 2, 5
	v_lshlrev_b64 v[35:36], v17, v[14:15]
	v_sub_u32_e32 v7, 30, v7
	v_cmp_eq_u32_e32 vcc, 0, v1
	v_and_b32_e32 v15, 3, v35
	v_cndmask_b32_e32 v1, v1, v7, vcc
	v_and_b32_sdwa v7, sext(v14), s82 dst_sel:DWORD dst_unused:UNUSED_PAD src0_sel:WORD_0 src1_sel:DWORD
	v_cndmask_b32_e32 v2, v2, v15, vcc
	v_lshl_add_u32 v1, v1, 23, v7
	v_lshl_or_b32 v1, v2, 21, v1
	v_add_u32_e32 v1, 0x38000000, v1
                                        ; implicit-def: $vgpr2
                                        ; implicit-def: $vgpr14
.LBB6_3582:                             ;   in Loop: Header=BB6_3218 Depth=4
	s_andn2_saveexec_b64 s[36:37], s[36:37]
; %bb.3583:                             ;   in Loop: Header=BB6_3218 Depth=4
	v_cmp_lt_i16_e32 vcc, -1, v14
	v_mov_b32_e32 v1, 0xff800000
	v_mov_b32_e32 v7, 0x7f800000
	v_cndmask_b32_e32 v1, v1, v7, vcc
	v_cmp_eq_u32_e32 vcc, 0, v2
	v_mov_b32_e32 v2, 0x7f800001
	v_cndmask_b32_e32 v1, v2, v1, vcc
; %bb.3584:                             ;   in Loop: Header=BB6_3218 Depth=4
	s_or_b64 exec, exec, s[36:37]
.LBB6_3585:                             ;   in Loop: Header=BB6_3218 Depth=4
	s_or_b64 exec, exec, s[34:35]
.LBB6_3586:                             ;   in Loop: Header=BB6_3218 Depth=4
	s_or_b64 exec, exec, s[28:29]
	v_cmp_ne_u16_e32 vcc, 0, v46
	s_and_saveexec_b64 s[28:29], vcc
	s_cbranch_execz .LBB6_3594
; %bb.3587:                             ;   in Loop: Header=BB6_3218 Depth=4
	v_cmp_ne_u16_e32 vcc, s80, v46
	v_bfrev_b32_e32 v0, 1
	s_and_saveexec_b64 s[34:35], vcc
	s_cbranch_execz .LBB6_3593
; %bb.3588:                             ;   in Loop: Header=BB6_3218 Depth=4
	v_and_b32_e32 v0, 0x7c, v46
	v_and_b32_e32 v2, 3, v46
	v_cmp_ne_u32_e32 vcc, s81, v0
                                        ; implicit-def: $vgpr0
	s_and_saveexec_b64 s[36:37], vcc
	s_xor_b64 s[36:37], exec, s[36:37]
	s_cbranch_execz .LBB6_3590
; %bb.3589:                             ;   in Loop: Header=BB6_3218 Depth=4
	buffer_load_dword v35, off, s[0:3], s33 offset:92 ; 4-byte Folded Reload
	buffer_load_dword v36, off, s[0:3], s33 offset:96 ; 4-byte Folded Reload
	v_ffbh_u32_e32 v7, v2
	v_min_u32_e32 v7, 32, v7
	v_and_b32_e32 v0, 0xff, v46
	v_mov_b32_e32 v47, v34
	v_subrev_u32_e32 v14, 29, v7
	v_bfe_u32 v0, v0, 2, 5
	v_lshlrev_b64 v[14:15], v14, v[46:47]
	v_sub_u32_e32 v7, 30, v7
	v_cmp_eq_u32_e32 vcc, 0, v0
	v_and_b32_e32 v14, 3, v14
	v_cndmask_b32_e32 v0, v0, v7, vcc
	v_and_b32_sdwa v7, sext(v46), s82 dst_sel:DWORD dst_unused:UNUSED_PAD src0_sel:WORD_0 src1_sel:DWORD
	v_cndmask_b32_e32 v2, v2, v14, vcc
	v_lshl_add_u32 v0, v0, 23, v7
	v_lshl_or_b32 v0, v2, 21, v0
	v_add_u32_e32 v0, 0x38000000, v0
                                        ; implicit-def: $vgpr2
                                        ; implicit-def: $vgpr46
	s_waitcnt vmcnt(1)
	v_mov_b32_e32 v48, v35
.LBB6_3590:                             ;   in Loop: Header=BB6_3218 Depth=4
	s_andn2_saveexec_b64 s[36:37], s[36:37]
; %bb.3591:                             ;   in Loop: Header=BB6_3218 Depth=4
	v_cmp_lt_i16_e32 vcc, -1, v46
	v_mov_b32_e32 v0, 0xff800000
	v_mov_b32_e32 v7, 0x7f800000
	v_cndmask_b32_e32 v0, v0, v7, vcc
	v_cmp_eq_u32_e32 vcc, 0, v2
	v_mov_b32_e32 v2, 0x7f800001
	v_cndmask_b32_e32 v0, v2, v0, vcc
; %bb.3592:                             ;   in Loop: Header=BB6_3218 Depth=4
	s_or_b64 exec, exec, s[36:37]
.LBB6_3593:                             ;   in Loop: Header=BB6_3218 Depth=4
	s_or_b64 exec, exec, s[34:35]
.LBB6_3594:                             ;   in Loop: Header=BB6_3218 Depth=4
	s_or_b64 exec, exec, s[28:29]
	v_mul_f32_e32 v0, v1, v0
	v_and_b32_e32 v1, 0x7f800000, v0
	v_mov_b32_e32 v2, v34
	v_cmp_ne_u64_e32 vcc, s[76:77], v[1:2]
	v_and_b32_e32 v33, 0x7fffff, v0
                                        ; implicit-def: $vgpr14
	s_and_saveexec_b64 s[28:29], vcc
	s_xor_b64 s[34:35], exec, s[28:29]
	s_cbranch_execz .LBB6_3612
; %bb.3595:                             ;   in Loop: Header=BB6_3218 Depth=4
	v_and_b32_e32 v1, 0x7fffffff, v0
	v_mov_b32_e32 v2, v34
	v_cmp_gt_u64_e32 vcc, s[78:79], v[1:2]
	v_and_b32_sdwa v7, v0, s44 dst_sel:DWORD dst_unused:UNUSED_PAD src0_sel:BYTE_3 src1_sel:DWORD
                                        ; implicit-def: $vgpr14
	s_and_saveexec_b64 s[28:29], vcc
	s_xor_b64 s[36:37], exec, s[28:29]
	s_cbranch_execz .LBB6_3609
; %bb.3596:                             ;   in Loop: Header=BB6_3218 Depth=4
	v_cmp_ne_u32_e32 vcc, 0, v0
	v_mov_b32_e32 v14, 0
	s_and_saveexec_b64 s[38:39], vcc
	s_cbranch_execz .LBB6_3608
; %bb.3597:                             ;   in Loop: Header=BB6_3218 Depth=4
	v_bfe_u32 v14, v0, 23, 8
	v_cmp_gt_u32_e64 s[28:29], s45, v14
	v_sub_u32_e32 v0, 0x71, v14
	v_cmp_eq_u32_e32 vcc, 0, v14
	v_cndmask_b32_e64 v0, 0, v0, s[28:29]
	v_mov_b32_e32 v2, 0x70
	v_cndmask_b32_e32 v15, v0, v2, vcc
	v_add_u32_e32 v2, 21, v15
	v_or_b32_e32 v1, 0x800000, v33
	s_waitcnt vmcnt(0)
	v_lshlrev_b64 v[35:36], v2, -1
	v_cndmask_b32_e32 v0, v1, v33, vcc
	v_mov_b32_e32 v1, v34
	v_add_u32_e32 v2, 20, v15
	v_bfi_b32 v35, v35, 0, v0
	v_lshlrev_b64 v[46:47], v2, 1
	v_lshrrev_b64 v[0:1], v15, v[0:1]
	v_bfi_b32 v36, v36, 0, 0
	v_cmp_eq_u64_e64 s[28:29], v[35:36], v[46:47]
	v_mov_b32_e32 v2, v1
	v_mov_b32_e32 v1, v0
	s_and_saveexec_b64 s[48:49], s[28:29]
; %bb.3598:                             ;   in Loop: Header=BB6_3218 Depth=4
	v_bfe_u32 v1, v0, 21, 1
	v_add_co_u32_e64 v1, s[28:29], v0, v1
	v_add_co_u32_e64 v1, s[28:29], -1, v1
; %bb.3599:                             ;   in Loop: Header=BB6_3218 Depth=4
	s_or_b64 exec, exec, s[48:49]
	v_add_u32_e32 v2, 0xffffff81, v14
	v_mov_b32_e32 v14, 0xffffff82
	v_cndmask_b32_e32 v2, v2, v14, vcc
	v_lshrrev_b32_e32 v14, 23, v0
	v_add3_u32 v15, v15, v2, v14
	v_add_u32_e32 v14, 14, v15
	v_and_b32_e32 v1, 0x1fffff, v1
	v_add_u32_e32 v33, v1, v0
	v_cmp_ne_u32_e32 vcc, 0, v14
                                        ; implicit-def: $vgpr0_vgpr1
                                        ; implicit-def: $vgpr2
	s_and_saveexec_b64 s[28:29], vcc
	s_xor_b64 s[28:29], exec, s[28:29]
; %bb.3600:                             ;   in Loop: Header=BB6_3218 Depth=4
	v_cmp_lt_u64_e32 vcc, s[88:89], v[33:34]
	v_add_u32_e32 v0, 15, v15
	v_cndmask_b32_e32 v2, v14, v0, vcc
	v_cndmask_b32_e64 v0, 0, 1, vcc
	v_lshrrev_b64 v[0:1], v0, v[33:34]
; %bb.3601:                             ;   in Loop: Header=BB6_3218 Depth=4
	s_or_saveexec_b64 s[28:29], s[28:29]
	buffer_load_dword v14, off, s[0:3], s33 offset:92 ; 4-byte Folded Reload
	buffer_load_dword v15, off, s[0:3], s33 offset:96 ; 4-byte Folded Reload
	s_waitcnt vmcnt(1)
	v_mov_b32_e32 v48, v14
	s_xor_b64 exec, exec, s[28:29]
; %bb.3602:                             ;   in Loop: Header=BB6_3218 Depth=4
	v_mov_b32_e32 v0, v33
	v_mov_b32_e32 v1, v34
	v_bfe_u32 v2, v33, 23, 1
; %bb.3603:                             ;   in Loop: Header=BB6_3218 Depth=4
	s_or_b64 exec, exec, s[28:29]
	v_lshrrev_b64 v[0:1], 21, v[0:1]
	v_cmp_gt_i32_e32 vcc, 32, v2
	v_cndmask_b32_e32 v1, 0, v1, vcc
	v_cndmask_b32_e32 v0, 3, v0, vcc
	v_cmp_ne_u64_e32 vcc, 0, v[0:1]
	v_cmp_ne_u32_e64 s[28:29], 0, v2
	s_or_b64 s[28:29], s[28:29], vcc
                                        ; implicit-def: $vgpr14
	s_and_saveexec_b64 vcc, s[28:29]
	s_xor_b64 s[28:29], exec, vcc
; %bb.3604:                             ;   in Loop: Header=BB6_3218 Depth=4
	v_min_i32_e32 v1, 31, v2
	v_lshl_or_b32 v1, v1, 2, v7
	v_and_or_b32 v14, v0, 3, v1
                                        ; implicit-def: $vgpr7
; %bb.3605:                             ;   in Loop: Header=BB6_3218 Depth=4
	s_andn2_saveexec_b64 s[28:29], s[28:29]
; %bb.3606:                             ;   in Loop: Header=BB6_3218 Depth=4
	v_mov_b32_e32 v14, v7
; %bb.3607:                             ;   in Loop: Header=BB6_3218 Depth=4
	s_or_b64 exec, exec, s[28:29]
.LBB6_3608:                             ;   in Loop: Header=BB6_3218 Depth=4
	s_or_b64 exec, exec, s[38:39]
                                        ; implicit-def: $vgpr7
.LBB6_3609:                             ;   in Loop: Header=BB6_3218 Depth=4
	s_andn2_saveexec_b64 s[28:29], s[36:37]
; %bb.3610:                             ;   in Loop: Header=BB6_3218 Depth=4
	v_or_b32_e32 v14, 0x7b, v7
; %bb.3611:                             ;   in Loop: Header=BB6_3218 Depth=4
	s_or_b64 exec, exec, s[28:29]
                                        ; implicit-def: $vgpr0
.LBB6_3612:                             ;   in Loop: Header=BB6_3218 Depth=4
	s_andn2_saveexec_b64 s[28:29], s[34:35]
	s_cbranch_execz .LBB6_3618
; %bb.3613:                             ;   in Loop: Header=BB6_3218 Depth=4
	v_cmp_ne_u64_e32 vcc, 0, v[33:34]
                                        ; implicit-def: $vgpr14
	s_and_saveexec_b64 s[34:35], vcc
	s_xor_b64 vcc, exec, s[34:35]
; %bb.3614:                             ;   in Loop: Header=BB6_3218 Depth=4
	v_or_b32_sdwa v14, v0, s83 dst_sel:DWORD dst_unused:UNUSED_PAD src0_sel:BYTE_3 src1_sel:DWORD
                                        ; implicit-def: $vgpr0
; %bb.3615:                             ;   in Loop: Header=BB6_3218 Depth=4
	s_andn2_saveexec_b64 s[34:35], vcc
; %bb.3616:                             ;   in Loop: Header=BB6_3218 Depth=4
	v_cmp_lt_i32_e32 vcc, -1, v0
	v_mov_b32_e32 v0, 0x7c
	v_cndmask_b32_e32 v14, -4, v0, vcc
; %bb.3617:                             ;   in Loop: Header=BB6_3218 Depth=4
	s_or_b64 exec, exec, s[34:35]
.LBB6_3618:                             ;   in Loop: Header=BB6_3218 Depth=4
	s_or_b64 exec, exec, s[28:29]
	v_cmp_ne_u16_e32 vcc, 0, v45
	v_mov_b32_e32 v0, 0
	v_mov_b32_e32 v1, 0
	s_and_saveexec_b64 s[28:29], vcc
	s_cbranch_execz .LBB6_3626
; %bb.3619:                             ;   in Loop: Header=BB6_3218 Depth=4
	v_cmp_ne_u16_e32 vcc, s80, v45
	v_bfrev_b32_e32 v1, 1
	s_and_saveexec_b64 s[34:35], vcc
	s_cbranch_execz .LBB6_3625
; %bb.3620:                             ;   in Loop: Header=BB6_3218 Depth=4
	v_and_b32_e32 v1, 0x7c, v45
	v_and_b32_e32 v2, 3, v45
	v_cmp_ne_u32_e32 vcc, s81, v1
                                        ; implicit-def: $vgpr1
	s_and_saveexec_b64 s[36:37], vcc
	s_xor_b64 s[36:37], exec, s[36:37]
	s_cbranch_execz .LBB6_3622
; %bb.3621:                             ;   in Loop: Header=BB6_3218 Depth=4
	v_ffbh_u32_e32 v7, v2
	v_min_u32_e32 v7, 32, v7
	v_and_b32_e32 v1, 0xff, v45
	v_mov_b32_e32 v46, v34
	s_waitcnt vmcnt(0)
	v_subrev_u32_e32 v15, 29, v7
	v_bfe_u32 v1, v1, 2, 5
	v_lshlrev_b64 v[35:36], v15, v[45:46]
	v_sub_u32_e32 v7, 30, v7
	v_cmp_eq_u32_e32 vcc, 0, v1
	v_and_b32_e32 v15, 3, v35
	v_cndmask_b32_e32 v1, v1, v7, vcc
	v_and_b32_sdwa v7, sext(v45), s82 dst_sel:DWORD dst_unused:UNUSED_PAD src0_sel:WORD_0 src1_sel:DWORD
	v_cndmask_b32_e32 v2, v2, v15, vcc
	v_lshl_add_u32 v1, v1, 23, v7
	v_lshl_or_b32 v1, v2, 21, v1
	v_add_u32_e32 v1, 0x38000000, v1
                                        ; implicit-def: $vgpr2
                                        ; implicit-def: $vgpr45
.LBB6_3622:                             ;   in Loop: Header=BB6_3218 Depth=4
	s_andn2_saveexec_b64 s[36:37], s[36:37]
; %bb.3623:                             ;   in Loop: Header=BB6_3218 Depth=4
	v_cmp_lt_i16_e32 vcc, -1, v45
	v_mov_b32_e32 v1, 0xff800000
	v_mov_b32_e32 v7, 0x7f800000
	v_cndmask_b32_e32 v1, v1, v7, vcc
	v_cmp_eq_u32_e32 vcc, 0, v2
	v_mov_b32_e32 v2, 0x7f800001
	v_cndmask_b32_e32 v1, v2, v1, vcc
; %bb.3624:                             ;   in Loop: Header=BB6_3218 Depth=4
	s_or_b64 exec, exec, s[36:37]
.LBB6_3625:                             ;   in Loop: Header=BB6_3218 Depth=4
	s_or_b64 exec, exec, s[34:35]
.LBB6_3626:                             ;   in Loop: Header=BB6_3218 Depth=4
	s_or_b64 exec, exec, s[28:29]
	v_cmp_ne_u16_e32 vcc, 0, v40
	s_and_saveexec_b64 s[28:29], vcc
	s_cbranch_execz .LBB6_3634
; %bb.3627:                             ;   in Loop: Header=BB6_3218 Depth=4
	v_cmp_ne_u16_e32 vcc, s80, v40
	v_bfrev_b32_e32 v0, 1
	s_and_saveexec_b64 s[34:35], vcc
	s_cbranch_execz .LBB6_3633
; %bb.3628:                             ;   in Loop: Header=BB6_3218 Depth=4
	v_and_b32_e32 v0, 0x7c, v40
	v_and_b32_e32 v2, 3, v40
	v_cmp_ne_u32_e32 vcc, s81, v0
                                        ; implicit-def: $vgpr0
	s_and_saveexec_b64 s[36:37], vcc
	s_xor_b64 s[36:37], exec, s[36:37]
	s_cbranch_execz .LBB6_3630
; %bb.3629:                             ;   in Loop: Header=BB6_3218 Depth=4
	v_ffbh_u32_e32 v7, v2
	v_min_u32_e32 v7, 32, v7
	v_and_b32_e32 v0, 0xff, v40
	v_mov_b32_e32 v41, v34
	s_waitcnt vmcnt(0)
	v_subrev_u32_e32 v15, 29, v7
	v_bfe_u32 v0, v0, 2, 5
	v_lshlrev_b64 v[35:36], v15, v[40:41]
	v_sub_u32_e32 v7, 30, v7
	v_cmp_eq_u32_e32 vcc, 0, v0
	v_and_b32_e32 v15, 3, v35
	v_cndmask_b32_e32 v0, v0, v7, vcc
	v_and_b32_sdwa v7, sext(v40), s82 dst_sel:DWORD dst_unused:UNUSED_PAD src0_sel:WORD_0 src1_sel:DWORD
	v_cndmask_b32_e32 v2, v2, v15, vcc
	v_lshl_add_u32 v0, v0, 23, v7
	v_lshl_or_b32 v0, v2, 21, v0
	v_add_u32_e32 v0, 0x38000000, v0
                                        ; implicit-def: $vgpr2
                                        ; implicit-def: $vgpr40
.LBB6_3630:                             ;   in Loop: Header=BB6_3218 Depth=4
	s_andn2_saveexec_b64 s[36:37], s[36:37]
; %bb.3631:                             ;   in Loop: Header=BB6_3218 Depth=4
	v_cmp_lt_i16_e32 vcc, -1, v40
	v_mov_b32_e32 v0, 0xff800000
	v_mov_b32_e32 v7, 0x7f800000
	v_cndmask_b32_e32 v0, v0, v7, vcc
	v_cmp_eq_u32_e32 vcc, 0, v2
	v_mov_b32_e32 v2, 0x7f800001
	v_cndmask_b32_e32 v0, v2, v0, vcc
; %bb.3632:                             ;   in Loop: Header=BB6_3218 Depth=4
	s_or_b64 exec, exec, s[36:37]
.LBB6_3633:                             ;   in Loop: Header=BB6_3218 Depth=4
	s_or_b64 exec, exec, s[34:35]
.LBB6_3634:                             ;   in Loop: Header=BB6_3218 Depth=4
	s_or_b64 exec, exec, s[28:29]
	v_mul_f32_e32 v0, v1, v0
	v_and_b32_e32 v1, 0x7f800000, v0
	v_mov_b32_e32 v2, v34
	v_cmp_ne_u64_e32 vcc, s[76:77], v[1:2]
	v_and_b32_e32 v33, 0x7fffff, v0
                                        ; implicit-def: $vgpr15
	s_and_saveexec_b64 s[28:29], vcc
	s_xor_b64 s[34:35], exec, s[28:29]
	s_cbranch_execz .LBB6_3652
; %bb.3635:                             ;   in Loop: Header=BB6_3218 Depth=4
	v_and_b32_e32 v1, 0x7fffffff, v0
	v_mov_b32_e32 v2, v34
	v_cmp_gt_u64_e32 vcc, s[78:79], v[1:2]
	v_and_b32_sdwa v7, v0, s44 dst_sel:DWORD dst_unused:UNUSED_PAD src0_sel:BYTE_3 src1_sel:DWORD
                                        ; implicit-def: $vgpr15
	s_and_saveexec_b64 s[28:29], vcc
	s_xor_b64 s[36:37], exec, s[28:29]
	s_cbranch_execz .LBB6_3649
; %bb.3636:                             ;   in Loop: Header=BB6_3218 Depth=4
	v_cmp_ne_u32_e32 vcc, 0, v0
	s_waitcnt vmcnt(0)
	v_mov_b32_e32 v15, 0
	s_and_saveexec_b64 s[38:39], vcc
	s_cbranch_execz .LBB6_3648
; %bb.3637:                             ;   in Loop: Header=BB6_3218 Depth=4
	v_bfe_u32 v15, v0, 23, 8
	v_cmp_gt_u32_e64 s[28:29], s45, v15
	v_sub_u32_e32 v0, 0x71, v15
	v_cmp_eq_u32_e32 vcc, 0, v15
	v_cndmask_b32_e64 v0, 0, v0, s[28:29]
	v_mov_b32_e32 v2, 0x70
	v_cndmask_b32_e32 v17, v0, v2, vcc
	v_add_u32_e32 v2, 21, v17
	v_or_b32_e32 v1, 0x800000, v33
	v_lshlrev_b64 v[35:36], v2, -1
	v_cndmask_b32_e32 v0, v1, v33, vcc
	v_mov_b32_e32 v1, v34
	v_add_u32_e32 v2, 20, v17
	v_bfi_b32 v35, v35, 0, v0
	v_lshlrev_b64 v[40:41], v2, 1
	v_lshrrev_b64 v[0:1], v17, v[0:1]
	v_bfi_b32 v36, v36, 0, 0
	v_cmp_eq_u64_e64 s[28:29], v[35:36], v[40:41]
	v_mov_b32_e32 v2, v1
	v_mov_b32_e32 v1, v0
	s_and_saveexec_b64 s[48:49], s[28:29]
; %bb.3638:                             ;   in Loop: Header=BB6_3218 Depth=4
	v_bfe_u32 v1, v0, 21, 1
	v_add_co_u32_e64 v1, s[28:29], v0, v1
	v_add_co_u32_e64 v1, s[28:29], -1, v1
; %bb.3639:                             ;   in Loop: Header=BB6_3218 Depth=4
	s_or_b64 exec, exec, s[48:49]
	v_add_u32_e32 v2, 0xffffff81, v15
	v_mov_b32_e32 v15, 0xffffff82
	v_cndmask_b32_e32 v2, v2, v15, vcc
	v_lshrrev_b32_e32 v15, 23, v0
	v_add3_u32 v17, v17, v2, v15
	v_add_u32_e32 v15, 14, v17
	v_and_b32_e32 v1, 0x1fffff, v1
	v_add_u32_e32 v33, v1, v0
	v_cmp_ne_u32_e32 vcc, 0, v15
                                        ; implicit-def: $vgpr0_vgpr1
                                        ; implicit-def: $vgpr2
	s_and_saveexec_b64 s[28:29], vcc
	s_xor_b64 s[28:29], exec, s[28:29]
; %bb.3640:                             ;   in Loop: Header=BB6_3218 Depth=4
	v_cmp_lt_u64_e32 vcc, s[88:89], v[33:34]
	v_add_u32_e32 v0, 15, v17
	v_cndmask_b32_e32 v2, v15, v0, vcc
	v_cndmask_b32_e64 v0, 0, 1, vcc
	v_lshrrev_b64 v[0:1], v0, v[33:34]
; %bb.3641:                             ;   in Loop: Header=BB6_3218 Depth=4
	s_andn2_saveexec_b64 s[28:29], s[28:29]
; %bb.3642:                             ;   in Loop: Header=BB6_3218 Depth=4
	v_mov_b32_e32 v0, v33
	v_mov_b32_e32 v1, v34
	v_bfe_u32 v2, v33, 23, 1
; %bb.3643:                             ;   in Loop: Header=BB6_3218 Depth=4
	s_or_b64 exec, exec, s[28:29]
	v_lshrrev_b64 v[0:1], 21, v[0:1]
	v_cmp_gt_i32_e32 vcc, 32, v2
	v_cndmask_b32_e32 v1, 0, v1, vcc
	v_cndmask_b32_e32 v0, 3, v0, vcc
	v_cmp_ne_u64_e32 vcc, 0, v[0:1]
	v_cmp_ne_u32_e64 s[28:29], 0, v2
	s_or_b64 s[28:29], s[28:29], vcc
                                        ; implicit-def: $vgpr15
	s_and_saveexec_b64 vcc, s[28:29]
	s_xor_b64 s[28:29], exec, vcc
; %bb.3644:                             ;   in Loop: Header=BB6_3218 Depth=4
	v_min_i32_e32 v1, 31, v2
	v_lshl_or_b32 v1, v1, 2, v7
	v_and_or_b32 v15, v0, 3, v1
                                        ; implicit-def: $vgpr7
; %bb.3645:                             ;   in Loop: Header=BB6_3218 Depth=4
	s_andn2_saveexec_b64 s[28:29], s[28:29]
; %bb.3646:                             ;   in Loop: Header=BB6_3218 Depth=4
	v_mov_b32_e32 v15, v7
; %bb.3647:                             ;   in Loop: Header=BB6_3218 Depth=4
	s_or_b64 exec, exec, s[28:29]
.LBB6_3648:                             ;   in Loop: Header=BB6_3218 Depth=4
	s_or_b64 exec, exec, s[38:39]
                                        ; implicit-def: $vgpr7
.LBB6_3649:                             ;   in Loop: Header=BB6_3218 Depth=4
	s_andn2_saveexec_b64 s[28:29], s[36:37]
	s_cbranch_execz .LBB6_3651
; %bb.3650:                             ;   in Loop: Header=BB6_3218 Depth=4
	s_waitcnt vmcnt(0)
	v_or_b32_e32 v15, 0x7b, v7
.LBB6_3651:                             ;   in Loop: Header=BB6_3218 Depth=4
	s_or_b64 exec, exec, s[28:29]
                                        ; implicit-def: $vgpr0
.LBB6_3652:                             ;   in Loop: Header=BB6_3218 Depth=4
	s_andn2_saveexec_b64 s[28:29], s[34:35]
	s_cbranch_execz .LBB6_3658
; %bb.3653:                             ;   in Loop: Header=BB6_3218 Depth=4
	v_cmp_ne_u64_e32 vcc, 0, v[33:34]
                                        ; implicit-def: $vgpr15
	s_and_saveexec_b64 s[34:35], vcc
	s_xor_b64 vcc, exec, s[34:35]
	s_cbranch_execz .LBB6_3655
; %bb.3654:                             ;   in Loop: Header=BB6_3218 Depth=4
	s_waitcnt vmcnt(0)
	v_or_b32_sdwa v15, v0, s83 dst_sel:DWORD dst_unused:UNUSED_PAD src0_sel:BYTE_3 src1_sel:DWORD
                                        ; implicit-def: $vgpr0
.LBB6_3655:                             ;   in Loop: Header=BB6_3218 Depth=4
	s_andn2_saveexec_b64 s[34:35], vcc
	s_cbranch_execz .LBB6_3657
; %bb.3656:                             ;   in Loop: Header=BB6_3218 Depth=4
	v_cmp_lt_i32_e32 vcc, -1, v0
	v_mov_b32_e32 v0, 0x7c
	s_waitcnt vmcnt(0)
	v_cndmask_b32_e32 v15, -4, v0, vcc
.LBB6_3657:                             ;   in Loop: Header=BB6_3218 Depth=4
	s_or_b64 exec, exec, s[34:35]
.LBB6_3658:                             ;   in Loop: Header=BB6_3218 Depth=4
	s_or_b64 exec, exec, s[28:29]
	v_cmp_ne_u16_e32 vcc, 0, v39
	v_mov_b32_e32 v0, 0
	v_mov_b32_e32 v1, 0
	s_and_saveexec_b64 s[28:29], vcc
	s_cbranch_execz .LBB6_3666
; %bb.3659:                             ;   in Loop: Header=BB6_3218 Depth=4
	v_cmp_ne_u16_e32 vcc, s80, v39
	v_bfrev_b32_e32 v1, 1
	s_and_saveexec_b64 s[34:35], vcc
	s_cbranch_execz .LBB6_3665
; %bb.3660:                             ;   in Loop: Header=BB6_3218 Depth=4
	v_and_b32_e32 v1, 0x7c, v39
	v_and_b32_e32 v2, 3, v39
	v_cmp_ne_u32_e32 vcc, s81, v1
                                        ; implicit-def: $vgpr1
	s_and_saveexec_b64 s[36:37], vcc
	s_xor_b64 s[36:37], exec, s[36:37]
	s_cbranch_execz .LBB6_3662
; %bb.3661:                             ;   in Loop: Header=BB6_3218 Depth=4
	v_ffbh_u32_e32 v7, v2
	v_min_u32_e32 v7, 32, v7
	v_and_b32_e32 v1, 0xff, v39
	v_mov_b32_e32 v40, v34
	v_subrev_u32_e32 v17, 29, v7
	v_bfe_u32 v1, v1, 2, 5
	s_waitcnt vmcnt(0)
	v_lshlrev_b64 v[35:36], v17, v[39:40]
	v_sub_u32_e32 v7, 30, v7
	v_cmp_eq_u32_e32 vcc, 0, v1
	v_and_b32_e32 v17, 3, v35
	v_cndmask_b32_e32 v1, v1, v7, vcc
	v_and_b32_sdwa v7, sext(v39), s82 dst_sel:DWORD dst_unused:UNUSED_PAD src0_sel:WORD_0 src1_sel:DWORD
	v_cndmask_b32_e32 v2, v2, v17, vcc
	v_lshl_add_u32 v1, v1, 23, v7
	v_lshl_or_b32 v1, v2, 21, v1
	v_add_u32_e32 v1, 0x38000000, v1
                                        ; implicit-def: $vgpr2
                                        ; implicit-def: $vgpr39
.LBB6_3662:                             ;   in Loop: Header=BB6_3218 Depth=4
	s_andn2_saveexec_b64 s[36:37], s[36:37]
; %bb.3663:                             ;   in Loop: Header=BB6_3218 Depth=4
	v_cmp_lt_i16_e32 vcc, -1, v39
	v_mov_b32_e32 v1, 0xff800000
	v_mov_b32_e32 v7, 0x7f800000
	v_cndmask_b32_e32 v1, v1, v7, vcc
	v_cmp_eq_u32_e32 vcc, 0, v2
	v_mov_b32_e32 v2, 0x7f800001
	v_cndmask_b32_e32 v1, v2, v1, vcc
; %bb.3664:                             ;   in Loop: Header=BB6_3218 Depth=4
	s_or_b64 exec, exec, s[36:37]
.LBB6_3665:                             ;   in Loop: Header=BB6_3218 Depth=4
	s_or_b64 exec, exec, s[34:35]
.LBB6_3666:                             ;   in Loop: Header=BB6_3218 Depth=4
	s_or_b64 exec, exec, s[28:29]
	v_cmp_ne_u16_e32 vcc, 0, v56
	s_and_saveexec_b64 s[28:29], vcc
	s_cbranch_execz .LBB6_3674
; %bb.3667:                             ;   in Loop: Header=BB6_3218 Depth=4
	v_cmp_ne_u16_e32 vcc, s80, v56
	v_bfrev_b32_e32 v0, 1
	s_and_saveexec_b64 s[34:35], vcc
	s_cbranch_execz .LBB6_3673
; %bb.3668:                             ;   in Loop: Header=BB6_3218 Depth=4
	v_and_b32_e32 v0, 0x7c, v56
	v_and_b32_e32 v2, 3, v56
	v_cmp_ne_u32_e32 vcc, s81, v0
                                        ; implicit-def: $vgpr0
	s_and_saveexec_b64 s[36:37], vcc
	s_xor_b64 s[36:37], exec, s[36:37]
	s_cbranch_execz .LBB6_3670
; %bb.3669:                             ;   in Loop: Header=BB6_3218 Depth=4
	v_ffbh_u32_e32 v7, v2
	v_min_u32_e32 v7, 32, v7
	v_and_b32_e32 v0, 0xff, v56
	v_mov_b32_e32 v57, v34
	v_subrev_u32_e32 v17, 29, v7
	v_bfe_u32 v0, v0, 2, 5
	s_waitcnt vmcnt(0)
	v_lshlrev_b64 v[35:36], v17, v[56:57]
	v_sub_u32_e32 v7, 30, v7
	v_cmp_eq_u32_e32 vcc, 0, v0
	v_and_b32_e32 v17, 3, v35
	v_cndmask_b32_e32 v0, v0, v7, vcc
	v_and_b32_sdwa v7, sext(v56), s82 dst_sel:DWORD dst_unused:UNUSED_PAD src0_sel:WORD_0 src1_sel:DWORD
	v_cndmask_b32_e32 v2, v2, v17, vcc
	v_lshl_add_u32 v0, v0, 23, v7
	v_lshl_or_b32 v0, v2, 21, v0
	v_add_u32_e32 v0, 0x38000000, v0
                                        ; implicit-def: $vgpr2
                                        ; implicit-def: $vgpr56
.LBB6_3670:                             ;   in Loop: Header=BB6_3218 Depth=4
	s_andn2_saveexec_b64 s[36:37], s[36:37]
; %bb.3671:                             ;   in Loop: Header=BB6_3218 Depth=4
	v_cmp_lt_i16_e32 vcc, -1, v56
	v_mov_b32_e32 v0, 0xff800000
	v_mov_b32_e32 v7, 0x7f800000
	v_cndmask_b32_e32 v0, v0, v7, vcc
	v_cmp_eq_u32_e32 vcc, 0, v2
	v_mov_b32_e32 v2, 0x7f800001
	v_cndmask_b32_e32 v0, v2, v0, vcc
; %bb.3672:                             ;   in Loop: Header=BB6_3218 Depth=4
	s_or_b64 exec, exec, s[36:37]
.LBB6_3673:                             ;   in Loop: Header=BB6_3218 Depth=4
	s_or_b64 exec, exec, s[34:35]
.LBB6_3674:                             ;   in Loop: Header=BB6_3218 Depth=4
	s_or_b64 exec, exec, s[28:29]
	v_mul_f32_e32 v0, v1, v0
	v_and_b32_e32 v1, 0x7f800000, v0
	v_mov_b32_e32 v2, v34
	v_cmp_ne_u64_e32 vcc, s[76:77], v[1:2]
	v_and_b32_e32 v33, 0x7fffff, v0
                                        ; implicit-def: $vgpr17
	s_and_saveexec_b64 s[28:29], vcc
	s_xor_b64 s[34:35], exec, s[28:29]
	s_cbranch_execz .LBB6_3692
; %bb.3675:                             ;   in Loop: Header=BB6_3218 Depth=4
	v_and_b32_e32 v1, 0x7fffffff, v0
	v_mov_b32_e32 v2, v34
	v_cmp_gt_u64_e32 vcc, s[78:79], v[1:2]
	v_and_b32_sdwa v7, v0, s44 dst_sel:DWORD dst_unused:UNUSED_PAD src0_sel:BYTE_3 src1_sel:DWORD
                                        ; implicit-def: $vgpr17
	s_and_saveexec_b64 s[28:29], vcc
	s_xor_b64 s[36:37], exec, s[28:29]
	s_cbranch_execz .LBB6_3689
; %bb.3676:                             ;   in Loop: Header=BB6_3218 Depth=4
	v_cmp_ne_u32_e32 vcc, 0, v0
	v_mov_b32_e32 v17, 0
	s_and_saveexec_b64 s[38:39], vcc
	s_cbranch_execz .LBB6_3688
; %bb.3677:                             ;   in Loop: Header=BB6_3218 Depth=4
	v_bfe_u32 v17, v0, 23, 8
	v_cmp_gt_u32_e64 s[28:29], s45, v17
	v_sub_u32_e32 v0, 0x71, v17
	v_cmp_eq_u32_e32 vcc, 0, v17
	v_cndmask_b32_e64 v0, 0, v0, s[28:29]
	v_mov_b32_e32 v2, 0x70
	v_cndmask_b32_e32 v19, v0, v2, vcc
	v_add_u32_e32 v2, 21, v19
	v_or_b32_e32 v1, 0x800000, v33
	s_waitcnt vmcnt(0)
	v_lshlrev_b64 v[35:36], v2, -1
	v_cndmask_b32_e32 v0, v1, v33, vcc
	v_mov_b32_e32 v1, v34
	v_add_u32_e32 v2, 20, v19
	v_bfi_b32 v35, v35, 0, v0
	v_lshlrev_b64 v[39:40], v2, 1
	v_lshrrev_b64 v[0:1], v19, v[0:1]
	v_bfi_b32 v36, v36, 0, 0
	v_cmp_eq_u64_e64 s[28:29], v[35:36], v[39:40]
	v_mov_b32_e32 v2, v1
	v_mov_b32_e32 v1, v0
	s_and_saveexec_b64 s[48:49], s[28:29]
; %bb.3678:                             ;   in Loop: Header=BB6_3218 Depth=4
	v_bfe_u32 v1, v0, 21, 1
	v_add_co_u32_e64 v1, s[28:29], v0, v1
	v_add_co_u32_e64 v1, s[28:29], -1, v1
; %bb.3679:                             ;   in Loop: Header=BB6_3218 Depth=4
	s_or_b64 exec, exec, s[48:49]
	v_add_u32_e32 v2, 0xffffff81, v17
	v_mov_b32_e32 v17, 0xffffff82
	v_cndmask_b32_e32 v2, v2, v17, vcc
	v_lshrrev_b32_e32 v17, 23, v0
	v_add3_u32 v19, v19, v2, v17
	v_add_u32_e32 v17, 14, v19
	v_and_b32_e32 v1, 0x1fffff, v1
	v_add_u32_e32 v33, v1, v0
	v_cmp_ne_u32_e32 vcc, 0, v17
                                        ; implicit-def: $vgpr0_vgpr1
                                        ; implicit-def: $vgpr2
	s_and_saveexec_b64 s[28:29], vcc
	s_xor_b64 s[28:29], exec, s[28:29]
; %bb.3680:                             ;   in Loop: Header=BB6_3218 Depth=4
	v_cmp_lt_u64_e32 vcc, s[88:89], v[33:34]
	v_add_u32_e32 v0, 15, v19
	v_cndmask_b32_e32 v2, v17, v0, vcc
	v_cndmask_b32_e64 v0, 0, 1, vcc
	v_lshrrev_b64 v[0:1], v0, v[33:34]
; %bb.3681:                             ;   in Loop: Header=BB6_3218 Depth=4
	s_andn2_saveexec_b64 s[28:29], s[28:29]
; %bb.3682:                             ;   in Loop: Header=BB6_3218 Depth=4
	v_mov_b32_e32 v0, v33
	v_mov_b32_e32 v1, v34
	v_bfe_u32 v2, v33, 23, 1
; %bb.3683:                             ;   in Loop: Header=BB6_3218 Depth=4
	s_or_b64 exec, exec, s[28:29]
	v_lshrrev_b64 v[0:1], 21, v[0:1]
	v_cmp_gt_i32_e32 vcc, 32, v2
	v_cndmask_b32_e32 v1, 0, v1, vcc
	v_cndmask_b32_e32 v0, 3, v0, vcc
	v_cmp_ne_u64_e32 vcc, 0, v[0:1]
	v_cmp_ne_u32_e64 s[28:29], 0, v2
	s_or_b64 s[28:29], s[28:29], vcc
                                        ; implicit-def: $vgpr17
	s_and_saveexec_b64 vcc, s[28:29]
	s_xor_b64 s[28:29], exec, vcc
; %bb.3684:                             ;   in Loop: Header=BB6_3218 Depth=4
	v_min_i32_e32 v1, 31, v2
	v_lshl_or_b32 v1, v1, 2, v7
	v_and_or_b32 v17, v0, 3, v1
                                        ; implicit-def: $vgpr7
; %bb.3685:                             ;   in Loop: Header=BB6_3218 Depth=4
	s_andn2_saveexec_b64 s[28:29], s[28:29]
; %bb.3686:                             ;   in Loop: Header=BB6_3218 Depth=4
	v_mov_b32_e32 v17, v7
; %bb.3687:                             ;   in Loop: Header=BB6_3218 Depth=4
	s_or_b64 exec, exec, s[28:29]
.LBB6_3688:                             ;   in Loop: Header=BB6_3218 Depth=4
	s_or_b64 exec, exec, s[38:39]
                                        ; implicit-def: $vgpr7
.LBB6_3689:                             ;   in Loop: Header=BB6_3218 Depth=4
	s_andn2_saveexec_b64 s[28:29], s[36:37]
; %bb.3690:                             ;   in Loop: Header=BB6_3218 Depth=4
	v_or_b32_e32 v17, 0x7b, v7
; %bb.3691:                             ;   in Loop: Header=BB6_3218 Depth=4
	s_or_b64 exec, exec, s[28:29]
                                        ; implicit-def: $vgpr0
.LBB6_3692:                             ;   in Loop: Header=BB6_3218 Depth=4
	s_andn2_saveexec_b64 s[28:29], s[34:35]
	s_cbranch_execz .LBB6_3698
; %bb.3693:                             ;   in Loop: Header=BB6_3218 Depth=4
	v_cmp_ne_u64_e32 vcc, 0, v[33:34]
                                        ; implicit-def: $vgpr17
	s_and_saveexec_b64 s[34:35], vcc
	s_xor_b64 vcc, exec, s[34:35]
; %bb.3694:                             ;   in Loop: Header=BB6_3218 Depth=4
	v_or_b32_sdwa v17, v0, s83 dst_sel:DWORD dst_unused:UNUSED_PAD src0_sel:BYTE_3 src1_sel:DWORD
                                        ; implicit-def: $vgpr0
; %bb.3695:                             ;   in Loop: Header=BB6_3218 Depth=4
	s_andn2_saveexec_b64 s[34:35], vcc
; %bb.3696:                             ;   in Loop: Header=BB6_3218 Depth=4
	v_cmp_lt_i32_e32 vcc, -1, v0
	v_mov_b32_e32 v0, 0x7c
	v_cndmask_b32_e32 v17, -4, v0, vcc
; %bb.3697:                             ;   in Loop: Header=BB6_3218 Depth=4
	s_or_b64 exec, exec, s[34:35]
.LBB6_3698:                             ;   in Loop: Header=BB6_3218 Depth=4
	s_or_b64 exec, exec, s[28:29]
	v_cmp_ne_u16_e32 vcc, 0, v55
	v_mov_b32_e32 v0, 0
	v_mov_b32_e32 v1, 0
	s_and_saveexec_b64 s[28:29], vcc
	s_cbranch_execz .LBB6_3706
; %bb.3699:                             ;   in Loop: Header=BB6_3218 Depth=4
	v_cmp_ne_u16_e32 vcc, s80, v55
	v_bfrev_b32_e32 v1, 1
	s_and_saveexec_b64 s[34:35], vcc
	s_cbranch_execz .LBB6_3705
; %bb.3700:                             ;   in Loop: Header=BB6_3218 Depth=4
	v_and_b32_e32 v1, 0x7c, v55
	v_and_b32_e32 v2, 3, v55
	v_cmp_ne_u32_e32 vcc, s81, v1
                                        ; implicit-def: $vgpr1
	s_and_saveexec_b64 s[36:37], vcc
	s_xor_b64 s[36:37], exec, s[36:37]
	s_cbranch_execz .LBB6_3702
; %bb.3701:                             ;   in Loop: Header=BB6_3218 Depth=4
	v_ffbh_u32_e32 v7, v2
	v_min_u32_e32 v7, 32, v7
	v_and_b32_e32 v1, 0xff, v55
	v_mov_b32_e32 v56, v34
	v_subrev_u32_e32 v19, 29, v7
	v_bfe_u32 v1, v1, 2, 5
	s_waitcnt vmcnt(0)
	v_lshlrev_b64 v[35:36], v19, v[55:56]
	v_sub_u32_e32 v7, 30, v7
	v_cmp_eq_u32_e32 vcc, 0, v1
	v_and_b32_e32 v19, 3, v35
	v_cndmask_b32_e32 v1, v1, v7, vcc
	v_and_b32_sdwa v7, sext(v55), s82 dst_sel:DWORD dst_unused:UNUSED_PAD src0_sel:WORD_0 src1_sel:DWORD
	v_cndmask_b32_e32 v2, v2, v19, vcc
	v_lshl_add_u32 v1, v1, 23, v7
	v_lshl_or_b32 v1, v2, 21, v1
	v_add_u32_e32 v1, 0x38000000, v1
                                        ; implicit-def: $vgpr2
                                        ; implicit-def: $vgpr55
.LBB6_3702:                             ;   in Loop: Header=BB6_3218 Depth=4
	s_andn2_saveexec_b64 s[36:37], s[36:37]
; %bb.3703:                             ;   in Loop: Header=BB6_3218 Depth=4
	v_cmp_lt_i16_e32 vcc, -1, v55
	v_mov_b32_e32 v1, 0xff800000
	v_mov_b32_e32 v7, 0x7f800000
	v_cndmask_b32_e32 v1, v1, v7, vcc
	v_cmp_eq_u32_e32 vcc, 0, v2
	v_mov_b32_e32 v2, 0x7f800001
	v_cndmask_b32_e32 v1, v2, v1, vcc
; %bb.3704:                             ;   in Loop: Header=BB6_3218 Depth=4
	s_or_b64 exec, exec, s[36:37]
.LBB6_3705:                             ;   in Loop: Header=BB6_3218 Depth=4
	s_or_b64 exec, exec, s[34:35]
.LBB6_3706:                             ;   in Loop: Header=BB6_3218 Depth=4
	s_or_b64 exec, exec, s[28:29]
	v_cmp_ne_u16_e32 vcc, 0, v54
	s_and_saveexec_b64 s[28:29], vcc
	s_cbranch_execz .LBB6_3714
; %bb.3707:                             ;   in Loop: Header=BB6_3218 Depth=4
	v_cmp_ne_u16_e32 vcc, s80, v54
	v_bfrev_b32_e32 v0, 1
	s_and_saveexec_b64 s[34:35], vcc
	s_cbranch_execz .LBB6_3713
; %bb.3708:                             ;   in Loop: Header=BB6_3218 Depth=4
	v_and_b32_e32 v0, 0x7c, v54
	v_and_b32_e32 v2, 3, v54
	v_cmp_ne_u32_e32 vcc, s81, v0
                                        ; implicit-def: $vgpr0
	s_and_saveexec_b64 s[36:37], vcc
	s_xor_b64 s[36:37], exec, s[36:37]
	s_cbranch_execz .LBB6_3710
; %bb.3709:                             ;   in Loop: Header=BB6_3218 Depth=4
	v_ffbh_u32_e32 v7, v2
	v_min_u32_e32 v7, 32, v7
	v_and_b32_e32 v0, 0xff, v54
	v_mov_b32_e32 v55, v34
	v_subrev_u32_e32 v19, 29, v7
	v_bfe_u32 v0, v0, 2, 5
	s_waitcnt vmcnt(0)
	v_lshlrev_b64 v[35:36], v19, v[54:55]
	v_sub_u32_e32 v7, 30, v7
	v_cmp_eq_u32_e32 vcc, 0, v0
	v_and_b32_e32 v19, 3, v35
	v_cndmask_b32_e32 v0, v0, v7, vcc
	v_and_b32_sdwa v7, sext(v54), s82 dst_sel:DWORD dst_unused:UNUSED_PAD src0_sel:WORD_0 src1_sel:DWORD
	v_cndmask_b32_e32 v2, v2, v19, vcc
	v_lshl_add_u32 v0, v0, 23, v7
	v_lshl_or_b32 v0, v2, 21, v0
	v_add_u32_e32 v0, 0x38000000, v0
                                        ; implicit-def: $vgpr2
                                        ; implicit-def: $vgpr54
.LBB6_3710:                             ;   in Loop: Header=BB6_3218 Depth=4
	s_andn2_saveexec_b64 s[36:37], s[36:37]
; %bb.3711:                             ;   in Loop: Header=BB6_3218 Depth=4
	v_cmp_lt_i16_e32 vcc, -1, v54
	v_mov_b32_e32 v0, 0xff800000
	v_mov_b32_e32 v7, 0x7f800000
	v_cndmask_b32_e32 v0, v0, v7, vcc
	v_cmp_eq_u32_e32 vcc, 0, v2
	v_mov_b32_e32 v2, 0x7f800001
	v_cndmask_b32_e32 v0, v2, v0, vcc
; %bb.3712:                             ;   in Loop: Header=BB6_3218 Depth=4
	s_or_b64 exec, exec, s[36:37]
.LBB6_3713:                             ;   in Loop: Header=BB6_3218 Depth=4
	s_or_b64 exec, exec, s[34:35]
.LBB6_3714:                             ;   in Loop: Header=BB6_3218 Depth=4
	s_or_b64 exec, exec, s[28:29]
	v_mul_f32_e32 v0, v1, v0
	v_and_b32_e32 v1, 0x7f800000, v0
	v_mov_b32_e32 v2, v34
	v_cmp_ne_u64_e32 vcc, s[76:77], v[1:2]
	v_and_b32_e32 v33, 0x7fffff, v0
                                        ; implicit-def: $vgpr19
	s_and_saveexec_b64 s[28:29], vcc
	s_xor_b64 s[34:35], exec, s[28:29]
	s_cbranch_execz .LBB6_3732
; %bb.3715:                             ;   in Loop: Header=BB6_3218 Depth=4
	v_and_b32_e32 v1, 0x7fffffff, v0
	v_mov_b32_e32 v2, v34
	v_cmp_gt_u64_e32 vcc, s[78:79], v[1:2]
	v_and_b32_sdwa v7, v0, s44 dst_sel:DWORD dst_unused:UNUSED_PAD src0_sel:BYTE_3 src1_sel:DWORD
                                        ; implicit-def: $vgpr19
	s_and_saveexec_b64 s[28:29], vcc
	s_xor_b64 s[36:37], exec, s[28:29]
	s_cbranch_execz .LBB6_3729
; %bb.3716:                             ;   in Loop: Header=BB6_3218 Depth=4
	v_cmp_ne_u32_e32 vcc, 0, v0
	v_mov_b32_e32 v19, 0
	s_and_saveexec_b64 s[38:39], vcc
	s_cbranch_execz .LBB6_3728
; %bb.3717:                             ;   in Loop: Header=BB6_3218 Depth=4
	v_bfe_u32 v19, v0, 23, 8
	v_cmp_gt_u32_e64 s[28:29], s45, v19
	v_sub_u32_e32 v0, 0x71, v19
	v_cmp_eq_u32_e32 vcc, 0, v19
	v_cndmask_b32_e64 v0, 0, v0, s[28:29]
	v_mov_b32_e32 v2, 0x70
	v_cndmask_b32_e32 v21, v0, v2, vcc
	v_add_u32_e32 v2, 21, v21
	v_or_b32_e32 v1, 0x800000, v33
	s_waitcnt vmcnt(0)
	v_lshlrev_b64 v[35:36], v2, -1
	v_cndmask_b32_e32 v0, v1, v33, vcc
	v_mov_b32_e32 v1, v34
	v_add_u32_e32 v2, 20, v21
	v_bfi_b32 v35, v35, 0, v0
	v_lshlrev_b64 v[54:55], v2, 1
	v_lshrrev_b64 v[0:1], v21, v[0:1]
	v_bfi_b32 v36, v36, 0, 0
	v_cmp_eq_u64_e64 s[28:29], v[35:36], v[54:55]
	v_mov_b32_e32 v2, v1
	v_mov_b32_e32 v1, v0
	s_and_saveexec_b64 s[48:49], s[28:29]
; %bb.3718:                             ;   in Loop: Header=BB6_3218 Depth=4
	v_bfe_u32 v1, v0, 21, 1
	v_add_co_u32_e64 v1, s[28:29], v0, v1
	v_add_co_u32_e64 v1, s[28:29], -1, v1
; %bb.3719:                             ;   in Loop: Header=BB6_3218 Depth=4
	s_or_b64 exec, exec, s[48:49]
	v_add_u32_e32 v2, 0xffffff81, v19
	v_mov_b32_e32 v19, 0xffffff82
	v_cndmask_b32_e32 v2, v2, v19, vcc
	v_lshrrev_b32_e32 v19, 23, v0
	v_add3_u32 v21, v21, v2, v19
	v_add_u32_e32 v19, 14, v21
	v_and_b32_e32 v1, 0x1fffff, v1
	v_add_u32_e32 v33, v1, v0
	v_cmp_ne_u32_e32 vcc, 0, v19
                                        ; implicit-def: $vgpr0_vgpr1
                                        ; implicit-def: $vgpr2
	s_and_saveexec_b64 s[28:29], vcc
	s_xor_b64 s[28:29], exec, s[28:29]
; %bb.3720:                             ;   in Loop: Header=BB6_3218 Depth=4
	v_cmp_lt_u64_e32 vcc, s[88:89], v[33:34]
	v_add_u32_e32 v0, 15, v21
	v_cndmask_b32_e32 v2, v19, v0, vcc
	v_cndmask_b32_e64 v0, 0, 1, vcc
	v_lshrrev_b64 v[0:1], v0, v[33:34]
; %bb.3721:                             ;   in Loop: Header=BB6_3218 Depth=4
	s_andn2_saveexec_b64 s[28:29], s[28:29]
; %bb.3722:                             ;   in Loop: Header=BB6_3218 Depth=4
	v_mov_b32_e32 v0, v33
	v_mov_b32_e32 v1, v34
	v_bfe_u32 v2, v33, 23, 1
; %bb.3723:                             ;   in Loop: Header=BB6_3218 Depth=4
	s_or_b64 exec, exec, s[28:29]
	v_lshrrev_b64 v[0:1], 21, v[0:1]
	v_cmp_gt_i32_e32 vcc, 32, v2
	v_cndmask_b32_e32 v1, 0, v1, vcc
	v_cndmask_b32_e32 v0, 3, v0, vcc
	v_cmp_ne_u64_e32 vcc, 0, v[0:1]
	v_cmp_ne_u32_e64 s[28:29], 0, v2
	s_or_b64 s[28:29], s[28:29], vcc
                                        ; implicit-def: $vgpr19
	s_and_saveexec_b64 vcc, s[28:29]
	s_xor_b64 s[28:29], exec, vcc
; %bb.3724:                             ;   in Loop: Header=BB6_3218 Depth=4
	v_min_i32_e32 v1, 31, v2
	v_lshl_or_b32 v1, v1, 2, v7
	v_and_or_b32 v19, v0, 3, v1
                                        ; implicit-def: $vgpr7
; %bb.3725:                             ;   in Loop: Header=BB6_3218 Depth=4
	s_andn2_saveexec_b64 s[28:29], s[28:29]
; %bb.3726:                             ;   in Loop: Header=BB6_3218 Depth=4
	v_mov_b32_e32 v19, v7
; %bb.3727:                             ;   in Loop: Header=BB6_3218 Depth=4
	s_or_b64 exec, exec, s[28:29]
.LBB6_3728:                             ;   in Loop: Header=BB6_3218 Depth=4
	s_or_b64 exec, exec, s[38:39]
                                        ; implicit-def: $vgpr7
.LBB6_3729:                             ;   in Loop: Header=BB6_3218 Depth=4
	s_andn2_saveexec_b64 s[28:29], s[36:37]
; %bb.3730:                             ;   in Loop: Header=BB6_3218 Depth=4
	v_or_b32_e32 v19, 0x7b, v7
; %bb.3731:                             ;   in Loop: Header=BB6_3218 Depth=4
	s_or_b64 exec, exec, s[28:29]
                                        ; implicit-def: $vgpr0
.LBB6_3732:                             ;   in Loop: Header=BB6_3218 Depth=4
	s_andn2_saveexec_b64 s[28:29], s[34:35]
	s_cbranch_execz .LBB6_3738
; %bb.3733:                             ;   in Loop: Header=BB6_3218 Depth=4
	v_cmp_ne_u64_e32 vcc, 0, v[33:34]
                                        ; implicit-def: $vgpr19
	s_and_saveexec_b64 s[34:35], vcc
	s_xor_b64 vcc, exec, s[34:35]
; %bb.3734:                             ;   in Loop: Header=BB6_3218 Depth=4
	v_or_b32_sdwa v19, v0, s83 dst_sel:DWORD dst_unused:UNUSED_PAD src0_sel:BYTE_3 src1_sel:DWORD
                                        ; implicit-def: $vgpr0
; %bb.3735:                             ;   in Loop: Header=BB6_3218 Depth=4
	s_andn2_saveexec_b64 s[34:35], vcc
; %bb.3736:                             ;   in Loop: Header=BB6_3218 Depth=4
	v_cmp_lt_i32_e32 vcc, -1, v0
	v_mov_b32_e32 v0, 0x7c
	v_cndmask_b32_e32 v19, -4, v0, vcc
; %bb.3737:                             ;   in Loop: Header=BB6_3218 Depth=4
	s_or_b64 exec, exec, s[34:35]
.LBB6_3738:                             ;   in Loop: Header=BB6_3218 Depth=4
	s_or_b64 exec, exec, s[28:29]
	v_cmp_ne_u16_e32 vcc, 0, v53
	v_mov_b32_e32 v0, 0
	v_mov_b32_e32 v1, 0
	s_and_saveexec_b64 s[28:29], vcc
	s_cbranch_execz .LBB6_3746
; %bb.3739:                             ;   in Loop: Header=BB6_3218 Depth=4
	v_cmp_ne_u16_e32 vcc, s80, v53
	v_bfrev_b32_e32 v1, 1
	s_and_saveexec_b64 s[34:35], vcc
	s_cbranch_execz .LBB6_3745
; %bb.3740:                             ;   in Loop: Header=BB6_3218 Depth=4
	v_and_b32_e32 v1, 0x7c, v53
	v_and_b32_e32 v2, 3, v53
	v_cmp_ne_u32_e32 vcc, s81, v1
                                        ; implicit-def: $vgpr1
	s_and_saveexec_b64 s[36:37], vcc
	s_xor_b64 s[36:37], exec, s[36:37]
	s_cbranch_execz .LBB6_3742
; %bb.3741:                             ;   in Loop: Header=BB6_3218 Depth=4
	v_ffbh_u32_e32 v7, v2
	v_min_u32_e32 v7, 32, v7
	v_and_b32_e32 v1, 0xff, v53
	v_mov_b32_e32 v54, v34
	v_subrev_u32_e32 v21, 29, v7
	v_bfe_u32 v1, v1, 2, 5
	s_waitcnt vmcnt(0)
	v_lshlrev_b64 v[35:36], v21, v[53:54]
	v_sub_u32_e32 v7, 30, v7
	v_cmp_eq_u32_e32 vcc, 0, v1
	v_and_b32_e32 v21, 3, v35
	v_cndmask_b32_e32 v1, v1, v7, vcc
	v_and_b32_sdwa v7, sext(v53), s82 dst_sel:DWORD dst_unused:UNUSED_PAD src0_sel:WORD_0 src1_sel:DWORD
	v_cndmask_b32_e32 v2, v2, v21, vcc
	v_lshl_add_u32 v1, v1, 23, v7
	v_lshl_or_b32 v1, v2, 21, v1
	v_add_u32_e32 v1, 0x38000000, v1
                                        ; implicit-def: $vgpr2
                                        ; implicit-def: $vgpr53
.LBB6_3742:                             ;   in Loop: Header=BB6_3218 Depth=4
	s_andn2_saveexec_b64 s[36:37], s[36:37]
; %bb.3743:                             ;   in Loop: Header=BB6_3218 Depth=4
	v_cmp_lt_i16_e32 vcc, -1, v53
	v_mov_b32_e32 v1, 0xff800000
	v_mov_b32_e32 v7, 0x7f800000
	v_cndmask_b32_e32 v1, v1, v7, vcc
	v_cmp_eq_u32_e32 vcc, 0, v2
	v_mov_b32_e32 v2, 0x7f800001
	v_cndmask_b32_e32 v1, v2, v1, vcc
; %bb.3744:                             ;   in Loop: Header=BB6_3218 Depth=4
	s_or_b64 exec, exec, s[36:37]
.LBB6_3745:                             ;   in Loop: Header=BB6_3218 Depth=4
	s_or_b64 exec, exec, s[34:35]
.LBB6_3746:                             ;   in Loop: Header=BB6_3218 Depth=4
	s_or_b64 exec, exec, s[28:29]
	v_cmp_ne_u16_e32 vcc, 0, v42
	s_and_saveexec_b64 s[28:29], vcc
	s_cbranch_execz .LBB6_3754
; %bb.3747:                             ;   in Loop: Header=BB6_3218 Depth=4
	v_cmp_ne_u16_e32 vcc, s80, v42
	v_bfrev_b32_e32 v0, 1
	s_and_saveexec_b64 s[34:35], vcc
	s_cbranch_execz .LBB6_3753
; %bb.3748:                             ;   in Loop: Header=BB6_3218 Depth=4
	v_and_b32_e32 v0, 0x7c, v42
	v_and_b32_e32 v2, 3, v42
	v_cmp_ne_u32_e32 vcc, s81, v0
                                        ; implicit-def: $vgpr0
	s_and_saveexec_b64 s[36:37], vcc
	s_xor_b64 s[36:37], exec, s[36:37]
	s_cbranch_execz .LBB6_3750
; %bb.3749:                             ;   in Loop: Header=BB6_3218 Depth=4
	v_ffbh_u32_e32 v7, v2
	v_min_u32_e32 v7, 32, v7
	v_and_b32_e32 v0, 0xff, v42
	v_mov_b32_e32 v43, v34
	v_subrev_u32_e32 v21, 29, v7
	v_bfe_u32 v0, v0, 2, 5
	s_waitcnt vmcnt(0)
	v_lshlrev_b64 v[35:36], v21, v[42:43]
	v_sub_u32_e32 v7, 30, v7
	v_cmp_eq_u32_e32 vcc, 0, v0
	v_and_b32_e32 v21, 3, v35
	v_cndmask_b32_e32 v0, v0, v7, vcc
	v_and_b32_sdwa v7, sext(v42), s82 dst_sel:DWORD dst_unused:UNUSED_PAD src0_sel:WORD_0 src1_sel:DWORD
	v_cndmask_b32_e32 v2, v2, v21, vcc
	v_lshl_add_u32 v0, v0, 23, v7
	v_lshl_or_b32 v0, v2, 21, v0
	v_add_u32_e32 v0, 0x38000000, v0
                                        ; implicit-def: $vgpr2
                                        ; implicit-def: $vgpr42
.LBB6_3750:                             ;   in Loop: Header=BB6_3218 Depth=4
	s_andn2_saveexec_b64 s[36:37], s[36:37]
; %bb.3751:                             ;   in Loop: Header=BB6_3218 Depth=4
	v_cmp_lt_i16_e32 vcc, -1, v42
	v_mov_b32_e32 v0, 0xff800000
	v_mov_b32_e32 v7, 0x7f800000
	v_cndmask_b32_e32 v0, v0, v7, vcc
	v_cmp_eq_u32_e32 vcc, 0, v2
	v_mov_b32_e32 v2, 0x7f800001
	v_cndmask_b32_e32 v0, v2, v0, vcc
; %bb.3752:                             ;   in Loop: Header=BB6_3218 Depth=4
	s_or_b64 exec, exec, s[36:37]
.LBB6_3753:                             ;   in Loop: Header=BB6_3218 Depth=4
	s_or_b64 exec, exec, s[34:35]
.LBB6_3754:                             ;   in Loop: Header=BB6_3218 Depth=4
	s_or_b64 exec, exec, s[28:29]
	v_mul_f32_e32 v0, v1, v0
	v_and_b32_e32 v1, 0x7f800000, v0
	v_mov_b32_e32 v2, v34
	v_cmp_ne_u64_e32 vcc, s[76:77], v[1:2]
	v_and_b32_e32 v33, 0x7fffff, v0
                                        ; implicit-def: $vgpr21
	s_and_saveexec_b64 s[28:29], vcc
	s_xor_b64 s[34:35], exec, s[28:29]
	s_cbranch_execz .LBB6_3772
; %bb.3755:                             ;   in Loop: Header=BB6_3218 Depth=4
	v_and_b32_e32 v1, 0x7fffffff, v0
	v_mov_b32_e32 v2, v34
	v_cmp_gt_u64_e32 vcc, s[78:79], v[1:2]
	v_and_b32_sdwa v7, v0, s44 dst_sel:DWORD dst_unused:UNUSED_PAD src0_sel:BYTE_3 src1_sel:DWORD
                                        ; implicit-def: $vgpr21
	s_and_saveexec_b64 s[28:29], vcc
	s_xor_b64 s[36:37], exec, s[28:29]
	s_cbranch_execz .LBB6_3769
; %bb.3756:                             ;   in Loop: Header=BB6_3218 Depth=4
	v_cmp_ne_u32_e32 vcc, 0, v0
	v_mov_b32_e32 v21, 0
	s_and_saveexec_b64 s[38:39], vcc
	s_cbranch_execz .LBB6_3768
; %bb.3757:                             ;   in Loop: Header=BB6_3218 Depth=4
	v_bfe_u32 v21, v0, 23, 8
	v_cmp_gt_u32_e64 s[28:29], s45, v21
	v_sub_u32_e32 v0, 0x71, v21
	v_cmp_eq_u32_e32 vcc, 0, v21
	v_cndmask_b32_e64 v0, 0, v0, s[28:29]
	v_mov_b32_e32 v2, 0x70
	v_cndmask_b32_e32 v23, v0, v2, vcc
	v_add_u32_e32 v2, 21, v23
	v_or_b32_e32 v1, 0x800000, v33
	s_waitcnt vmcnt(0)
	v_lshlrev_b64 v[35:36], v2, -1
	v_cndmask_b32_e32 v0, v1, v33, vcc
	v_mov_b32_e32 v1, v34
	v_add_u32_e32 v2, 20, v23
	v_bfi_b32 v35, v35, 0, v0
	v_lshlrev_b64 v[53:54], v2, 1
	v_lshrrev_b64 v[0:1], v23, v[0:1]
	v_bfi_b32 v36, v36, 0, 0
	v_cmp_eq_u64_e64 s[28:29], v[35:36], v[53:54]
	v_mov_b32_e32 v2, v1
	v_mov_b32_e32 v1, v0
	s_and_saveexec_b64 s[48:49], s[28:29]
; %bb.3758:                             ;   in Loop: Header=BB6_3218 Depth=4
	v_bfe_u32 v1, v0, 21, 1
	v_add_co_u32_e64 v1, s[28:29], v0, v1
	v_add_co_u32_e64 v1, s[28:29], -1, v1
; %bb.3759:                             ;   in Loop: Header=BB6_3218 Depth=4
	s_or_b64 exec, exec, s[48:49]
	v_add_u32_e32 v2, 0xffffff81, v21
	v_mov_b32_e32 v21, 0xffffff82
	v_cndmask_b32_e32 v2, v2, v21, vcc
	v_lshrrev_b32_e32 v21, 23, v0
	v_add3_u32 v23, v23, v2, v21
	v_add_u32_e32 v21, 14, v23
	v_and_b32_e32 v1, 0x1fffff, v1
	v_add_u32_e32 v33, v1, v0
	v_cmp_ne_u32_e32 vcc, 0, v21
                                        ; implicit-def: $vgpr0_vgpr1
                                        ; implicit-def: $vgpr2
	s_and_saveexec_b64 s[28:29], vcc
	s_xor_b64 s[28:29], exec, s[28:29]
; %bb.3760:                             ;   in Loop: Header=BB6_3218 Depth=4
	v_cmp_lt_u64_e32 vcc, s[88:89], v[33:34]
	v_add_u32_e32 v0, 15, v23
	v_cndmask_b32_e32 v2, v21, v0, vcc
	v_cndmask_b32_e64 v0, 0, 1, vcc
	v_lshrrev_b64 v[0:1], v0, v[33:34]
; %bb.3761:                             ;   in Loop: Header=BB6_3218 Depth=4
	s_andn2_saveexec_b64 s[28:29], s[28:29]
; %bb.3762:                             ;   in Loop: Header=BB6_3218 Depth=4
	v_mov_b32_e32 v0, v33
	v_mov_b32_e32 v1, v34
	v_bfe_u32 v2, v33, 23, 1
; %bb.3763:                             ;   in Loop: Header=BB6_3218 Depth=4
	s_or_b64 exec, exec, s[28:29]
	v_lshrrev_b64 v[0:1], 21, v[0:1]
	v_cmp_gt_i32_e32 vcc, 32, v2
	v_cndmask_b32_e32 v1, 0, v1, vcc
	v_cndmask_b32_e32 v0, 3, v0, vcc
	v_cmp_ne_u64_e32 vcc, 0, v[0:1]
	v_cmp_ne_u32_e64 s[28:29], 0, v2
	s_or_b64 s[28:29], s[28:29], vcc
                                        ; implicit-def: $vgpr21
	s_and_saveexec_b64 vcc, s[28:29]
	s_xor_b64 s[28:29], exec, vcc
; %bb.3764:                             ;   in Loop: Header=BB6_3218 Depth=4
	v_min_i32_e32 v1, 31, v2
	v_lshl_or_b32 v1, v1, 2, v7
	v_and_or_b32 v21, v0, 3, v1
                                        ; implicit-def: $vgpr7
; %bb.3765:                             ;   in Loop: Header=BB6_3218 Depth=4
	s_andn2_saveexec_b64 s[28:29], s[28:29]
; %bb.3766:                             ;   in Loop: Header=BB6_3218 Depth=4
	v_mov_b32_e32 v21, v7
; %bb.3767:                             ;   in Loop: Header=BB6_3218 Depth=4
	s_or_b64 exec, exec, s[28:29]
.LBB6_3768:                             ;   in Loop: Header=BB6_3218 Depth=4
	s_or_b64 exec, exec, s[38:39]
                                        ; implicit-def: $vgpr7
.LBB6_3769:                             ;   in Loop: Header=BB6_3218 Depth=4
	s_andn2_saveexec_b64 s[28:29], s[36:37]
; %bb.3770:                             ;   in Loop: Header=BB6_3218 Depth=4
	v_or_b32_e32 v21, 0x7b, v7
; %bb.3771:                             ;   in Loop: Header=BB6_3218 Depth=4
	s_or_b64 exec, exec, s[28:29]
                                        ; implicit-def: $vgpr0
.LBB6_3772:                             ;   in Loop: Header=BB6_3218 Depth=4
	s_andn2_saveexec_b64 s[28:29], s[34:35]
	s_cbranch_execz .LBB6_3778
; %bb.3773:                             ;   in Loop: Header=BB6_3218 Depth=4
	v_cmp_ne_u64_e32 vcc, 0, v[33:34]
                                        ; implicit-def: $vgpr21
	s_and_saveexec_b64 s[34:35], vcc
	s_xor_b64 vcc, exec, s[34:35]
; %bb.3774:                             ;   in Loop: Header=BB6_3218 Depth=4
	v_or_b32_sdwa v21, v0, s83 dst_sel:DWORD dst_unused:UNUSED_PAD src0_sel:BYTE_3 src1_sel:DWORD
                                        ; implicit-def: $vgpr0
; %bb.3775:                             ;   in Loop: Header=BB6_3218 Depth=4
	s_andn2_saveexec_b64 s[34:35], vcc
; %bb.3776:                             ;   in Loop: Header=BB6_3218 Depth=4
	v_cmp_lt_i32_e32 vcc, -1, v0
	v_mov_b32_e32 v0, 0x7c
	v_cndmask_b32_e32 v21, -4, v0, vcc
; %bb.3777:                             ;   in Loop: Header=BB6_3218 Depth=4
	s_or_b64 exec, exec, s[34:35]
.LBB6_3778:                             ;   in Loop: Header=BB6_3218 Depth=4
	s_or_b64 exec, exec, s[28:29]
	v_cmp_ne_u16_e32 vcc, 0, v28
	v_mov_b32_e32 v0, 0
	v_mov_b32_e32 v1, 0
	s_and_saveexec_b64 s[28:29], vcc
	s_cbranch_execz .LBB6_3786
; %bb.3779:                             ;   in Loop: Header=BB6_3218 Depth=4
	v_cmp_ne_u16_e32 vcc, s80, v28
	v_bfrev_b32_e32 v1, 1
	s_and_saveexec_b64 s[34:35], vcc
	s_cbranch_execz .LBB6_3785
; %bb.3780:                             ;   in Loop: Header=BB6_3218 Depth=4
	v_and_b32_e32 v1, 0x7c, v28
	v_and_b32_e32 v2, 3, v28
	v_cmp_ne_u32_e32 vcc, s81, v1
                                        ; implicit-def: $vgpr1
	s_and_saveexec_b64 s[36:37], vcc
	s_xor_b64 s[36:37], exec, s[36:37]
	s_cbranch_execz .LBB6_3782
; %bb.3781:                             ;   in Loop: Header=BB6_3218 Depth=4
	v_ffbh_u32_e32 v7, v2
	v_min_u32_e32 v7, 32, v7
	v_and_b32_e32 v1, 0xff, v28
	v_mov_b32_e32 v29, v34
	v_subrev_u32_e32 v23, 29, v7
	v_bfe_u32 v1, v1, 2, 5
	s_waitcnt vmcnt(0)
	v_lshlrev_b64 v[35:36], v23, v[28:29]
	v_sub_u32_e32 v7, 30, v7
	v_cmp_eq_u32_e32 vcc, 0, v1
	v_and_b32_e32 v23, 3, v35
	v_cndmask_b32_e32 v1, v1, v7, vcc
	v_and_b32_sdwa v7, sext(v28), s82 dst_sel:DWORD dst_unused:UNUSED_PAD src0_sel:WORD_0 src1_sel:DWORD
	v_cndmask_b32_e32 v2, v2, v23, vcc
	v_lshl_add_u32 v1, v1, 23, v7
	v_lshl_or_b32 v1, v2, 21, v1
	v_add_u32_e32 v1, 0x38000000, v1
                                        ; implicit-def: $vgpr2
                                        ; implicit-def: $vgpr28
.LBB6_3782:                             ;   in Loop: Header=BB6_3218 Depth=4
	s_andn2_saveexec_b64 s[36:37], s[36:37]
; %bb.3783:                             ;   in Loop: Header=BB6_3218 Depth=4
	v_cmp_lt_i16_e32 vcc, -1, v28
	v_mov_b32_e32 v1, 0xff800000
	v_mov_b32_e32 v7, 0x7f800000
	v_cndmask_b32_e32 v1, v1, v7, vcc
	v_cmp_eq_u32_e32 vcc, 0, v2
	v_mov_b32_e32 v2, 0x7f800001
	v_cndmask_b32_e32 v1, v2, v1, vcc
; %bb.3784:                             ;   in Loop: Header=BB6_3218 Depth=4
	s_or_b64 exec, exec, s[36:37]
.LBB6_3785:                             ;   in Loop: Header=BB6_3218 Depth=4
	s_or_b64 exec, exec, s[34:35]
.LBB6_3786:                             ;   in Loop: Header=BB6_3218 Depth=4
	s_or_b64 exec, exec, s[28:29]
	v_cmp_ne_u16_e32 vcc, 0, v27
	s_and_saveexec_b64 s[28:29], vcc
	s_cbranch_execz .LBB6_3794
; %bb.3787:                             ;   in Loop: Header=BB6_3218 Depth=4
	v_cmp_ne_u16_e32 vcc, s80, v27
	v_bfrev_b32_e32 v0, 1
	s_and_saveexec_b64 s[34:35], vcc
	s_cbranch_execz .LBB6_3793
; %bb.3788:                             ;   in Loop: Header=BB6_3218 Depth=4
	v_and_b32_e32 v0, 0x7c, v27
	v_and_b32_e32 v2, 3, v27
	v_cmp_ne_u32_e32 vcc, s81, v0
                                        ; implicit-def: $vgpr0
	s_and_saveexec_b64 s[36:37], vcc
	s_xor_b64 s[36:37], exec, s[36:37]
	s_cbranch_execz .LBB6_3790
; %bb.3789:                             ;   in Loop: Header=BB6_3218 Depth=4
	v_ffbh_u32_e32 v7, v2
	v_min_u32_e32 v7, 32, v7
	v_and_b32_e32 v0, 0xff, v27
	v_mov_b32_e32 v28, v34
	v_subrev_u32_e32 v23, 29, v7
	v_bfe_u32 v0, v0, 2, 5
	v_lshlrev_b64 v[28:29], v23, v[27:28]
	v_sub_u32_e32 v7, 30, v7
	v_cmp_eq_u32_e32 vcc, 0, v0
	v_and_b32_e32 v23, 3, v28
	v_cndmask_b32_e32 v0, v0, v7, vcc
	v_and_b32_sdwa v7, sext(v27), s82 dst_sel:DWORD dst_unused:UNUSED_PAD src0_sel:WORD_0 src1_sel:DWORD
	v_cndmask_b32_e32 v2, v2, v23, vcc
	v_lshl_add_u32 v0, v0, 23, v7
	v_lshl_or_b32 v0, v2, 21, v0
	v_add_u32_e32 v0, 0x38000000, v0
                                        ; implicit-def: $vgpr2
                                        ; implicit-def: $vgpr27
.LBB6_3790:                             ;   in Loop: Header=BB6_3218 Depth=4
	s_andn2_saveexec_b64 s[36:37], s[36:37]
; %bb.3791:                             ;   in Loop: Header=BB6_3218 Depth=4
	v_cmp_lt_i16_e32 vcc, -1, v27
	v_mov_b32_e32 v0, 0xff800000
	v_mov_b32_e32 v7, 0x7f800000
	v_cndmask_b32_e32 v0, v0, v7, vcc
	v_cmp_eq_u32_e32 vcc, 0, v2
	v_mov_b32_e32 v2, 0x7f800001
	v_cndmask_b32_e32 v0, v2, v0, vcc
; %bb.3792:                             ;   in Loop: Header=BB6_3218 Depth=4
	s_or_b64 exec, exec, s[36:37]
.LBB6_3793:                             ;   in Loop: Header=BB6_3218 Depth=4
	s_or_b64 exec, exec, s[34:35]
.LBB6_3794:                             ;   in Loop: Header=BB6_3218 Depth=4
	s_or_b64 exec, exec, s[28:29]
	v_mul_f32_e32 v0, v1, v0
	v_and_b32_e32 v1, 0x7f800000, v0
	v_mov_b32_e32 v2, v34
	v_cmp_ne_u64_e32 vcc, s[76:77], v[1:2]
	v_and_b32_e32 v33, 0x7fffff, v0
                                        ; implicit-def: $vgpr23
	s_and_saveexec_b64 s[28:29], vcc
	s_xor_b64 s[34:35], exec, s[28:29]
	s_cbranch_execz .LBB6_3812
; %bb.3795:                             ;   in Loop: Header=BB6_3218 Depth=4
	v_and_b32_e32 v1, 0x7fffffff, v0
	v_mov_b32_e32 v2, v34
	v_cmp_gt_u64_e32 vcc, s[78:79], v[1:2]
	v_and_b32_sdwa v7, v0, s44 dst_sel:DWORD dst_unused:UNUSED_PAD src0_sel:BYTE_3 src1_sel:DWORD
                                        ; implicit-def: $vgpr23
	s_and_saveexec_b64 s[28:29], vcc
	s_xor_b64 s[36:37], exec, s[28:29]
	s_cbranch_execz .LBB6_3809
; %bb.3796:                             ;   in Loop: Header=BB6_3218 Depth=4
	v_cmp_ne_u32_e32 vcc, 0, v0
	v_mov_b32_e32 v23, 0
	s_and_saveexec_b64 s[38:39], vcc
	s_cbranch_execz .LBB6_3808
; %bb.3797:                             ;   in Loop: Header=BB6_3218 Depth=4
	v_bfe_u32 v23, v0, 23, 8
	v_cmp_gt_u32_e64 s[28:29], s45, v23
	v_sub_u32_e32 v0, 0x71, v23
	v_cmp_eq_u32_e32 vcc, 0, v23
	v_cndmask_b32_e64 v0, 0, v0, s[28:29]
	v_mov_b32_e32 v2, 0x70
	v_cndmask_b32_e32 v27, v0, v2, vcc
	v_add_u32_e32 v2, 21, v27
	v_or_b32_e32 v1, 0x800000, v33
	v_lshlrev_b64 v[28:29], v2, -1
	v_cndmask_b32_e32 v0, v1, v33, vcc
	v_mov_b32_e32 v1, v34
	v_add_u32_e32 v2, 20, v27
	v_bfi_b32 v28, v28, 0, v0
	s_waitcnt vmcnt(0)
	v_lshlrev_b64 v[35:36], v2, 1
	v_lshrrev_b64 v[0:1], v27, v[0:1]
	v_bfi_b32 v29, v29, 0, 0
	v_cmp_eq_u64_e64 s[28:29], v[28:29], v[35:36]
	v_mov_b32_e32 v2, v1
	v_mov_b32_e32 v1, v0
	s_and_saveexec_b64 s[48:49], s[28:29]
; %bb.3798:                             ;   in Loop: Header=BB6_3218 Depth=4
	v_bfe_u32 v1, v0, 21, 1
	v_add_co_u32_e64 v1, s[28:29], v0, v1
	v_add_co_u32_e64 v1, s[28:29], -1, v1
; %bb.3799:                             ;   in Loop: Header=BB6_3218 Depth=4
	s_or_b64 exec, exec, s[48:49]
	v_add_u32_e32 v2, 0xffffff81, v23
	v_mov_b32_e32 v23, 0xffffff82
	v_cndmask_b32_e32 v2, v2, v23, vcc
	v_lshrrev_b32_e32 v23, 23, v0
	v_add3_u32 v27, v27, v2, v23
	v_add_u32_e32 v23, 14, v27
	v_and_b32_e32 v1, 0x1fffff, v1
	v_add_u32_e32 v33, v1, v0
	v_cmp_ne_u32_e32 vcc, 0, v23
                                        ; implicit-def: $vgpr0_vgpr1
                                        ; implicit-def: $vgpr2
	s_and_saveexec_b64 s[28:29], vcc
	s_xor_b64 s[28:29], exec, s[28:29]
; %bb.3800:                             ;   in Loop: Header=BB6_3218 Depth=4
	v_cmp_lt_u64_e32 vcc, s[88:89], v[33:34]
	v_add_u32_e32 v0, 15, v27
	v_cndmask_b32_e32 v2, v23, v0, vcc
	v_cndmask_b32_e64 v0, 0, 1, vcc
	v_lshrrev_b64 v[0:1], v0, v[33:34]
; %bb.3801:                             ;   in Loop: Header=BB6_3218 Depth=4
	s_andn2_saveexec_b64 s[28:29], s[28:29]
; %bb.3802:                             ;   in Loop: Header=BB6_3218 Depth=4
	v_mov_b32_e32 v0, v33
	v_mov_b32_e32 v1, v34
	v_bfe_u32 v2, v33, 23, 1
; %bb.3803:                             ;   in Loop: Header=BB6_3218 Depth=4
	s_or_b64 exec, exec, s[28:29]
	v_lshrrev_b64 v[0:1], 21, v[0:1]
	v_cmp_gt_i32_e32 vcc, 32, v2
	v_cndmask_b32_e32 v1, 0, v1, vcc
	v_cndmask_b32_e32 v0, 3, v0, vcc
	v_cmp_ne_u64_e32 vcc, 0, v[0:1]
	v_cmp_ne_u32_e64 s[28:29], 0, v2
	s_or_b64 s[28:29], s[28:29], vcc
                                        ; implicit-def: $vgpr23
	s_and_saveexec_b64 vcc, s[28:29]
	s_xor_b64 s[28:29], exec, vcc
; %bb.3804:                             ;   in Loop: Header=BB6_3218 Depth=4
	v_min_i32_e32 v1, 31, v2
	v_lshl_or_b32 v1, v1, 2, v7
	v_and_or_b32 v23, v0, 3, v1
                                        ; implicit-def: $vgpr7
; %bb.3805:                             ;   in Loop: Header=BB6_3218 Depth=4
	s_andn2_saveexec_b64 s[28:29], s[28:29]
; %bb.3806:                             ;   in Loop: Header=BB6_3218 Depth=4
	v_mov_b32_e32 v23, v7
; %bb.3807:                             ;   in Loop: Header=BB6_3218 Depth=4
	s_or_b64 exec, exec, s[28:29]
.LBB6_3808:                             ;   in Loop: Header=BB6_3218 Depth=4
	s_or_b64 exec, exec, s[38:39]
                                        ; implicit-def: $vgpr7
.LBB6_3809:                             ;   in Loop: Header=BB6_3218 Depth=4
	s_andn2_saveexec_b64 s[28:29], s[36:37]
; %bb.3810:                             ;   in Loop: Header=BB6_3218 Depth=4
	v_or_b32_e32 v23, 0x7b, v7
; %bb.3811:                             ;   in Loop: Header=BB6_3218 Depth=4
	s_or_b64 exec, exec, s[28:29]
                                        ; implicit-def: $vgpr0
.LBB6_3812:                             ;   in Loop: Header=BB6_3218 Depth=4
	s_andn2_saveexec_b64 s[28:29], s[34:35]
	s_cbranch_execz .LBB6_3818
; %bb.3813:                             ;   in Loop: Header=BB6_3218 Depth=4
	v_cmp_ne_u64_e32 vcc, 0, v[33:34]
                                        ; implicit-def: $vgpr23
	s_and_saveexec_b64 s[34:35], vcc
	s_xor_b64 vcc, exec, s[34:35]
; %bb.3814:                             ;   in Loop: Header=BB6_3218 Depth=4
	v_or_b32_sdwa v23, v0, s83 dst_sel:DWORD dst_unused:UNUSED_PAD src0_sel:BYTE_3 src1_sel:DWORD
                                        ; implicit-def: $vgpr0
; %bb.3815:                             ;   in Loop: Header=BB6_3218 Depth=4
	s_andn2_saveexec_b64 s[34:35], vcc
; %bb.3816:                             ;   in Loop: Header=BB6_3218 Depth=4
	v_cmp_lt_i32_e32 vcc, -1, v0
	v_mov_b32_e32 v0, 0x7c
	v_cndmask_b32_e32 v23, -4, v0, vcc
; %bb.3817:                             ;   in Loop: Header=BB6_3218 Depth=4
	s_or_b64 exec, exec, s[34:35]
.LBB6_3818:                             ;   in Loop: Header=BB6_3218 Depth=4
	s_or_b64 exec, exec, s[28:29]
	v_cmp_ne_u16_e32 vcc, 0, v6
	v_mov_b32_e32 v0, 0
	v_mov_b32_e32 v1, 0
	s_and_saveexec_b64 s[28:29], vcc
	s_cbranch_execz .LBB6_3826
; %bb.3819:                             ;   in Loop: Header=BB6_3218 Depth=4
	v_cmp_ne_u16_e32 vcc, s80, v6
	v_bfrev_b32_e32 v1, 1
	s_and_saveexec_b64 s[34:35], vcc
	s_cbranch_execz .LBB6_3825
; %bb.3820:                             ;   in Loop: Header=BB6_3218 Depth=4
	v_and_b32_e32 v1, 0x7c, v6
	v_and_b32_e32 v2, 3, v6
	v_cmp_ne_u32_e32 vcc, s81, v1
                                        ; implicit-def: $vgpr1
	s_and_saveexec_b64 s[36:37], vcc
	s_xor_b64 s[36:37], exec, s[36:37]
	s_cbranch_execz .LBB6_3822
; %bb.3821:                             ;   in Loop: Header=BB6_3218 Depth=4
	v_ffbh_u32_e32 v27, v2
	v_min_u32_e32 v29, 32, v27
	v_and_b32_e32 v1, 0xff, v6
	v_mov_b32_e32 v7, v34
	v_subrev_u32_e32 v27, 29, v29
	v_bfe_u32 v1, v1, 2, 5
	v_lshlrev_b64 v[27:28], v27, v[6:7]
	v_sub_u32_e32 v7, 30, v29
	v_cmp_eq_u32_e32 vcc, 0, v1
	v_and_b32_e32 v27, 3, v27
	v_cndmask_b32_e32 v1, v1, v7, vcc
	v_and_b32_sdwa v6, sext(v6), s82 dst_sel:DWORD dst_unused:UNUSED_PAD src0_sel:WORD_0 src1_sel:DWORD
	v_cndmask_b32_e32 v2, v2, v27, vcc
	v_lshl_add_u32 v1, v1, 23, v6
	v_lshl_or_b32 v1, v2, 21, v1
	v_add_u32_e32 v1, 0x38000000, v1
                                        ; implicit-def: $vgpr2
                                        ; implicit-def: $vgpr6
.LBB6_3822:                             ;   in Loop: Header=BB6_3218 Depth=4
	s_andn2_saveexec_b64 s[36:37], s[36:37]
; %bb.3823:                             ;   in Loop: Header=BB6_3218 Depth=4
	v_cmp_lt_i16_e32 vcc, -1, v6
	v_mov_b32_e32 v1, 0xff800000
	v_mov_b32_e32 v6, 0x7f800000
	v_cndmask_b32_e32 v1, v1, v6, vcc
	v_cmp_eq_u32_e32 vcc, 0, v2
	v_mov_b32_e32 v2, 0x7f800001
	v_cndmask_b32_e32 v1, v2, v1, vcc
; %bb.3824:                             ;   in Loop: Header=BB6_3218 Depth=4
	s_or_b64 exec, exec, s[36:37]
.LBB6_3825:                             ;   in Loop: Header=BB6_3218 Depth=4
	s_or_b64 exec, exec, s[34:35]
.LBB6_3826:                             ;   in Loop: Header=BB6_3218 Depth=4
	s_or_b64 exec, exec, s[28:29]
	v_cmp_ne_u16_e32 vcc, 0, v5
	s_and_saveexec_b64 s[28:29], vcc
	s_cbranch_execz .LBB6_3834
; %bb.3827:                             ;   in Loop: Header=BB6_3218 Depth=4
	v_cmp_ne_u16_e32 vcc, s80, v5
	v_bfrev_b32_e32 v0, 1
	s_and_saveexec_b64 s[34:35], vcc
	s_cbranch_execz .LBB6_3833
; %bb.3828:                             ;   in Loop: Header=BB6_3218 Depth=4
	v_and_b32_e32 v0, 0x7c, v5
	v_and_b32_e32 v2, 3, v5
	v_cmp_ne_u32_e32 vcc, s81, v0
                                        ; implicit-def: $vgpr0
	s_and_saveexec_b64 s[36:37], vcc
	s_xor_b64 s[36:37], exec, s[36:37]
	s_cbranch_execz .LBB6_3830
; %bb.3829:                             ;   in Loop: Header=BB6_3218 Depth=4
	v_ffbh_u32_e32 v7, v2
	v_min_u32_e32 v27, 32, v7
	v_and_b32_e32 v0, 0xff, v5
	v_mov_b32_e32 v6, v34
	v_subrev_u32_e32 v7, 29, v27
	v_bfe_u32 v0, v0, 2, 5
	v_lshlrev_b64 v[6:7], v7, v[5:6]
	v_sub_u32_e32 v7, 30, v27
	v_cmp_eq_u32_e32 vcc, 0, v0
	v_and_b32_e32 v6, 3, v6
	v_cndmask_b32_e32 v0, v0, v7, vcc
	v_and_b32_sdwa v5, sext(v5), s82 dst_sel:DWORD dst_unused:UNUSED_PAD src0_sel:WORD_0 src1_sel:DWORD
	v_cndmask_b32_e32 v2, v2, v6, vcc
	v_lshl_add_u32 v0, v0, 23, v5
	v_lshl_or_b32 v0, v2, 21, v0
	v_add_u32_e32 v0, 0x38000000, v0
                                        ; implicit-def: $vgpr2
                                        ; implicit-def: $vgpr5
.LBB6_3830:                             ;   in Loop: Header=BB6_3218 Depth=4
	s_andn2_saveexec_b64 s[36:37], s[36:37]
; %bb.3831:                             ;   in Loop: Header=BB6_3218 Depth=4
	v_cmp_lt_i16_e32 vcc, -1, v5
	v_mov_b32_e32 v0, 0xff800000
	v_mov_b32_e32 v5, 0x7f800000
	v_cndmask_b32_e32 v0, v0, v5, vcc
	v_cmp_eq_u32_e32 vcc, 0, v2
	v_mov_b32_e32 v2, 0x7f800001
	v_cndmask_b32_e32 v0, v2, v0, vcc
; %bb.3832:                             ;   in Loop: Header=BB6_3218 Depth=4
	s_or_b64 exec, exec, s[36:37]
.LBB6_3833:                             ;   in Loop: Header=BB6_3218 Depth=4
	s_or_b64 exec, exec, s[34:35]
.LBB6_3834:                             ;   in Loop: Header=BB6_3218 Depth=4
	s_or_b64 exec, exec, s[28:29]
	v_mul_f32_e32 v0, v1, v0
	v_and_b32_e32 v1, 0x7f800000, v0
	v_mov_b32_e32 v2, v34
	v_cmp_ne_u64_e32 vcc, s[76:77], v[1:2]
	v_and_b32_e32 v33, 0x7fffff, v0
                                        ; implicit-def: $vgpr5
	s_and_saveexec_b64 s[28:29], vcc
	s_xor_b64 s[34:35], exec, s[28:29]
	s_cbranch_execz .LBB6_3852
; %bb.3835:                             ;   in Loop: Header=BB6_3218 Depth=4
	v_and_b32_e32 v1, 0x7fffffff, v0
	v_mov_b32_e32 v2, v34
	v_cmp_gt_u64_e32 vcc, s[78:79], v[1:2]
	v_and_b32_sdwa v6, v0, s44 dst_sel:DWORD dst_unused:UNUSED_PAD src0_sel:BYTE_3 src1_sel:DWORD
                                        ; implicit-def: $vgpr5
	s_and_saveexec_b64 s[28:29], vcc
	s_xor_b64 s[36:37], exec, s[28:29]
	s_cbranch_execz .LBB6_3849
; %bb.3836:                             ;   in Loop: Header=BB6_3218 Depth=4
	v_cmp_ne_u32_e32 vcc, 0, v0
	v_mov_b32_e32 v5, 0
	s_and_saveexec_b64 s[38:39], vcc
	s_cbranch_execz .LBB6_3848
; %bb.3837:                             ;   in Loop: Header=BB6_3218 Depth=4
	v_bfe_u32 v5, v0, 23, 8
	v_cmp_gt_u32_e64 s[28:29], s45, v5
	v_sub_u32_e32 v0, 0x71, v5
	v_cmp_eq_u32_e32 vcc, 0, v5
	v_cndmask_b32_e64 v0, 0, v0, s[28:29]
	v_mov_b32_e32 v2, 0x70
	v_cndmask_b32_e32 v7, v0, v2, vcc
	v_add_u32_e32 v2, 21, v7
	v_or_b32_e32 v1, 0x800000, v33
	v_lshlrev_b64 v[27:28], v2, -1
	v_cndmask_b32_e32 v0, v1, v33, vcc
	v_mov_b32_e32 v1, v34
	v_add_u32_e32 v2, 20, v7
	v_bfi_b32 v27, v27, 0, v0
	s_waitcnt vmcnt(0)
	v_lshlrev_b64 v[35:36], v2, 1
	v_lshrrev_b64 v[0:1], v7, v[0:1]
	v_bfi_b32 v28, v28, 0, 0
	v_cmp_eq_u64_e64 s[28:29], v[27:28], v[35:36]
	v_mov_b32_e32 v2, v1
	v_mov_b32_e32 v1, v0
	s_and_saveexec_b64 s[48:49], s[28:29]
; %bb.3838:                             ;   in Loop: Header=BB6_3218 Depth=4
	v_bfe_u32 v1, v0, 21, 1
	v_add_co_u32_e64 v1, s[28:29], v0, v1
	v_add_co_u32_e64 v1, s[28:29], -1, v1
; %bb.3839:                             ;   in Loop: Header=BB6_3218 Depth=4
	s_or_b64 exec, exec, s[48:49]
	v_add_u32_e32 v2, 0xffffff81, v5
	v_mov_b32_e32 v5, 0xffffff82
	v_cndmask_b32_e32 v2, v2, v5, vcc
	v_lshrrev_b32_e32 v5, 23, v0
	v_add3_u32 v7, v7, v2, v5
	v_add_u32_e32 v5, 14, v7
	v_and_b32_e32 v1, 0x1fffff, v1
	v_add_u32_e32 v33, v1, v0
	v_cmp_ne_u32_e32 vcc, 0, v5
                                        ; implicit-def: $vgpr0_vgpr1
                                        ; implicit-def: $vgpr2
	s_and_saveexec_b64 s[28:29], vcc
	s_xor_b64 s[28:29], exec, s[28:29]
; %bb.3840:                             ;   in Loop: Header=BB6_3218 Depth=4
	v_cmp_lt_u64_e32 vcc, s[88:89], v[33:34]
	v_add_u32_e32 v0, 15, v7
	v_cndmask_b32_e32 v2, v5, v0, vcc
	v_cndmask_b32_e64 v0, 0, 1, vcc
	v_lshrrev_b64 v[0:1], v0, v[33:34]
; %bb.3841:                             ;   in Loop: Header=BB6_3218 Depth=4
	s_andn2_saveexec_b64 s[28:29], s[28:29]
; %bb.3842:                             ;   in Loop: Header=BB6_3218 Depth=4
	v_mov_b32_e32 v0, v33
	v_mov_b32_e32 v1, v34
	v_bfe_u32 v2, v33, 23, 1
; %bb.3843:                             ;   in Loop: Header=BB6_3218 Depth=4
	s_or_b64 exec, exec, s[28:29]
	v_lshrrev_b64 v[0:1], 21, v[0:1]
	v_cmp_gt_i32_e32 vcc, 32, v2
	v_cndmask_b32_e32 v1, 0, v1, vcc
	v_cndmask_b32_e32 v0, 3, v0, vcc
	v_cmp_ne_u64_e32 vcc, 0, v[0:1]
	v_cmp_ne_u32_e64 s[28:29], 0, v2
	s_or_b64 s[28:29], s[28:29], vcc
                                        ; implicit-def: $vgpr5
	s_and_saveexec_b64 vcc, s[28:29]
	s_xor_b64 s[28:29], exec, vcc
; %bb.3844:                             ;   in Loop: Header=BB6_3218 Depth=4
	v_min_i32_e32 v1, 31, v2
	v_lshl_or_b32 v1, v1, 2, v6
	v_and_or_b32 v5, v0, 3, v1
                                        ; implicit-def: $vgpr6
; %bb.3845:                             ;   in Loop: Header=BB6_3218 Depth=4
	s_andn2_saveexec_b64 s[28:29], s[28:29]
; %bb.3846:                             ;   in Loop: Header=BB6_3218 Depth=4
	v_mov_b32_e32 v5, v6
; %bb.3847:                             ;   in Loop: Header=BB6_3218 Depth=4
	s_or_b64 exec, exec, s[28:29]
.LBB6_3848:                             ;   in Loop: Header=BB6_3218 Depth=4
	s_or_b64 exec, exec, s[38:39]
                                        ; implicit-def: $vgpr6
.LBB6_3849:                             ;   in Loop: Header=BB6_3218 Depth=4
	s_andn2_saveexec_b64 s[28:29], s[36:37]
; %bb.3850:                             ;   in Loop: Header=BB6_3218 Depth=4
	v_or_b32_e32 v5, 0x7b, v6
; %bb.3851:                             ;   in Loop: Header=BB6_3218 Depth=4
	s_or_b64 exec, exec, s[28:29]
                                        ; implicit-def: $vgpr0
.LBB6_3852:                             ;   in Loop: Header=BB6_3218 Depth=4
	s_andn2_saveexec_b64 s[28:29], s[34:35]
	s_cbranch_execz .LBB6_3858
; %bb.3853:                             ;   in Loop: Header=BB6_3218 Depth=4
	v_cmp_ne_u64_e32 vcc, 0, v[33:34]
                                        ; implicit-def: $vgpr5
	s_and_saveexec_b64 s[34:35], vcc
	s_xor_b64 vcc, exec, s[34:35]
; %bb.3854:                             ;   in Loop: Header=BB6_3218 Depth=4
	v_or_b32_sdwa v5, v0, s83 dst_sel:DWORD dst_unused:UNUSED_PAD src0_sel:BYTE_3 src1_sel:DWORD
                                        ; implicit-def: $vgpr0
; %bb.3855:                             ;   in Loop: Header=BB6_3218 Depth=4
	s_andn2_saveexec_b64 s[34:35], vcc
; %bb.3856:                             ;   in Loop: Header=BB6_3218 Depth=4
	v_cmp_lt_i32_e32 vcc, -1, v0
	v_mov_b32_e32 v0, 0x7c
	v_cndmask_b32_e32 v5, -4, v0, vcc
; %bb.3857:                             ;   in Loop: Header=BB6_3218 Depth=4
	s_or_b64 exec, exec, s[34:35]
.LBB6_3858:                             ;   in Loop: Header=BB6_3218 Depth=4
	s_or_b64 exec, exec, s[28:29]
	v_cmp_ne_u16_e32 vcc, 0, v60
	v_mov_b32_e32 v0, 0
	v_mov_b32_e32 v1, 0
	s_and_saveexec_b64 s[28:29], vcc
	s_cbranch_execz .LBB6_3866
; %bb.3859:                             ;   in Loop: Header=BB6_3218 Depth=4
	v_cmp_ne_u16_e32 vcc, s80, v60
	v_bfrev_b32_e32 v1, 1
	s_and_saveexec_b64 s[34:35], vcc
	s_cbranch_execz .LBB6_3865
; %bb.3860:                             ;   in Loop: Header=BB6_3218 Depth=4
	v_and_b32_e32 v1, 0x7c, v60
	v_and_b32_e32 v2, 3, v60
	v_cmp_ne_u32_e32 vcc, s81, v1
                                        ; implicit-def: $vgpr1
	s_and_saveexec_b64 s[36:37], vcc
	s_xor_b64 s[36:37], exec, s[36:37]
	s_cbranch_execz .LBB6_3862
; %bb.3861:                             ;   in Loop: Header=BB6_3218 Depth=4
	v_ffbh_u32_e32 v6, v2
	v_min_u32_e32 v27, 32, v6
	v_mov_b32_e32 v61, v34
	v_subrev_u32_e32 v6, 29, v27
	v_and_b32_e32 v1, 0xff, v60
	v_lshlrev_b64 v[6:7], v6, v[60:61]
	v_bfe_u32 v1, v1, 2, 5
	v_sub_u32_e32 v7, 30, v27
	v_and_b32_e32 v6, 3, v6
	v_cmp_eq_u32_e32 vcc, 0, v1
	v_cndmask_b32_e32 v1, v1, v7, vcc
	v_cndmask_b32_e32 v2, v2, v6, vcc
	v_and_b32_sdwa v6, sext(v60), s82 dst_sel:DWORD dst_unused:UNUSED_PAD src0_sel:WORD_0 src1_sel:DWORD
	v_lshl_add_u32 v1, v1, 23, v6
	v_lshl_or_b32 v1, v2, 21, v1
	v_add_u32_e32 v1, 0x38000000, v1
                                        ; implicit-def: $vgpr2
                                        ; implicit-def: $vgpr60
.LBB6_3862:                             ;   in Loop: Header=BB6_3218 Depth=4
	s_andn2_saveexec_b64 s[36:37], s[36:37]
; %bb.3863:                             ;   in Loop: Header=BB6_3218 Depth=4
	v_cmp_lt_i16_e32 vcc, -1, v60
	v_mov_b32_e32 v1, 0xff800000
	v_mov_b32_e32 v6, 0x7f800000
	v_cndmask_b32_e32 v1, v1, v6, vcc
	v_cmp_eq_u32_e32 vcc, 0, v2
	v_mov_b32_e32 v2, 0x7f800001
	v_cndmask_b32_e32 v1, v2, v1, vcc
; %bb.3864:                             ;   in Loop: Header=BB6_3218 Depth=4
	s_or_b64 exec, exec, s[36:37]
.LBB6_3865:                             ;   in Loop: Header=BB6_3218 Depth=4
	s_or_b64 exec, exec, s[34:35]
.LBB6_3866:                             ;   in Loop: Header=BB6_3218 Depth=4
	s_or_b64 exec, exec, s[28:29]
	v_cmp_ne_u16_e32 vcc, 0, v59
	s_and_saveexec_b64 s[28:29], vcc
	s_cbranch_execz .LBB6_3874
; %bb.3867:                             ;   in Loop: Header=BB6_3218 Depth=4
	v_cmp_ne_u16_e32 vcc, s80, v59
	v_bfrev_b32_e32 v0, 1
	s_and_saveexec_b64 s[34:35], vcc
	s_cbranch_execz .LBB6_3873
; %bb.3868:                             ;   in Loop: Header=BB6_3218 Depth=4
	v_and_b32_e32 v0, 0x7c, v59
	v_and_b32_e32 v2, 3, v59
	v_cmp_ne_u32_e32 vcc, s81, v0
                                        ; implicit-def: $vgpr0
	s_and_saveexec_b64 s[36:37], vcc
	s_xor_b64 s[36:37], exec, s[36:37]
	s_cbranch_execz .LBB6_3870
; %bb.3869:                             ;   in Loop: Header=BB6_3218 Depth=4
	v_ffbh_u32_e32 v6, v2
	v_min_u32_e32 v27, 32, v6
	v_mov_b32_e32 v60, v34
	v_subrev_u32_e32 v6, 29, v27
	v_and_b32_e32 v0, 0xff, v59
	v_lshlrev_b64 v[6:7], v6, v[59:60]
	v_bfe_u32 v0, v0, 2, 5
	v_sub_u32_e32 v7, 30, v27
	v_and_b32_e32 v6, 3, v6
	v_cmp_eq_u32_e32 vcc, 0, v0
	v_cndmask_b32_e32 v0, v0, v7, vcc
	v_cndmask_b32_e32 v2, v2, v6, vcc
	v_and_b32_sdwa v6, sext(v59), s82 dst_sel:DWORD dst_unused:UNUSED_PAD src0_sel:WORD_0 src1_sel:DWORD
	v_lshl_add_u32 v0, v0, 23, v6
	v_lshl_or_b32 v0, v2, 21, v0
	v_add_u32_e32 v0, 0x38000000, v0
                                        ; implicit-def: $vgpr2
                                        ; implicit-def: $vgpr59
.LBB6_3870:                             ;   in Loop: Header=BB6_3218 Depth=4
	s_andn2_saveexec_b64 s[36:37], s[36:37]
; %bb.3871:                             ;   in Loop: Header=BB6_3218 Depth=4
	v_cmp_lt_i16_e32 vcc, -1, v59
	v_mov_b32_e32 v0, 0xff800000
	v_mov_b32_e32 v6, 0x7f800000
	v_cndmask_b32_e32 v0, v0, v6, vcc
	v_cmp_eq_u32_e32 vcc, 0, v2
	v_mov_b32_e32 v2, 0x7f800001
	v_cndmask_b32_e32 v0, v2, v0, vcc
; %bb.3872:                             ;   in Loop: Header=BB6_3218 Depth=4
	s_or_b64 exec, exec, s[36:37]
.LBB6_3873:                             ;   in Loop: Header=BB6_3218 Depth=4
	s_or_b64 exec, exec, s[34:35]
.LBB6_3874:                             ;   in Loop: Header=BB6_3218 Depth=4
	s_or_b64 exec, exec, s[28:29]
	v_mul_f32_e32 v0, v1, v0
	v_and_b32_e32 v1, 0x7f800000, v0
	v_mov_b32_e32 v2, v34
	v_cmp_ne_u64_e32 vcc, s[76:77], v[1:2]
	v_and_b32_e32 v33, 0x7fffff, v0
                                        ; implicit-def: $vgpr6
	s_and_saveexec_b64 s[28:29], vcc
	s_xor_b64 s[34:35], exec, s[28:29]
	s_cbranch_execz .LBB6_3892
; %bb.3875:                             ;   in Loop: Header=BB6_3218 Depth=4
	v_and_b32_e32 v1, 0x7fffffff, v0
	v_mov_b32_e32 v2, v34
	v_cmp_gt_u64_e32 vcc, s[78:79], v[1:2]
	v_and_b32_sdwa v7, v0, s44 dst_sel:DWORD dst_unused:UNUSED_PAD src0_sel:BYTE_3 src1_sel:DWORD
                                        ; implicit-def: $vgpr6
	s_and_saveexec_b64 s[28:29], vcc
	s_xor_b64 s[36:37], exec, s[28:29]
	s_cbranch_execz .LBB6_3889
; %bb.3876:                             ;   in Loop: Header=BB6_3218 Depth=4
	v_cmp_ne_u32_e32 vcc, 0, v0
	v_mov_b32_e32 v6, 0
	s_and_saveexec_b64 s[38:39], vcc
	s_cbranch_execz .LBB6_3888
; %bb.3877:                             ;   in Loop: Header=BB6_3218 Depth=4
	v_bfe_u32 v6, v0, 23, 8
	v_cmp_gt_u32_e64 s[28:29], s45, v6
	v_sub_u32_e32 v0, 0x71, v6
	v_cmp_eq_u32_e32 vcc, 0, v6
	v_cndmask_b32_e64 v0, 0, v0, s[28:29]
	v_mov_b32_e32 v2, 0x70
	v_cndmask_b32_e32 v27, v0, v2, vcc
	v_add_u32_e32 v2, 21, v27
	v_or_b32_e32 v1, 0x800000, v33
	v_lshlrev_b64 v[28:29], v2, -1
	v_cndmask_b32_e32 v0, v1, v33, vcc
	v_mov_b32_e32 v1, v34
	v_add_u32_e32 v2, 20, v27
	v_bfi_b32 v28, v28, 0, v0
	s_waitcnt vmcnt(0)
	v_lshlrev_b64 v[35:36], v2, 1
	v_lshrrev_b64 v[0:1], v27, v[0:1]
	v_bfi_b32 v29, v29, 0, 0
	v_cmp_eq_u64_e64 s[28:29], v[28:29], v[35:36]
	v_mov_b32_e32 v2, v1
	v_mov_b32_e32 v1, v0
	s_and_saveexec_b64 s[48:49], s[28:29]
; %bb.3878:                             ;   in Loop: Header=BB6_3218 Depth=4
	v_bfe_u32 v1, v0, 21, 1
	v_add_co_u32_e64 v1, s[28:29], v0, v1
	v_add_co_u32_e64 v1, s[28:29], -1, v1
; %bb.3879:                             ;   in Loop: Header=BB6_3218 Depth=4
	s_or_b64 exec, exec, s[48:49]
	v_add_u32_e32 v2, 0xffffff81, v6
	v_mov_b32_e32 v6, 0xffffff82
	v_cndmask_b32_e32 v2, v2, v6, vcc
	v_lshrrev_b32_e32 v6, 23, v0
	v_add3_u32 v27, v27, v2, v6
	v_add_u32_e32 v6, 14, v27
	v_and_b32_e32 v1, 0x1fffff, v1
	v_add_u32_e32 v33, v1, v0
	v_cmp_ne_u32_e32 vcc, 0, v6
                                        ; implicit-def: $vgpr0_vgpr1
                                        ; implicit-def: $vgpr2
	s_and_saveexec_b64 s[28:29], vcc
	s_xor_b64 s[28:29], exec, s[28:29]
; %bb.3880:                             ;   in Loop: Header=BB6_3218 Depth=4
	v_cmp_lt_u64_e32 vcc, s[88:89], v[33:34]
	v_add_u32_e32 v0, 15, v27
	v_cndmask_b32_e32 v2, v6, v0, vcc
	v_cndmask_b32_e64 v0, 0, 1, vcc
	v_lshrrev_b64 v[0:1], v0, v[33:34]
; %bb.3881:                             ;   in Loop: Header=BB6_3218 Depth=4
	s_andn2_saveexec_b64 s[28:29], s[28:29]
; %bb.3882:                             ;   in Loop: Header=BB6_3218 Depth=4
	v_mov_b32_e32 v0, v33
	v_mov_b32_e32 v1, v34
	v_bfe_u32 v2, v33, 23, 1
; %bb.3883:                             ;   in Loop: Header=BB6_3218 Depth=4
	s_or_b64 exec, exec, s[28:29]
	v_lshrrev_b64 v[0:1], 21, v[0:1]
	v_cmp_gt_i32_e32 vcc, 32, v2
	v_cndmask_b32_e32 v1, 0, v1, vcc
	v_cndmask_b32_e32 v0, 3, v0, vcc
	v_cmp_ne_u64_e32 vcc, 0, v[0:1]
	v_cmp_ne_u32_e64 s[28:29], 0, v2
	s_or_b64 s[28:29], s[28:29], vcc
                                        ; implicit-def: $vgpr6
	s_and_saveexec_b64 vcc, s[28:29]
	s_xor_b64 s[28:29], exec, vcc
; %bb.3884:                             ;   in Loop: Header=BB6_3218 Depth=4
	v_min_i32_e32 v1, 31, v2
	v_lshl_or_b32 v1, v1, 2, v7
	v_and_or_b32 v6, v0, 3, v1
                                        ; implicit-def: $vgpr7
; %bb.3885:                             ;   in Loop: Header=BB6_3218 Depth=4
	s_andn2_saveexec_b64 s[28:29], s[28:29]
; %bb.3886:                             ;   in Loop: Header=BB6_3218 Depth=4
	v_mov_b32_e32 v6, v7
; %bb.3887:                             ;   in Loop: Header=BB6_3218 Depth=4
	s_or_b64 exec, exec, s[28:29]
.LBB6_3888:                             ;   in Loop: Header=BB6_3218 Depth=4
	s_or_b64 exec, exec, s[38:39]
                                        ; implicit-def: $vgpr7
.LBB6_3889:                             ;   in Loop: Header=BB6_3218 Depth=4
	s_andn2_saveexec_b64 s[28:29], s[36:37]
; %bb.3890:                             ;   in Loop: Header=BB6_3218 Depth=4
	v_or_b32_e32 v6, 0x7b, v7
; %bb.3891:                             ;   in Loop: Header=BB6_3218 Depth=4
	s_or_b64 exec, exec, s[28:29]
                                        ; implicit-def: $vgpr0
.LBB6_3892:                             ;   in Loop: Header=BB6_3218 Depth=4
	s_andn2_saveexec_b64 s[28:29], s[34:35]
	s_cbranch_execz .LBB6_3898
; %bb.3893:                             ;   in Loop: Header=BB6_3218 Depth=4
	v_cmp_ne_u64_e32 vcc, 0, v[33:34]
                                        ; implicit-def: $vgpr6
	s_and_saveexec_b64 s[34:35], vcc
	s_xor_b64 vcc, exec, s[34:35]
; %bb.3894:                             ;   in Loop: Header=BB6_3218 Depth=4
	v_or_b32_sdwa v6, v0, s83 dst_sel:DWORD dst_unused:UNUSED_PAD src0_sel:BYTE_3 src1_sel:DWORD
                                        ; implicit-def: $vgpr0
; %bb.3895:                             ;   in Loop: Header=BB6_3218 Depth=4
	s_andn2_saveexec_b64 s[34:35], vcc
; %bb.3896:                             ;   in Loop: Header=BB6_3218 Depth=4
	v_cmp_lt_i32_e32 vcc, -1, v0
	v_mov_b32_e32 v0, 0x7c
	v_cndmask_b32_e32 v6, -4, v0, vcc
; %bb.3897:                             ;   in Loop: Header=BB6_3218 Depth=4
	s_or_b64 exec, exec, s[34:35]
.LBB6_3898:                             ;   in Loop: Header=BB6_3218 Depth=4
	s_or_b64 exec, exec, s[28:29]
	v_cmp_ne_u16_e32 vcc, 0, v58
	v_mov_b32_e32 v0, 0
	v_mov_b32_e32 v1, 0
	s_and_saveexec_b64 s[28:29], vcc
	s_cbranch_execz .LBB6_3906
; %bb.3899:                             ;   in Loop: Header=BB6_3218 Depth=4
	v_cmp_ne_u16_e32 vcc, s80, v58
	v_bfrev_b32_e32 v1, 1
	s_and_saveexec_b64 s[34:35], vcc
	s_cbranch_execz .LBB6_3905
; %bb.3900:                             ;   in Loop: Header=BB6_3218 Depth=4
	v_and_b32_e32 v1, 0x7c, v58
	v_and_b32_e32 v2, 3, v58
	v_cmp_ne_u32_e32 vcc, s81, v1
                                        ; implicit-def: $vgpr1
	s_and_saveexec_b64 s[36:37], vcc
	s_xor_b64 s[36:37], exec, s[36:37]
	s_cbranch_execz .LBB6_3902
; %bb.3901:                             ;   in Loop: Header=BB6_3218 Depth=4
	v_ffbh_u32_e32 v7, v2
	v_min_u32_e32 v7, 32, v7
	v_and_b32_e32 v1, 0xff, v58
	v_mov_b32_e32 v59, v34
	v_subrev_u32_e32 v27, 29, v7
	v_bfe_u32 v1, v1, 2, 5
	v_lshlrev_b64 v[27:28], v27, v[58:59]
	v_sub_u32_e32 v7, 30, v7
	v_cmp_eq_u32_e32 vcc, 0, v1
	v_and_b32_e32 v27, 3, v27
	v_cndmask_b32_e32 v1, v1, v7, vcc
	v_and_b32_sdwa v7, sext(v58), s82 dst_sel:DWORD dst_unused:UNUSED_PAD src0_sel:WORD_0 src1_sel:DWORD
	v_cndmask_b32_e32 v2, v2, v27, vcc
	v_lshl_add_u32 v1, v1, 23, v7
	v_lshl_or_b32 v1, v2, 21, v1
	v_add_u32_e32 v1, 0x38000000, v1
                                        ; implicit-def: $vgpr2
                                        ; implicit-def: $vgpr58
.LBB6_3902:                             ;   in Loop: Header=BB6_3218 Depth=4
	s_andn2_saveexec_b64 s[36:37], s[36:37]
; %bb.3903:                             ;   in Loop: Header=BB6_3218 Depth=4
	v_cmp_lt_i16_e32 vcc, -1, v58
	v_mov_b32_e32 v1, 0xff800000
	v_mov_b32_e32 v7, 0x7f800000
	v_cndmask_b32_e32 v1, v1, v7, vcc
	v_cmp_eq_u32_e32 vcc, 0, v2
	v_mov_b32_e32 v2, 0x7f800001
	v_cndmask_b32_e32 v1, v2, v1, vcc
; %bb.3904:                             ;   in Loop: Header=BB6_3218 Depth=4
	s_or_b64 exec, exec, s[36:37]
.LBB6_3905:                             ;   in Loop: Header=BB6_3218 Depth=4
	s_or_b64 exec, exec, s[34:35]
.LBB6_3906:                             ;   in Loop: Header=BB6_3218 Depth=4
	s_or_b64 exec, exec, s[28:29]
	v_cmp_ne_u16_e32 vcc, 0, v44
	s_and_saveexec_b64 s[28:29], vcc
	s_cbranch_execz .LBB6_3914
; %bb.3907:                             ;   in Loop: Header=BB6_3218 Depth=4
	v_cmp_ne_u16_e32 vcc, s80, v44
	v_bfrev_b32_e32 v0, 1
	s_and_saveexec_b64 s[34:35], vcc
	s_cbranch_execz .LBB6_3913
; %bb.3908:                             ;   in Loop: Header=BB6_3218 Depth=4
	v_and_b32_e32 v0, 0x7c, v44
	v_and_b32_e32 v2, 3, v44
	v_cmp_ne_u32_e32 vcc, s81, v0
                                        ; implicit-def: $vgpr0
	s_and_saveexec_b64 s[36:37], vcc
	s_xor_b64 s[36:37], exec, s[36:37]
	s_cbranch_execz .LBB6_3910
; %bb.3909:                             ;   in Loop: Header=BB6_3218 Depth=4
	v_ffbh_u32_e32 v7, v2
	v_min_u32_e32 v7, 32, v7
	v_and_b32_e32 v0, 0xff, v44
	v_mov_b32_e32 v45, v34
	v_subrev_u32_e32 v27, 29, v7
	v_bfe_u32 v0, v0, 2, 5
	v_lshlrev_b64 v[27:28], v27, v[44:45]
	v_sub_u32_e32 v7, 30, v7
	v_cmp_eq_u32_e32 vcc, 0, v0
	v_and_b32_e32 v27, 3, v27
	v_cndmask_b32_e32 v0, v0, v7, vcc
	v_and_b32_sdwa v7, sext(v44), s82 dst_sel:DWORD dst_unused:UNUSED_PAD src0_sel:WORD_0 src1_sel:DWORD
	v_cndmask_b32_e32 v2, v2, v27, vcc
	v_lshl_add_u32 v0, v0, 23, v7
	v_lshl_or_b32 v0, v2, 21, v0
	v_add_u32_e32 v0, 0x38000000, v0
                                        ; implicit-def: $vgpr2
                                        ; implicit-def: $vgpr44
.LBB6_3910:                             ;   in Loop: Header=BB6_3218 Depth=4
	s_andn2_saveexec_b64 s[36:37], s[36:37]
; %bb.3911:                             ;   in Loop: Header=BB6_3218 Depth=4
	v_cmp_lt_i16_e32 vcc, -1, v44
	v_mov_b32_e32 v0, 0xff800000
	v_mov_b32_e32 v7, 0x7f800000
	v_cndmask_b32_e32 v0, v0, v7, vcc
	v_cmp_eq_u32_e32 vcc, 0, v2
	v_mov_b32_e32 v2, 0x7f800001
	v_cndmask_b32_e32 v0, v2, v0, vcc
; %bb.3912:                             ;   in Loop: Header=BB6_3218 Depth=4
	s_or_b64 exec, exec, s[36:37]
.LBB6_3913:                             ;   in Loop: Header=BB6_3218 Depth=4
	s_or_b64 exec, exec, s[34:35]
.LBB6_3914:                             ;   in Loop: Header=BB6_3218 Depth=4
	s_or_b64 exec, exec, s[28:29]
	v_mul_f32_e32 v0, v1, v0
	v_and_b32_e32 v1, 0x7f800000, v0
	v_mov_b32_e32 v2, v34
	v_cmp_ne_u64_e32 vcc, s[76:77], v[1:2]
	v_and_b32_e32 v33, 0x7fffff, v0
                                        ; implicit-def: $vgpr7
	s_and_saveexec_b64 s[28:29], vcc
	s_xor_b64 s[34:35], exec, s[28:29]
	s_cbranch_execz .LBB6_3932
; %bb.3915:                             ;   in Loop: Header=BB6_3218 Depth=4
	v_and_b32_e32 v1, 0x7fffffff, v0
	v_mov_b32_e32 v2, v34
	v_cmp_gt_u64_e32 vcc, s[78:79], v[1:2]
	v_and_b32_sdwa v27, v0, s44 dst_sel:DWORD dst_unused:UNUSED_PAD src0_sel:BYTE_3 src1_sel:DWORD
                                        ; implicit-def: $vgpr7
	s_and_saveexec_b64 s[28:29], vcc
	s_xor_b64 s[36:37], exec, s[28:29]
	s_cbranch_execz .LBB6_3929
; %bb.3916:                             ;   in Loop: Header=BB6_3218 Depth=4
	v_cmp_ne_u32_e32 vcc, 0, v0
	v_mov_b32_e32 v7, 0
	s_and_saveexec_b64 s[38:39], vcc
	s_cbranch_execz .LBB6_3928
; %bb.3917:                             ;   in Loop: Header=BB6_3218 Depth=4
	v_bfe_u32 v7, v0, 23, 8
	v_cmp_gt_u32_e64 s[28:29], s45, v7
	v_sub_u32_e32 v0, 0x71, v7
	v_cmp_eq_u32_e32 vcc, 0, v7
	v_cndmask_b32_e64 v0, 0, v0, s[28:29]
	v_mov_b32_e32 v2, 0x70
	v_cndmask_b32_e32 v28, v0, v2, vcc
	v_add_u32_e32 v2, 21, v28
	v_or_b32_e32 v1, 0x800000, v33
	s_waitcnt vmcnt(0)
	v_lshlrev_b64 v[35:36], v2, -1
	v_cndmask_b32_e32 v0, v1, v33, vcc
	v_mov_b32_e32 v1, v34
	v_add_u32_e32 v2, 20, v28
	v_bfi_b32 v35, v35, 0, v0
	v_lshlrev_b64 v[53:54], v2, 1
	v_lshrrev_b64 v[0:1], v28, v[0:1]
	v_bfi_b32 v36, v36, 0, 0
	v_cmp_eq_u64_e64 s[28:29], v[35:36], v[53:54]
	v_mov_b32_e32 v2, v1
	v_mov_b32_e32 v1, v0
	s_and_saveexec_b64 s[48:49], s[28:29]
; %bb.3918:                             ;   in Loop: Header=BB6_3218 Depth=4
	v_bfe_u32 v1, v0, 21, 1
	v_add_co_u32_e64 v1, s[28:29], v0, v1
	v_add_co_u32_e64 v1, s[28:29], -1, v1
; %bb.3919:                             ;   in Loop: Header=BB6_3218 Depth=4
	s_or_b64 exec, exec, s[48:49]
	v_add_u32_e32 v2, 0xffffff81, v7
	v_mov_b32_e32 v7, 0xffffff82
	v_cndmask_b32_e32 v2, v2, v7, vcc
	v_lshrrev_b32_e32 v7, 23, v0
	v_add3_u32 v28, v28, v2, v7
	v_add_u32_e32 v7, 14, v28
	v_and_b32_e32 v1, 0x1fffff, v1
	v_add_u32_e32 v33, v1, v0
	v_cmp_ne_u32_e32 vcc, 0, v7
                                        ; implicit-def: $vgpr0_vgpr1
                                        ; implicit-def: $vgpr2
	s_and_saveexec_b64 s[28:29], vcc
	s_xor_b64 s[28:29], exec, s[28:29]
; %bb.3920:                             ;   in Loop: Header=BB6_3218 Depth=4
	v_cmp_lt_u64_e32 vcc, s[88:89], v[33:34]
	v_add_u32_e32 v0, 15, v28
	v_cndmask_b32_e32 v2, v7, v0, vcc
	v_cndmask_b32_e64 v0, 0, 1, vcc
	v_lshrrev_b64 v[0:1], v0, v[33:34]
; %bb.3921:                             ;   in Loop: Header=BB6_3218 Depth=4
	s_andn2_saveexec_b64 s[28:29], s[28:29]
; %bb.3922:                             ;   in Loop: Header=BB6_3218 Depth=4
	v_mov_b32_e32 v0, v33
	v_mov_b32_e32 v1, v34
	v_bfe_u32 v2, v33, 23, 1
; %bb.3923:                             ;   in Loop: Header=BB6_3218 Depth=4
	s_or_b64 exec, exec, s[28:29]
	v_lshrrev_b64 v[0:1], 21, v[0:1]
	v_cmp_gt_i32_e32 vcc, 32, v2
	v_cndmask_b32_e32 v1, 0, v1, vcc
	v_cndmask_b32_e32 v0, 3, v0, vcc
	v_cmp_ne_u64_e32 vcc, 0, v[0:1]
	v_cmp_ne_u32_e64 s[28:29], 0, v2
	s_or_b64 s[28:29], s[28:29], vcc
                                        ; implicit-def: $vgpr7
	s_and_saveexec_b64 vcc, s[28:29]
	s_xor_b64 s[28:29], exec, vcc
; %bb.3924:                             ;   in Loop: Header=BB6_3218 Depth=4
	v_min_i32_e32 v1, 31, v2
	v_lshl_or_b32 v1, v1, 2, v27
	v_and_or_b32 v7, v0, 3, v1
                                        ; implicit-def: $vgpr27
; %bb.3925:                             ;   in Loop: Header=BB6_3218 Depth=4
	s_andn2_saveexec_b64 s[28:29], s[28:29]
; %bb.3926:                             ;   in Loop: Header=BB6_3218 Depth=4
	v_mov_b32_e32 v7, v27
; %bb.3927:                             ;   in Loop: Header=BB6_3218 Depth=4
	s_or_b64 exec, exec, s[28:29]
.LBB6_3928:                             ;   in Loop: Header=BB6_3218 Depth=4
	s_or_b64 exec, exec, s[38:39]
                                        ; implicit-def: $vgpr27
.LBB6_3929:                             ;   in Loop: Header=BB6_3218 Depth=4
	s_andn2_saveexec_b64 s[28:29], s[36:37]
; %bb.3930:                             ;   in Loop: Header=BB6_3218 Depth=4
	v_or_b32_e32 v7, 0x7b, v27
; %bb.3931:                             ;   in Loop: Header=BB6_3218 Depth=4
	s_or_b64 exec, exec, s[28:29]
                                        ; implicit-def: $vgpr0
.LBB6_3932:                             ;   in Loop: Header=BB6_3218 Depth=4
	s_andn2_saveexec_b64 s[28:29], s[34:35]
	s_cbranch_execz .LBB6_3938
; %bb.3933:                             ;   in Loop: Header=BB6_3218 Depth=4
	v_cmp_ne_u64_e32 vcc, 0, v[33:34]
                                        ; implicit-def: $vgpr7
	s_and_saveexec_b64 s[34:35], vcc
	s_xor_b64 vcc, exec, s[34:35]
; %bb.3934:                             ;   in Loop: Header=BB6_3218 Depth=4
	v_or_b32_sdwa v7, v0, s83 dst_sel:DWORD dst_unused:UNUSED_PAD src0_sel:BYTE_3 src1_sel:DWORD
                                        ; implicit-def: $vgpr0
; %bb.3935:                             ;   in Loop: Header=BB6_3218 Depth=4
	s_andn2_saveexec_b64 s[34:35], vcc
; %bb.3936:                             ;   in Loop: Header=BB6_3218 Depth=4
	v_cmp_lt_i32_e32 vcc, -1, v0
	v_mov_b32_e32 v0, 0x7c
	v_cndmask_b32_e32 v7, -4, v0, vcc
; %bb.3937:                             ;   in Loop: Header=BB6_3218 Depth=4
	s_or_b64 exec, exec, s[34:35]
.LBB6_3938:                             ;   in Loop: Header=BB6_3218 Depth=4
	s_or_b64 exec, exec, s[28:29]
	v_cmp_ne_u16_e32 vcc, 0, v52
	v_mov_b32_e32 v0, 0
	v_mov_b32_e32 v1, 0
	s_and_saveexec_b64 s[28:29], vcc
	s_cbranch_execz .LBB6_3946
; %bb.3939:                             ;   in Loop: Header=BB6_3218 Depth=4
	v_cmp_ne_u16_e32 vcc, s80, v52
	v_bfrev_b32_e32 v1, 1
	s_and_saveexec_b64 s[34:35], vcc
	s_cbranch_execz .LBB6_3945
; %bb.3940:                             ;   in Loop: Header=BB6_3218 Depth=4
	v_and_b32_e32 v1, 0x7c, v52
	v_and_b32_e32 v2, 3, v52
	v_cmp_ne_u32_e32 vcc, s81, v1
                                        ; implicit-def: $vgpr1
	s_and_saveexec_b64 s[36:37], vcc
	s_xor_b64 s[36:37], exec, s[36:37]
	s_cbranch_execz .LBB6_3942
; %bb.3941:                             ;   in Loop: Header=BB6_3218 Depth=4
	v_ffbh_u32_e32 v27, v2
	v_min_u32_e32 v29, 32, v27
	v_mov_b32_e32 v53, v34
	v_subrev_u32_e32 v27, 29, v29
	v_and_b32_e32 v1, 0xff, v52
	v_lshlrev_b64 v[27:28], v27, v[52:53]
	v_bfe_u32 v1, v1, 2, 5
	v_sub_u32_e32 v28, 30, v29
	v_and_b32_e32 v27, 3, v27
	v_cmp_eq_u32_e32 vcc, 0, v1
	v_cndmask_b32_e32 v1, v1, v28, vcc
	v_cndmask_b32_e32 v2, v2, v27, vcc
	v_and_b32_sdwa v27, sext(v52), s82 dst_sel:DWORD dst_unused:UNUSED_PAD src0_sel:WORD_0 src1_sel:DWORD
	v_lshl_add_u32 v1, v1, 23, v27
	v_lshl_or_b32 v1, v2, 21, v1
	v_add_u32_e32 v1, 0x38000000, v1
                                        ; implicit-def: $vgpr2
                                        ; implicit-def: $vgpr52
.LBB6_3942:                             ;   in Loop: Header=BB6_3218 Depth=4
	s_andn2_saveexec_b64 s[36:37], s[36:37]
; %bb.3943:                             ;   in Loop: Header=BB6_3218 Depth=4
	v_cmp_lt_i16_e32 vcc, -1, v52
	v_mov_b32_e32 v1, 0xff800000
	v_mov_b32_e32 v27, 0x7f800000
	v_cndmask_b32_e32 v1, v1, v27, vcc
	v_cmp_eq_u32_e32 vcc, 0, v2
	v_mov_b32_e32 v2, 0x7f800001
	v_cndmask_b32_e32 v1, v2, v1, vcc
; %bb.3944:                             ;   in Loop: Header=BB6_3218 Depth=4
	s_or_b64 exec, exec, s[36:37]
.LBB6_3945:                             ;   in Loop: Header=BB6_3218 Depth=4
	s_or_b64 exec, exec, s[34:35]
.LBB6_3946:                             ;   in Loop: Header=BB6_3218 Depth=4
	s_or_b64 exec, exec, s[28:29]
	v_cmp_ne_u16_e32 vcc, 0, v51
	s_and_saveexec_b64 s[28:29], vcc
	s_cbranch_execz .LBB6_3954
; %bb.3947:                             ;   in Loop: Header=BB6_3218 Depth=4
	v_cmp_ne_u16_e32 vcc, s80, v51
	v_bfrev_b32_e32 v0, 1
	s_and_saveexec_b64 s[34:35], vcc
	s_cbranch_execz .LBB6_3953
; %bb.3948:                             ;   in Loop: Header=BB6_3218 Depth=4
	v_and_b32_e32 v0, 0x7c, v51
	v_and_b32_e32 v2, 3, v51
	v_cmp_ne_u32_e32 vcc, s81, v0
                                        ; implicit-def: $vgpr0
	s_and_saveexec_b64 s[36:37], vcc
	s_xor_b64 s[36:37], exec, s[36:37]
	s_cbranch_execz .LBB6_3950
; %bb.3949:                             ;   in Loop: Header=BB6_3218 Depth=4
	v_ffbh_u32_e32 v27, v2
	v_min_u32_e32 v29, 32, v27
	v_mov_b32_e32 v52, v34
	v_subrev_u32_e32 v27, 29, v29
	v_and_b32_e32 v0, 0xff, v51
	v_lshlrev_b64 v[27:28], v27, v[51:52]
	v_bfe_u32 v0, v0, 2, 5
	v_sub_u32_e32 v28, 30, v29
	v_and_b32_e32 v27, 3, v27
	v_cmp_eq_u32_e32 vcc, 0, v0
	v_cndmask_b32_e32 v0, v0, v28, vcc
	v_cndmask_b32_e32 v2, v2, v27, vcc
	v_and_b32_sdwa v27, sext(v51), s82 dst_sel:DWORD dst_unused:UNUSED_PAD src0_sel:WORD_0 src1_sel:DWORD
	v_lshl_add_u32 v0, v0, 23, v27
	v_lshl_or_b32 v0, v2, 21, v0
	v_add_u32_e32 v0, 0x38000000, v0
                                        ; implicit-def: $vgpr2
                                        ; implicit-def: $vgpr51
.LBB6_3950:                             ;   in Loop: Header=BB6_3218 Depth=4
	s_andn2_saveexec_b64 s[36:37], s[36:37]
; %bb.3951:                             ;   in Loop: Header=BB6_3218 Depth=4
	v_cmp_lt_i16_e32 vcc, -1, v51
	v_mov_b32_e32 v0, 0xff800000
	v_mov_b32_e32 v27, 0x7f800000
	v_cndmask_b32_e32 v0, v0, v27, vcc
	v_cmp_eq_u32_e32 vcc, 0, v2
	v_mov_b32_e32 v2, 0x7f800001
	v_cndmask_b32_e32 v0, v2, v0, vcc
; %bb.3952:                             ;   in Loop: Header=BB6_3218 Depth=4
	s_or_b64 exec, exec, s[36:37]
.LBB6_3953:                             ;   in Loop: Header=BB6_3218 Depth=4
	s_or_b64 exec, exec, s[34:35]
.LBB6_3954:                             ;   in Loop: Header=BB6_3218 Depth=4
	s_or_b64 exec, exec, s[28:29]
	v_mul_f32_e32 v0, v1, v0
	v_and_b32_e32 v1, 0x7f800000, v0
	v_mov_b32_e32 v2, v34
	v_cmp_ne_u64_e32 vcc, s[76:77], v[1:2]
	v_and_b32_e32 v33, 0x7fffff, v0
                                        ; implicit-def: $vgpr28
	s_and_saveexec_b64 s[28:29], vcc
	s_xor_b64 s[34:35], exec, s[28:29]
	s_cbranch_execz .LBB6_3972
; %bb.3955:                             ;   in Loop: Header=BB6_3218 Depth=4
	v_and_b32_e32 v1, 0x7fffffff, v0
	v_mov_b32_e32 v2, v34
	v_cmp_gt_u64_e32 vcc, s[78:79], v[1:2]
	v_and_b32_sdwa v27, v0, s44 dst_sel:DWORD dst_unused:UNUSED_PAD src0_sel:BYTE_3 src1_sel:DWORD
                                        ; implicit-def: $vgpr28
	s_and_saveexec_b64 s[28:29], vcc
	s_xor_b64 s[36:37], exec, s[28:29]
	s_cbranch_execz .LBB6_3969
; %bb.3956:                             ;   in Loop: Header=BB6_3218 Depth=4
	v_cmp_ne_u32_e32 vcc, 0, v0
	v_mov_b32_e32 v28, 0
	s_and_saveexec_b64 s[38:39], vcc
	s_cbranch_execz .LBB6_3968
; %bb.3957:                             ;   in Loop: Header=BB6_3218 Depth=4
	v_bfe_u32 v28, v0, 23, 8
	v_cmp_gt_u32_e64 s[28:29], s45, v28
	v_sub_u32_e32 v0, 0x71, v28
	v_cmp_eq_u32_e32 vcc, 0, v28
	v_cndmask_b32_e64 v0, 0, v0, s[28:29]
	v_mov_b32_e32 v2, 0x70
	v_cndmask_b32_e32 v29, v0, v2, vcc
	v_add_u32_e32 v2, 21, v29
	v_or_b32_e32 v1, 0x800000, v33
	s_waitcnt vmcnt(0)
	v_lshlrev_b64 v[35:36], v2, -1
	v_cndmask_b32_e32 v0, v1, v33, vcc
	v_mov_b32_e32 v1, v34
	v_add_u32_e32 v2, 20, v29
	v_bfi_b32 v35, v35, 0, v0
	v_lshlrev_b64 v[51:52], v2, 1
	v_lshrrev_b64 v[0:1], v29, v[0:1]
	v_bfi_b32 v36, v36, 0, 0
	v_cmp_eq_u64_e64 s[28:29], v[35:36], v[51:52]
	v_mov_b32_e32 v2, v1
	v_mov_b32_e32 v1, v0
	s_and_saveexec_b64 s[48:49], s[28:29]
; %bb.3958:                             ;   in Loop: Header=BB6_3218 Depth=4
	v_bfe_u32 v1, v0, 21, 1
	v_add_co_u32_e64 v1, s[28:29], v0, v1
	v_add_co_u32_e64 v1, s[28:29], -1, v1
; %bb.3959:                             ;   in Loop: Header=BB6_3218 Depth=4
	s_or_b64 exec, exec, s[48:49]
	v_add_u32_e32 v2, 0xffffff81, v28
	v_mov_b32_e32 v28, 0xffffff82
	v_cndmask_b32_e32 v2, v2, v28, vcc
	v_lshrrev_b32_e32 v28, 23, v0
	v_add3_u32 v29, v29, v2, v28
	v_add_u32_e32 v28, 14, v29
	v_and_b32_e32 v1, 0x1fffff, v1
	v_add_u32_e32 v33, v1, v0
	v_cmp_ne_u32_e32 vcc, 0, v28
                                        ; implicit-def: $vgpr0_vgpr1
                                        ; implicit-def: $vgpr2
	s_and_saveexec_b64 s[28:29], vcc
	s_xor_b64 s[28:29], exec, s[28:29]
; %bb.3960:                             ;   in Loop: Header=BB6_3218 Depth=4
	v_cmp_lt_u64_e32 vcc, s[88:89], v[33:34]
	v_add_u32_e32 v0, 15, v29
	v_cndmask_b32_e32 v2, v28, v0, vcc
	v_cndmask_b32_e64 v0, 0, 1, vcc
	v_lshrrev_b64 v[0:1], v0, v[33:34]
; %bb.3961:                             ;   in Loop: Header=BB6_3218 Depth=4
	s_andn2_saveexec_b64 s[28:29], s[28:29]
; %bb.3962:                             ;   in Loop: Header=BB6_3218 Depth=4
	v_mov_b32_e32 v0, v33
	v_mov_b32_e32 v1, v34
	v_bfe_u32 v2, v33, 23, 1
; %bb.3963:                             ;   in Loop: Header=BB6_3218 Depth=4
	s_or_b64 exec, exec, s[28:29]
	v_lshrrev_b64 v[0:1], 21, v[0:1]
	v_cmp_gt_i32_e32 vcc, 32, v2
	v_cndmask_b32_e32 v1, 0, v1, vcc
	v_cndmask_b32_e32 v0, 3, v0, vcc
	v_cmp_ne_u64_e32 vcc, 0, v[0:1]
	v_cmp_ne_u32_e64 s[28:29], 0, v2
	s_or_b64 s[28:29], s[28:29], vcc
                                        ; implicit-def: $vgpr28
	s_and_saveexec_b64 vcc, s[28:29]
	s_xor_b64 s[28:29], exec, vcc
; %bb.3964:                             ;   in Loop: Header=BB6_3218 Depth=4
	v_min_i32_e32 v1, 31, v2
	v_lshl_or_b32 v1, v1, 2, v27
	v_and_or_b32 v28, v0, 3, v1
                                        ; implicit-def: $vgpr27
; %bb.3965:                             ;   in Loop: Header=BB6_3218 Depth=4
	s_andn2_saveexec_b64 s[28:29], s[28:29]
; %bb.3966:                             ;   in Loop: Header=BB6_3218 Depth=4
	v_mov_b32_e32 v28, v27
; %bb.3967:                             ;   in Loop: Header=BB6_3218 Depth=4
	s_or_b64 exec, exec, s[28:29]
.LBB6_3968:                             ;   in Loop: Header=BB6_3218 Depth=4
	s_or_b64 exec, exec, s[38:39]
                                        ; implicit-def: $vgpr27
.LBB6_3969:                             ;   in Loop: Header=BB6_3218 Depth=4
	s_andn2_saveexec_b64 s[28:29], s[36:37]
; %bb.3970:                             ;   in Loop: Header=BB6_3218 Depth=4
	v_or_b32_e32 v28, 0x7b, v27
; %bb.3971:                             ;   in Loop: Header=BB6_3218 Depth=4
	s_or_b64 exec, exec, s[28:29]
                                        ; implicit-def: $vgpr0
.LBB6_3972:                             ;   in Loop: Header=BB6_3218 Depth=4
	s_andn2_saveexec_b64 s[28:29], s[34:35]
	s_cbranch_execz .LBB6_3978
; %bb.3973:                             ;   in Loop: Header=BB6_3218 Depth=4
	v_cmp_ne_u64_e32 vcc, 0, v[33:34]
                                        ; implicit-def: $vgpr28
	s_and_saveexec_b64 s[34:35], vcc
	s_xor_b64 vcc, exec, s[34:35]
; %bb.3974:                             ;   in Loop: Header=BB6_3218 Depth=4
	v_or_b32_sdwa v28, v0, s83 dst_sel:DWORD dst_unused:UNUSED_PAD src0_sel:BYTE_3 src1_sel:DWORD
                                        ; implicit-def: $vgpr0
; %bb.3975:                             ;   in Loop: Header=BB6_3218 Depth=4
	s_andn2_saveexec_b64 s[34:35], vcc
; %bb.3976:                             ;   in Loop: Header=BB6_3218 Depth=4
	v_cmp_lt_i32_e32 vcc, -1, v0
	v_mov_b32_e32 v0, 0x7c
	v_cndmask_b32_e32 v28, -4, v0, vcc
; %bb.3977:                             ;   in Loop: Header=BB6_3218 Depth=4
	s_or_b64 exec, exec, s[34:35]
.LBB6_3978:                             ;   in Loop: Header=BB6_3218 Depth=4
	s_or_b64 exec, exec, s[28:29]
	v_cmp_ne_u16_e32 vcc, 0, v50
	v_mov_b32_e32 v0, 0
	v_mov_b32_e32 v1, 0
	s_and_saveexec_b64 s[28:29], vcc
	s_cbranch_execz .LBB6_3986
; %bb.3979:                             ;   in Loop: Header=BB6_3218 Depth=4
	v_cmp_ne_u16_e32 vcc, s80, v50
	v_bfrev_b32_e32 v1, 1
	s_and_saveexec_b64 s[34:35], vcc
	s_cbranch_execz .LBB6_3985
; %bb.3980:                             ;   in Loop: Header=BB6_3218 Depth=4
	v_and_b32_e32 v1, 0x7c, v50
	v_and_b32_e32 v2, 3, v50
	v_cmp_ne_u32_e32 vcc, s81, v1
                                        ; implicit-def: $vgpr1
	s_and_saveexec_b64 s[36:37], vcc
	s_xor_b64 s[36:37], exec, s[36:37]
	s_cbranch_execz .LBB6_3982
; %bb.3981:                             ;   in Loop: Header=BB6_3218 Depth=4
	v_ffbh_u32_e32 v27, v2
	v_min_u32_e32 v27, 32, v27
	v_and_b32_e32 v1, 0xff, v50
	v_mov_b32_e32 v51, v34
	v_subrev_u32_e32 v29, 29, v27
	v_bfe_u32 v1, v1, 2, 5
	s_waitcnt vmcnt(0)
	v_lshlrev_b64 v[35:36], v29, v[50:51]
	v_sub_u32_e32 v27, 30, v27
	v_cmp_eq_u32_e32 vcc, 0, v1
	v_and_b32_e32 v29, 3, v35
	v_cndmask_b32_e32 v1, v1, v27, vcc
	v_and_b32_sdwa v27, sext(v50), s82 dst_sel:DWORD dst_unused:UNUSED_PAD src0_sel:WORD_0 src1_sel:DWORD
	v_cndmask_b32_e32 v2, v2, v29, vcc
	v_lshl_add_u32 v1, v1, 23, v27
	v_lshl_or_b32 v1, v2, 21, v1
	v_add_u32_e32 v1, 0x38000000, v1
                                        ; implicit-def: $vgpr2
                                        ; implicit-def: $vgpr50
.LBB6_3982:                             ;   in Loop: Header=BB6_3218 Depth=4
	s_andn2_saveexec_b64 s[36:37], s[36:37]
; %bb.3983:                             ;   in Loop: Header=BB6_3218 Depth=4
	v_cmp_lt_i16_e32 vcc, -1, v50
	v_mov_b32_e32 v1, 0xff800000
	v_mov_b32_e32 v27, 0x7f800000
	v_cndmask_b32_e32 v1, v1, v27, vcc
	v_cmp_eq_u32_e32 vcc, 0, v2
	v_mov_b32_e32 v2, 0x7f800001
	v_cndmask_b32_e32 v1, v2, v1, vcc
; %bb.3984:                             ;   in Loop: Header=BB6_3218 Depth=4
	s_or_b64 exec, exec, s[36:37]
.LBB6_3985:                             ;   in Loop: Header=BB6_3218 Depth=4
	s_or_b64 exec, exec, s[34:35]
.LBB6_3986:                             ;   in Loop: Header=BB6_3218 Depth=4
	s_or_b64 exec, exec, s[28:29]
	v_cmp_ne_u16_e32 vcc, 0, v49
	s_and_saveexec_b64 s[28:29], vcc
	s_cbranch_execz .LBB6_3994
; %bb.3987:                             ;   in Loop: Header=BB6_3218 Depth=4
	v_cmp_ne_u16_e32 vcc, s80, v49
	v_bfrev_b32_e32 v0, 1
	s_and_saveexec_b64 s[34:35], vcc
	s_cbranch_execz .LBB6_3993
; %bb.3988:                             ;   in Loop: Header=BB6_3218 Depth=4
	v_and_b32_e32 v0, 0x7c, v49
	v_and_b32_e32 v2, 3, v49
	v_cmp_ne_u32_e32 vcc, s81, v0
                                        ; implicit-def: $vgpr0
	s_and_saveexec_b64 s[36:37], vcc
	s_xor_b64 s[36:37], exec, s[36:37]
	s_cbranch_execz .LBB6_3990
; %bb.3989:                             ;   in Loop: Header=BB6_3218 Depth=4
	v_ffbh_u32_e32 v27, v2
	v_min_u32_e32 v27, 32, v27
	v_and_b32_e32 v0, 0xff, v49
	v_mov_b32_e32 v50, v34
	v_subrev_u32_e32 v29, 29, v27
	v_bfe_u32 v0, v0, 2, 5
	s_waitcnt vmcnt(0)
	v_lshlrev_b64 v[35:36], v29, v[49:50]
	v_sub_u32_e32 v27, 30, v27
	v_cmp_eq_u32_e32 vcc, 0, v0
	v_and_b32_e32 v29, 3, v35
	v_cndmask_b32_e32 v0, v0, v27, vcc
	v_and_b32_sdwa v27, sext(v49), s82 dst_sel:DWORD dst_unused:UNUSED_PAD src0_sel:WORD_0 src1_sel:DWORD
	v_cndmask_b32_e32 v2, v2, v29, vcc
	v_lshl_add_u32 v0, v0, 23, v27
	v_lshl_or_b32 v0, v2, 21, v0
	v_add_u32_e32 v0, 0x38000000, v0
                                        ; implicit-def: $vgpr2
                                        ; implicit-def: $vgpr49
.LBB6_3990:                             ;   in Loop: Header=BB6_3218 Depth=4
	s_andn2_saveexec_b64 s[36:37], s[36:37]
; %bb.3991:                             ;   in Loop: Header=BB6_3218 Depth=4
	v_cmp_lt_i16_e32 vcc, -1, v49
	v_mov_b32_e32 v0, 0xff800000
	v_mov_b32_e32 v27, 0x7f800000
	v_cndmask_b32_e32 v0, v0, v27, vcc
	v_cmp_eq_u32_e32 vcc, 0, v2
	v_mov_b32_e32 v2, 0x7f800001
	v_cndmask_b32_e32 v0, v2, v0, vcc
; %bb.3992:                             ;   in Loop: Header=BB6_3218 Depth=4
	s_or_b64 exec, exec, s[36:37]
.LBB6_3993:                             ;   in Loop: Header=BB6_3218 Depth=4
	s_or_b64 exec, exec, s[34:35]
.LBB6_3994:                             ;   in Loop: Header=BB6_3218 Depth=4
	s_or_b64 exec, exec, s[28:29]
	v_mul_f32_e32 v0, v1, v0
	v_and_b32_e32 v1, 0x7f800000, v0
	v_mov_b32_e32 v2, v34
	v_cmp_ne_u64_e32 vcc, s[76:77], v[1:2]
	v_and_b32_e32 v33, 0x7fffff, v0
                                        ; implicit-def: $vgpr29
	s_and_saveexec_b64 s[28:29], vcc
	s_xor_b64 s[34:35], exec, s[28:29]
	s_cbranch_execz .LBB6_4012
; %bb.3995:                             ;   in Loop: Header=BB6_3218 Depth=4
	v_and_b32_e32 v1, 0x7fffffff, v0
	v_mov_b32_e32 v2, v34
	v_cmp_gt_u64_e32 vcc, s[78:79], v[1:2]
	v_and_b32_sdwa v27, v0, s44 dst_sel:DWORD dst_unused:UNUSED_PAD src0_sel:BYTE_3 src1_sel:DWORD
                                        ; implicit-def: $vgpr29
	s_and_saveexec_b64 s[28:29], vcc
	s_xor_b64 s[36:37], exec, s[28:29]
	s_cbranch_execz .LBB6_4009
; %bb.3996:                             ;   in Loop: Header=BB6_3218 Depth=4
	v_cmp_ne_u32_e32 vcc, 0, v0
	v_mov_b32_e32 v29, 0
	s_and_saveexec_b64 s[38:39], vcc
	s_cbranch_execz .LBB6_4008
; %bb.3997:                             ;   in Loop: Header=BB6_3218 Depth=4
	v_bfe_u32 v29, v0, 23, 8
	v_cmp_gt_u32_e64 s[28:29], s45, v29
	v_sub_u32_e32 v0, 0x71, v29
	v_cmp_eq_u32_e32 vcc, 0, v29
	v_cndmask_b32_e64 v0, 0, v0, s[28:29]
	v_mov_b32_e32 v2, 0x70
	v_cndmask_b32_e32 v31, v0, v2, vcc
	v_add_u32_e32 v2, 21, v31
	v_or_b32_e32 v1, 0x800000, v33
	s_waitcnt vmcnt(0)
	v_lshlrev_b64 v[35:36], v2, -1
	v_cndmask_b32_e32 v0, v1, v33, vcc
	v_mov_b32_e32 v1, v34
	v_add_u32_e32 v2, 20, v31
	v_bfi_b32 v35, v35, 0, v0
	v_lshlrev_b64 v[48:49], v2, 1
	v_lshrrev_b64 v[0:1], v31, v[0:1]
	v_bfi_b32 v36, v36, 0, 0
	v_cmp_eq_u64_e64 s[28:29], v[35:36], v[48:49]
	v_mov_b32_e32 v2, v1
	v_mov_b32_e32 v1, v0
	s_and_saveexec_b64 s[48:49], s[28:29]
; %bb.3998:                             ;   in Loop: Header=BB6_3218 Depth=4
	v_bfe_u32 v1, v0, 21, 1
	v_add_co_u32_e64 v1, s[28:29], v0, v1
	v_add_co_u32_e64 v1, s[28:29], -1, v1
; %bb.3999:                             ;   in Loop: Header=BB6_3218 Depth=4
	s_or_b64 exec, exec, s[48:49]
	v_add_u32_e32 v2, 0xffffff81, v29
	v_mov_b32_e32 v29, 0xffffff82
	v_cndmask_b32_e32 v2, v2, v29, vcc
	v_lshrrev_b32_e32 v29, 23, v0
	v_add3_u32 v31, v31, v2, v29
	v_add_u32_e32 v29, 14, v31
	v_and_b32_e32 v1, 0x1fffff, v1
	v_add_u32_e32 v33, v1, v0
	v_cmp_ne_u32_e32 vcc, 0, v29
                                        ; implicit-def: $vgpr0_vgpr1
                                        ; implicit-def: $vgpr2
	s_and_saveexec_b64 s[28:29], vcc
	s_xor_b64 s[28:29], exec, s[28:29]
; %bb.4000:                             ;   in Loop: Header=BB6_3218 Depth=4
	v_cmp_lt_u64_e32 vcc, s[88:89], v[33:34]
	v_add_u32_e32 v0, 15, v31
	v_cndmask_b32_e32 v2, v29, v0, vcc
	v_cndmask_b32_e64 v0, 0, 1, vcc
	v_lshrrev_b64 v[0:1], v0, v[33:34]
; %bb.4001:                             ;   in Loop: Header=BB6_3218 Depth=4
	s_or_saveexec_b64 s[28:29], s[28:29]
	buffer_load_dword v48, off, s[0:3], s33 offset:92 ; 4-byte Folded Reload
	buffer_load_dword v49, off, s[0:3], s33 offset:96 ; 4-byte Folded Reload
	s_xor_b64 exec, exec, s[28:29]
; %bb.4002:                             ;   in Loop: Header=BB6_3218 Depth=4
	v_mov_b32_e32 v0, v33
	v_mov_b32_e32 v1, v34
	v_bfe_u32 v2, v33, 23, 1
; %bb.4003:                             ;   in Loop: Header=BB6_3218 Depth=4
	s_or_b64 exec, exec, s[28:29]
	v_lshrrev_b64 v[0:1], 21, v[0:1]
	v_cmp_gt_i32_e32 vcc, 32, v2
	v_cndmask_b32_e32 v1, 0, v1, vcc
	v_cndmask_b32_e32 v0, 3, v0, vcc
	v_cmp_ne_u64_e32 vcc, 0, v[0:1]
	v_cmp_ne_u32_e64 s[28:29], 0, v2
	s_or_b64 s[28:29], s[28:29], vcc
                                        ; implicit-def: $vgpr29
	s_and_saveexec_b64 vcc, s[28:29]
	s_xor_b64 s[28:29], exec, vcc
; %bb.4004:                             ;   in Loop: Header=BB6_3218 Depth=4
	v_min_i32_e32 v1, 31, v2
	v_lshl_or_b32 v1, v1, 2, v27
	v_and_or_b32 v29, v0, 3, v1
                                        ; implicit-def: $vgpr27
; %bb.4005:                             ;   in Loop: Header=BB6_3218 Depth=4
	s_andn2_saveexec_b64 s[28:29], s[28:29]
; %bb.4006:                             ;   in Loop: Header=BB6_3218 Depth=4
	v_mov_b32_e32 v29, v27
; %bb.4007:                             ;   in Loop: Header=BB6_3218 Depth=4
	s_or_b64 exec, exec, s[28:29]
.LBB6_4008:                             ;   in Loop: Header=BB6_3218 Depth=4
	s_or_b64 exec, exec, s[38:39]
                                        ; implicit-def: $vgpr27
.LBB6_4009:                             ;   in Loop: Header=BB6_3218 Depth=4
	s_andn2_saveexec_b64 s[28:29], s[36:37]
; %bb.4010:                             ;   in Loop: Header=BB6_3218 Depth=4
	v_or_b32_e32 v29, 0x7b, v27
; %bb.4011:                             ;   in Loop: Header=BB6_3218 Depth=4
	s_or_b64 exec, exec, s[28:29]
                                        ; implicit-def: $vgpr0
.LBB6_4012:                             ;   in Loop: Header=BB6_3218 Depth=4
	s_andn2_saveexec_b64 s[28:29], s[34:35]
	s_cbranch_execz .LBB6_4018
; %bb.4013:                             ;   in Loop: Header=BB6_3218 Depth=4
	v_cmp_ne_u64_e32 vcc, 0, v[33:34]
                                        ; implicit-def: $vgpr29
	s_and_saveexec_b64 s[34:35], vcc
	s_xor_b64 vcc, exec, s[34:35]
; %bb.4014:                             ;   in Loop: Header=BB6_3218 Depth=4
	v_or_b32_sdwa v29, v0, s83 dst_sel:DWORD dst_unused:UNUSED_PAD src0_sel:BYTE_3 src1_sel:DWORD
                                        ; implicit-def: $vgpr0
; %bb.4015:                             ;   in Loop: Header=BB6_3218 Depth=4
	s_andn2_saveexec_b64 s[34:35], vcc
; %bb.4016:                             ;   in Loop: Header=BB6_3218 Depth=4
	v_cmp_lt_i32_e32 vcc, -1, v0
	v_mov_b32_e32 v0, 0x7c
	v_cndmask_b32_e32 v29, -4, v0, vcc
; %bb.4017:                             ;   in Loop: Header=BB6_3218 Depth=4
	s_or_b64 exec, exec, s[34:35]
.LBB6_4018:                             ;   in Loop: Header=BB6_3218 Depth=4
	s_or_b64 exec, exec, s[28:29]
	buffer_load_dword v0, off, s[0:3], s33 offset:264 ; 4-byte Folded Reload
	buffer_load_dword v1, off, s[0:3], s33 offset:268 ; 4-byte Folded Reload
	s_waitcnt vmcnt(0)
	v_mov_b32_e32 v1, 0
	v_mov_b32_e32 v27, v0
	v_cmp_ne_u16_e32 vcc, 0, v27
	v_mov_b32_e32 v0, 0
	s_and_saveexec_b64 s[28:29], vcc
	s_cbranch_execz .LBB6_4026
; %bb.4019:                             ;   in Loop: Header=BB6_3218 Depth=4
	v_cmp_ne_u16_e32 vcc, s80, v27
	v_bfrev_b32_e32 v1, 1
	s_and_saveexec_b64 s[34:35], vcc
	s_cbranch_execz .LBB6_4025
; %bb.4020:                             ;   in Loop: Header=BB6_3218 Depth=4
	v_and_b32_e32 v1, 0x7c, v27
	v_and_b32_e32 v2, 3, v27
	v_cmp_ne_u32_e32 vcc, s81, v1
                                        ; implicit-def: $vgpr1
	s_and_saveexec_b64 s[36:37], vcc
	s_xor_b64 s[36:37], exec, s[36:37]
	s_cbranch_execz .LBB6_4022
; %bb.4021:                             ;   in Loop: Header=BB6_3218 Depth=4
	buffer_load_dword v49, off, s[0:3], s33 offset:264 ; 4-byte Folded Reload
	buffer_load_dword v50, off, s[0:3], s33 offset:268 ; 4-byte Folded Reload
	v_ffbh_u32_e32 v27, v2
	v_min_u32_e32 v27, 32, v27
	s_waitcnt vmcnt(0)
	v_mov_b32_e32 v50, v34
	v_subrev_u32_e32 v31, 29, v27
	v_sub_u32_e32 v27, 30, v27
	v_and_b32_e32 v1, 0xff, v49
	v_bfe_u32 v1, v1, 2, 5
	v_lshlrev_b64 v[35:36], v31, v[49:50]
	v_cmp_eq_u32_e32 vcc, 0, v1
	v_and_b32_e32 v31, 3, v35
	v_cndmask_b32_e32 v1, v1, v27, vcc
	v_and_b32_sdwa v27, sext(v49), s82 dst_sel:DWORD dst_unused:UNUSED_PAD src0_sel:WORD_0 src1_sel:DWORD
	v_cndmask_b32_e32 v2, v2, v31, vcc
	v_lshl_add_u32 v1, v1, 23, v27
	v_lshl_or_b32 v1, v2, 21, v1
	v_add_u32_e32 v1, 0x38000000, v1
                                        ; implicit-def: $vgpr27
                                        ; implicit-def: $vgpr2
	buffer_store_dword v27, off, s[0:3], s33 offset:264 ; 4-byte Folded Spill
	s_nop 0
	buffer_store_dword v28, off, s[0:3], s33 offset:268 ; 4-byte Folded Spill
.LBB6_4022:                             ;   in Loop: Header=BB6_3218 Depth=4
	s_andn2_saveexec_b64 s[36:37], s[36:37]
	s_cbranch_execz .LBB6_4024
; %bb.4023:                             ;   in Loop: Header=BB6_3218 Depth=4
	buffer_load_dword v35, off, s[0:3], s33 offset:264 ; 4-byte Folded Reload
	buffer_load_dword v36, off, s[0:3], s33 offset:268 ; 4-byte Folded Reload
	v_mov_b32_e32 v1, 0xff800000
	v_mov_b32_e32 v27, 0x7f800000
	s_waitcnt vmcnt(1)
	v_cmp_lt_i16_e32 vcc, -1, v35
	v_cndmask_b32_e32 v1, v1, v27, vcc
	v_cmp_eq_u32_e32 vcc, 0, v2
	v_mov_b32_e32 v2, 0x7f800001
	v_cndmask_b32_e32 v1, v2, v1, vcc
.LBB6_4024:                             ;   in Loop: Header=BB6_3218 Depth=4
	s_or_b64 exec, exec, s[36:37]
.LBB6_4025:                             ;   in Loop: Header=BB6_3218 Depth=4
	s_or_b64 exec, exec, s[34:35]
.LBB6_4026:                             ;   in Loop: Header=BB6_3218 Depth=4
	s_or_b64 exec, exec, s[28:29]
	v_cmp_ne_u16_e32 vcc, 0, v38
	s_and_saveexec_b64 s[28:29], vcc
	s_cbranch_execz .LBB6_4034
; %bb.4027:                             ;   in Loop: Header=BB6_3218 Depth=4
	v_cmp_ne_u16_e32 vcc, s80, v38
	v_bfrev_b32_e32 v0, 1
	s_and_saveexec_b64 s[34:35], vcc
	s_cbranch_execz .LBB6_4033
; %bb.4028:                             ;   in Loop: Header=BB6_3218 Depth=4
	v_and_b32_e32 v0, 0x7c, v38
	v_and_b32_e32 v2, 3, v38
	v_cmp_ne_u32_e32 vcc, s81, v0
                                        ; implicit-def: $vgpr0
	s_and_saveexec_b64 s[36:37], vcc
	s_xor_b64 s[36:37], exec, s[36:37]
	s_cbranch_execz .LBB6_4030
; %bb.4029:                             ;   in Loop: Header=BB6_3218 Depth=4
	v_ffbh_u32_e32 v27, v2
	v_min_u32_e32 v27, 32, v27
	v_and_b32_e32 v0, 0xff, v38
	v_mov_b32_e32 v39, v34
	v_subrev_u32_e32 v31, 29, v27
	v_bfe_u32 v0, v0, 2, 5
	s_waitcnt vmcnt(0)
	v_lshlrev_b64 v[35:36], v31, v[38:39]
	v_sub_u32_e32 v27, 30, v27
	v_cmp_eq_u32_e32 vcc, 0, v0
	v_and_b32_e32 v31, 3, v35
	v_cndmask_b32_e32 v0, v0, v27, vcc
	v_and_b32_sdwa v27, sext(v38), s82 dst_sel:DWORD dst_unused:UNUSED_PAD src0_sel:WORD_0 src1_sel:DWORD
	v_cndmask_b32_e32 v2, v2, v31, vcc
	v_lshl_add_u32 v0, v0, 23, v27
	v_lshl_or_b32 v0, v2, 21, v0
	v_add_u32_e32 v0, 0x38000000, v0
                                        ; implicit-def: $vgpr2
                                        ; implicit-def: $vgpr38
.LBB6_4030:                             ;   in Loop: Header=BB6_3218 Depth=4
	s_andn2_saveexec_b64 s[36:37], s[36:37]
; %bb.4031:                             ;   in Loop: Header=BB6_3218 Depth=4
	v_cmp_lt_i16_e32 vcc, -1, v38
	v_mov_b32_e32 v0, 0xff800000
	v_mov_b32_e32 v27, 0x7f800000
	v_cndmask_b32_e32 v0, v0, v27, vcc
	v_cmp_eq_u32_e32 vcc, 0, v2
	v_mov_b32_e32 v2, 0x7f800001
	v_cndmask_b32_e32 v0, v2, v0, vcc
; %bb.4032:                             ;   in Loop: Header=BB6_3218 Depth=4
	s_or_b64 exec, exec, s[36:37]
.LBB6_4033:                             ;   in Loop: Header=BB6_3218 Depth=4
	s_or_b64 exec, exec, s[34:35]
.LBB6_4034:                             ;   in Loop: Header=BB6_3218 Depth=4
	s_or_b64 exec, exec, s[28:29]
	v_mul_f32_e32 v0, v1, v0
	v_and_b32_e32 v1, 0x7f800000, v0
	v_mov_b32_e32 v2, v34
	v_cmp_ne_u64_e32 vcc, s[76:77], v[1:2]
	v_and_b32_e32 v33, 0x7fffff, v0
                                        ; implicit-def: $vgpr31
	s_and_saveexec_b64 s[28:29], vcc
	s_xor_b64 s[34:35], exec, s[28:29]
	s_cbranch_execz .LBB6_4052
; %bb.4035:                             ;   in Loop: Header=BB6_3218 Depth=4
	v_and_b32_e32 v1, 0x7fffffff, v0
	v_mov_b32_e32 v2, v34
	v_cmp_gt_u64_e32 vcc, s[78:79], v[1:2]
	v_and_b32_sdwa v27, v0, s44 dst_sel:DWORD dst_unused:UNUSED_PAD src0_sel:BYTE_3 src1_sel:DWORD
                                        ; implicit-def: $vgpr31
	s_and_saveexec_b64 s[28:29], vcc
	s_xor_b64 s[36:37], exec, s[28:29]
	s_cbranch_execz .LBB6_4049
; %bb.4036:                             ;   in Loop: Header=BB6_3218 Depth=4
	v_cmp_ne_u32_e32 vcc, 0, v0
	v_mov_b32_e32 v31, 0
	s_and_saveexec_b64 s[38:39], vcc
	s_cbranch_execz .LBB6_4048
; %bb.4037:                             ;   in Loop: Header=BB6_3218 Depth=4
	v_bfe_u32 v31, v0, 23, 8
	v_cmp_gt_u32_e64 s[28:29], s45, v31
	v_sub_u32_e32 v0, 0x71, v31
	v_cmp_eq_u32_e32 vcc, 0, v31
	v_cndmask_b32_e64 v0, 0, v0, s[28:29]
	v_mov_b32_e32 v2, 0x70
	v_cndmask_b32_e32 v35, v0, v2, vcc
	v_add_u32_e32 v2, 21, v35
	v_or_b32_e32 v1, 0x800000, v33
	s_waitcnt vmcnt(0)
	v_lshlrev_b64 v[36:37], v2, -1
	v_cndmask_b32_e32 v0, v1, v33, vcc
	v_mov_b32_e32 v1, v34
	v_add_u32_e32 v2, 20, v35
	v_bfi_b32 v36, v36, 0, v0
	v_lshlrev_b64 v[38:39], v2, 1
	v_lshrrev_b64 v[0:1], v35, v[0:1]
	v_bfi_b32 v37, v37, 0, 0
	v_cmp_eq_u64_e64 s[28:29], v[36:37], v[38:39]
	v_mov_b32_e32 v2, v1
	v_mov_b32_e32 v1, v0
	s_and_saveexec_b64 s[48:49], s[28:29]
; %bb.4038:                             ;   in Loop: Header=BB6_3218 Depth=4
	v_bfe_u32 v1, v0, 21, 1
	v_add_co_u32_e64 v1, s[28:29], v0, v1
	v_add_co_u32_e64 v1, s[28:29], -1, v1
; %bb.4039:                             ;   in Loop: Header=BB6_3218 Depth=4
	s_or_b64 exec, exec, s[48:49]
	v_add_u32_e32 v2, 0xffffff81, v31
	v_mov_b32_e32 v31, 0xffffff82
	v_cndmask_b32_e32 v2, v2, v31, vcc
	v_lshrrev_b32_e32 v31, 23, v0
	v_add3_u32 v35, v35, v2, v31
	v_add_u32_e32 v31, 14, v35
	v_and_b32_e32 v1, 0x1fffff, v1
	v_add_u32_e32 v33, v1, v0
	v_cmp_ne_u32_e32 vcc, 0, v31
                                        ; implicit-def: $vgpr0_vgpr1
                                        ; implicit-def: $vgpr2
	s_and_saveexec_b64 s[28:29], vcc
	s_xor_b64 s[28:29], exec, s[28:29]
; %bb.4040:                             ;   in Loop: Header=BB6_3218 Depth=4
	v_cmp_lt_u64_e32 vcc, s[88:89], v[33:34]
	v_add_u32_e32 v0, 15, v35
	v_cndmask_b32_e32 v2, v31, v0, vcc
	v_cndmask_b32_e64 v0, 0, 1, vcc
	v_lshrrev_b64 v[0:1], v0, v[33:34]
; %bb.4041:                             ;   in Loop: Header=BB6_3218 Depth=4
	s_andn2_saveexec_b64 s[28:29], s[28:29]
; %bb.4042:                             ;   in Loop: Header=BB6_3218 Depth=4
	v_mov_b32_e32 v0, v33
	v_mov_b32_e32 v1, v34
	v_bfe_u32 v2, v33, 23, 1
; %bb.4043:                             ;   in Loop: Header=BB6_3218 Depth=4
	s_or_b64 exec, exec, s[28:29]
	v_lshrrev_b64 v[0:1], 21, v[0:1]
	v_cmp_gt_i32_e32 vcc, 32, v2
	v_cndmask_b32_e32 v1, 0, v1, vcc
	v_cndmask_b32_e32 v0, 3, v0, vcc
	v_cmp_ne_u64_e32 vcc, 0, v[0:1]
	v_cmp_ne_u32_e64 s[28:29], 0, v2
	s_or_b64 s[28:29], s[28:29], vcc
                                        ; implicit-def: $vgpr31
	s_and_saveexec_b64 vcc, s[28:29]
	s_xor_b64 s[28:29], exec, vcc
; %bb.4044:                             ;   in Loop: Header=BB6_3218 Depth=4
	v_min_i32_e32 v1, 31, v2
	v_lshl_or_b32 v1, v1, 2, v27
	v_and_or_b32 v31, v0, 3, v1
                                        ; implicit-def: $vgpr27
; %bb.4045:                             ;   in Loop: Header=BB6_3218 Depth=4
	s_andn2_saveexec_b64 s[28:29], s[28:29]
; %bb.4046:                             ;   in Loop: Header=BB6_3218 Depth=4
	v_mov_b32_e32 v31, v27
; %bb.4047:                             ;   in Loop: Header=BB6_3218 Depth=4
	s_or_b64 exec, exec, s[28:29]
.LBB6_4048:                             ;   in Loop: Header=BB6_3218 Depth=4
	s_or_b64 exec, exec, s[38:39]
                                        ; implicit-def: $vgpr27
.LBB6_4049:                             ;   in Loop: Header=BB6_3218 Depth=4
	s_andn2_saveexec_b64 s[28:29], s[36:37]
; %bb.4050:                             ;   in Loop: Header=BB6_3218 Depth=4
	v_or_b32_e32 v31, 0x7b, v27
; %bb.4051:                             ;   in Loop: Header=BB6_3218 Depth=4
	s_or_b64 exec, exec, s[28:29]
                                        ; implicit-def: $vgpr0
.LBB6_4052:                             ;   in Loop: Header=BB6_3218 Depth=4
	s_andn2_saveexec_b64 s[28:29], s[34:35]
	s_cbranch_execz .LBB6_4058
; %bb.4053:                             ;   in Loop: Header=BB6_3218 Depth=4
	v_cmp_ne_u64_e32 vcc, 0, v[33:34]
                                        ; implicit-def: $vgpr31
	s_and_saveexec_b64 s[34:35], vcc
	s_xor_b64 vcc, exec, s[34:35]
; %bb.4054:                             ;   in Loop: Header=BB6_3218 Depth=4
	v_or_b32_sdwa v31, v0, s83 dst_sel:DWORD dst_unused:UNUSED_PAD src0_sel:BYTE_3 src1_sel:DWORD
                                        ; implicit-def: $vgpr0
; %bb.4055:                             ;   in Loop: Header=BB6_3218 Depth=4
	s_andn2_saveexec_b64 s[34:35], vcc
; %bb.4056:                             ;   in Loop: Header=BB6_3218 Depth=4
	v_cmp_lt_i32_e32 vcc, -1, v0
	v_mov_b32_e32 v0, 0x7c
	v_cndmask_b32_e32 v31, -4, v0, vcc
; %bb.4057:                             ;   in Loop: Header=BB6_3218 Depth=4
	s_or_b64 exec, exec, s[34:35]
.LBB6_4058:                             ;   in Loop: Header=BB6_3218 Depth=4
	s_or_b64 exec, exec, s[28:29]
	buffer_load_dword v0, off, s[0:3], s33 offset:256 ; 4-byte Folded Reload
	buffer_load_dword v1, off, s[0:3], s33 offset:260 ; 4-byte Folded Reload
	s_waitcnt vmcnt(0)
	v_mov_b32_e32 v1, 0
	v_mov_b32_e32 v27, v0
	v_cmp_ne_u16_e32 vcc, 0, v27
	v_mov_b32_e32 v0, 0
	s_and_saveexec_b64 s[28:29], vcc
	s_cbranch_execz .LBB6_4066
; %bb.4059:                             ;   in Loop: Header=BB6_3218 Depth=4
	v_cmp_ne_u16_e32 vcc, s80, v27
	v_bfrev_b32_e32 v1, 1
	s_and_saveexec_b64 s[34:35], vcc
	s_cbranch_execz .LBB6_4065
; %bb.4060:                             ;   in Loop: Header=BB6_3218 Depth=4
	v_and_b32_e32 v1, 0x7c, v27
	v_and_b32_e32 v2, 3, v27
	v_cmp_ne_u32_e32 vcc, s81, v1
                                        ; implicit-def: $vgpr1
	s_and_saveexec_b64 s[36:37], vcc
	s_xor_b64 s[36:37], exec, s[36:37]
	s_cbranch_execz .LBB6_4062
; %bb.4061:                             ;   in Loop: Header=BB6_3218 Depth=4
	buffer_load_dword v37, off, s[0:3], s33 offset:256 ; 4-byte Folded Reload
	buffer_load_dword v38, off, s[0:3], s33 offset:260 ; 4-byte Folded Reload
	v_ffbh_u32_e32 v27, v2
	v_min_u32_e32 v27, 32, v27
	s_waitcnt vmcnt(0)
	v_mov_b32_e32 v38, v34
	v_subrev_u32_e32 v33, 29, v27
	v_sub_u32_e32 v27, 30, v27
	v_and_b32_e32 v1, 0xff, v37
	v_bfe_u32 v1, v1, 2, 5
	v_lshlrev_b64 v[35:36], v33, v[37:38]
	v_cmp_eq_u32_e32 vcc, 0, v1
	v_and_b32_e32 v33, 3, v35
	v_cndmask_b32_e32 v1, v1, v27, vcc
	v_and_b32_sdwa v27, sext(v37), s82 dst_sel:DWORD dst_unused:UNUSED_PAD src0_sel:WORD_0 src1_sel:DWORD
	v_cndmask_b32_e32 v2, v2, v33, vcc
	v_lshl_add_u32 v1, v1, 23, v27
	v_lshl_or_b32 v1, v2, 21, v1
	v_add_u32_e32 v1, 0x38000000, v1
                                        ; implicit-def: $vgpr27
                                        ; implicit-def: $vgpr2
	buffer_store_dword v27, off, s[0:3], s33 offset:256 ; 4-byte Folded Spill
	s_nop 0
	buffer_store_dword v28, off, s[0:3], s33 offset:260 ; 4-byte Folded Spill
.LBB6_4062:                             ;   in Loop: Header=BB6_3218 Depth=4
	s_andn2_saveexec_b64 s[36:37], s[36:37]
	s_cbranch_execz .LBB6_4064
; %bb.4063:                             ;   in Loop: Header=BB6_3218 Depth=4
	buffer_load_dword v35, off, s[0:3], s33 offset:256 ; 4-byte Folded Reload
	buffer_load_dword v36, off, s[0:3], s33 offset:260 ; 4-byte Folded Reload
	v_mov_b32_e32 v1, 0xff800000
	v_mov_b32_e32 v27, 0x7f800000
	s_waitcnt vmcnt(1)
	v_cmp_lt_i16_e32 vcc, -1, v35
	v_cndmask_b32_e32 v1, v1, v27, vcc
	v_cmp_eq_u32_e32 vcc, 0, v2
	v_mov_b32_e32 v2, 0x7f800001
	v_cndmask_b32_e32 v1, v2, v1, vcc
.LBB6_4064:                             ;   in Loop: Header=BB6_3218 Depth=4
	s_or_b64 exec, exec, s[36:37]
.LBB6_4065:                             ;   in Loop: Header=BB6_3218 Depth=4
	s_or_b64 exec, exec, s[34:35]
.LBB6_4066:                             ;   in Loop: Header=BB6_3218 Depth=4
	s_or_b64 exec, exec, s[28:29]
	buffer_load_dword v35, off, s[0:3], s33 offset:248 ; 4-byte Folded Reload
	buffer_load_dword v36, off, s[0:3], s33 offset:252 ; 4-byte Folded Reload
	s_waitcnt vmcnt(1)
	v_mov_b32_e32 v27, v35
	v_cmp_ne_u16_e32 vcc, 0, v27
	s_and_saveexec_b64 s[28:29], vcc
	s_cbranch_execz .LBB6_4074
; %bb.4067:                             ;   in Loop: Header=BB6_3218 Depth=4
	v_cmp_ne_u16_e32 vcc, s80, v27
	v_bfrev_b32_e32 v0, 1
	s_and_saveexec_b64 s[34:35], vcc
	s_cbranch_execz .LBB6_4073
; %bb.4068:                             ;   in Loop: Header=BB6_3218 Depth=4
	v_and_b32_e32 v0, 0x7c, v27
	v_and_b32_e32 v2, 3, v27
	v_cmp_ne_u32_e32 vcc, s81, v0
                                        ; implicit-def: $vgpr0
	s_and_saveexec_b64 s[36:37], vcc
	s_xor_b64 s[36:37], exec, s[36:37]
	s_cbranch_execz .LBB6_4070
; %bb.4069:                             ;   in Loop: Header=BB6_3218 Depth=4
	buffer_load_dword v37, off, s[0:3], s33 offset:248 ; 4-byte Folded Reload
	buffer_load_dword v38, off, s[0:3], s33 offset:252 ; 4-byte Folded Reload
	v_ffbh_u32_e32 v27, v2
	v_min_u32_e32 v27, 32, v27
	s_waitcnt vmcnt(0)
	v_mov_b32_e32 v38, v34
	v_subrev_u32_e32 v33, 29, v27
	v_sub_u32_e32 v27, 30, v27
	v_and_b32_e32 v0, 0xff, v37
	v_bfe_u32 v0, v0, 2, 5
	v_lshlrev_b64 v[35:36], v33, v[37:38]
	v_cmp_eq_u32_e32 vcc, 0, v0
	v_and_b32_e32 v33, 3, v35
	v_cndmask_b32_e32 v0, v0, v27, vcc
	v_and_b32_sdwa v27, sext(v37), s82 dst_sel:DWORD dst_unused:UNUSED_PAD src0_sel:WORD_0 src1_sel:DWORD
	v_cndmask_b32_e32 v2, v2, v33, vcc
	v_lshl_add_u32 v0, v0, 23, v27
	v_lshl_or_b32 v0, v2, 21, v0
	v_add_u32_e32 v0, 0x38000000, v0
                                        ; implicit-def: $vgpr27
                                        ; implicit-def: $vgpr2
	buffer_store_dword v27, off, s[0:3], s33 offset:248 ; 4-byte Folded Spill
	s_nop 0
	buffer_store_dword v28, off, s[0:3], s33 offset:252 ; 4-byte Folded Spill
.LBB6_4070:                             ;   in Loop: Header=BB6_3218 Depth=4
	s_andn2_saveexec_b64 s[36:37], s[36:37]
	s_cbranch_execz .LBB6_4072
; %bb.4071:                             ;   in Loop: Header=BB6_3218 Depth=4
	buffer_load_dword v35, off, s[0:3], s33 offset:248 ; 4-byte Folded Reload
	buffer_load_dword v36, off, s[0:3], s33 offset:252 ; 4-byte Folded Reload
	v_mov_b32_e32 v0, 0xff800000
	v_mov_b32_e32 v27, 0x7f800000
	s_waitcnt vmcnt(1)
	v_cmp_lt_i16_e32 vcc, -1, v35
	v_cndmask_b32_e32 v0, v0, v27, vcc
	v_cmp_eq_u32_e32 vcc, 0, v2
	v_mov_b32_e32 v2, 0x7f800001
	v_cndmask_b32_e32 v0, v2, v0, vcc
.LBB6_4072:                             ;   in Loop: Header=BB6_3218 Depth=4
	s_or_b64 exec, exec, s[36:37]
.LBB6_4073:                             ;   in Loop: Header=BB6_3218 Depth=4
	s_or_b64 exec, exec, s[34:35]
.LBB6_4074:                             ;   in Loop: Header=BB6_3218 Depth=4
	s_or_b64 exec, exec, s[28:29]
	v_mul_f32_e32 v0, v1, v0
	v_and_b32_e32 v1, 0x7f800000, v0
	v_mov_b32_e32 v2, v34
	v_cmp_ne_u64_e32 vcc, s[76:77], v[1:2]
	v_and_b32_e32 v33, 0x7fffff, v0
                                        ; implicit-def: $vgpr35
	s_and_saveexec_b64 s[28:29], vcc
	s_xor_b64 s[34:35], exec, s[28:29]
	s_cbranch_execz .LBB6_4092
; %bb.4075:                             ;   in Loop: Header=BB6_3218 Depth=4
	v_and_b32_e32 v1, 0x7fffffff, v0
	v_mov_b32_e32 v2, v34
	v_cmp_gt_u64_e32 vcc, s[78:79], v[1:2]
	v_and_b32_sdwa v27, v0, s44 dst_sel:DWORD dst_unused:UNUSED_PAD src0_sel:BYTE_3 src1_sel:DWORD
                                        ; implicit-def: $vgpr35
	s_and_saveexec_b64 s[28:29], vcc
	s_xor_b64 s[36:37], exec, s[28:29]
	s_cbranch_execz .LBB6_4089
; %bb.4076:                             ;   in Loop: Header=BB6_3218 Depth=4
	v_cmp_ne_u32_e32 vcc, 0, v0
	v_mov_b32_e32 v35, 0
	s_and_saveexec_b64 s[38:39], vcc
	s_cbranch_execz .LBB6_4088
; %bb.4077:                             ;   in Loop: Header=BB6_3218 Depth=4
	v_bfe_u32 v35, v0, 23, 8
	v_cmp_gt_u32_e64 s[28:29], s45, v35
	v_sub_u32_e32 v0, 0x71, v35
	v_cmp_eq_u32_e32 vcc, 0, v35
	v_cndmask_b32_e64 v0, 0, v0, s[28:29]
	v_mov_b32_e32 v2, 0x70
	s_waitcnt vmcnt(0)
	v_cndmask_b32_e32 v36, v0, v2, vcc
	v_add_u32_e32 v2, 21, v36
	v_or_b32_e32 v1, 0x800000, v33
	v_lshlrev_b64 v[37:38], v2, -1
	v_cndmask_b32_e32 v0, v1, v33, vcc
	v_mov_b32_e32 v1, v34
	v_add_u32_e32 v2, 20, v36
	v_bfi_b32 v37, v37, 0, v0
	v_lshlrev_b64 v[48:49], v2, 1
	v_lshrrev_b64 v[0:1], v36, v[0:1]
	v_bfi_b32 v38, v38, 0, 0
	v_cmp_eq_u64_e64 s[28:29], v[37:38], v[48:49]
	v_mov_b32_e32 v2, v1
	v_mov_b32_e32 v1, v0
	s_and_saveexec_b64 s[48:49], s[28:29]
; %bb.4078:                             ;   in Loop: Header=BB6_3218 Depth=4
	v_bfe_u32 v1, v0, 21, 1
	v_add_co_u32_e64 v1, s[28:29], v0, v1
	v_add_co_u32_e64 v1, s[28:29], -1, v1
; %bb.4079:                             ;   in Loop: Header=BB6_3218 Depth=4
	s_or_b64 exec, exec, s[48:49]
	v_add_u32_e32 v2, 0xffffff81, v35
	v_mov_b32_e32 v33, 0xffffff82
	v_cndmask_b32_e32 v2, v2, v33, vcc
	v_lshrrev_b32_e32 v33, 23, v0
	v_add3_u32 v36, v36, v2, v33
	v_add_u32_e32 v35, 14, v36
	v_and_b32_e32 v1, 0x1fffff, v1
	v_add_u32_e32 v33, v1, v0
	v_cmp_ne_u32_e32 vcc, 0, v35
                                        ; implicit-def: $vgpr0_vgpr1
                                        ; implicit-def: $vgpr2
	s_and_saveexec_b64 s[28:29], vcc
	s_xor_b64 s[28:29], exec, s[28:29]
; %bb.4080:                             ;   in Loop: Header=BB6_3218 Depth=4
	v_cmp_lt_u64_e32 vcc, s[88:89], v[33:34]
	v_add_u32_e32 v0, 15, v36
	v_cndmask_b32_e32 v2, v35, v0, vcc
	v_cndmask_b32_e64 v0, 0, 1, vcc
	v_lshrrev_b64 v[0:1], v0, v[33:34]
; %bb.4081:                             ;   in Loop: Header=BB6_3218 Depth=4
	s_or_saveexec_b64 s[28:29], s[28:29]
	buffer_load_dword v48, off, s[0:3], s33 offset:92 ; 4-byte Folded Reload
	buffer_load_dword v49, off, s[0:3], s33 offset:96 ; 4-byte Folded Reload
	s_xor_b64 exec, exec, s[28:29]
; %bb.4082:                             ;   in Loop: Header=BB6_3218 Depth=4
	v_mov_b32_e32 v0, v33
	v_mov_b32_e32 v1, v34
	v_bfe_u32 v2, v33, 23, 1
; %bb.4083:                             ;   in Loop: Header=BB6_3218 Depth=4
	s_or_b64 exec, exec, s[28:29]
	v_lshrrev_b64 v[0:1], 21, v[0:1]
	v_cmp_gt_i32_e32 vcc, 32, v2
	v_cndmask_b32_e32 v1, 0, v1, vcc
	v_cndmask_b32_e32 v0, 3, v0, vcc
	v_cmp_ne_u64_e32 vcc, 0, v[0:1]
	v_cmp_ne_u32_e64 s[28:29], 0, v2
	s_or_b64 s[28:29], s[28:29], vcc
                                        ; implicit-def: $vgpr35
	s_and_saveexec_b64 vcc, s[28:29]
	s_xor_b64 s[28:29], exec, vcc
; %bb.4084:                             ;   in Loop: Header=BB6_3218 Depth=4
	v_min_i32_e32 v1, 31, v2
	v_lshl_or_b32 v1, v1, 2, v27
	v_and_or_b32 v35, v0, 3, v1
                                        ; implicit-def: $vgpr27
; %bb.4085:                             ;   in Loop: Header=BB6_3218 Depth=4
	s_andn2_saveexec_b64 s[28:29], s[28:29]
; %bb.4086:                             ;   in Loop: Header=BB6_3218 Depth=4
	v_mov_b32_e32 v35, v27
; %bb.4087:                             ;   in Loop: Header=BB6_3218 Depth=4
	s_or_b64 exec, exec, s[28:29]
.LBB6_4088:                             ;   in Loop: Header=BB6_3218 Depth=4
	s_or_b64 exec, exec, s[38:39]
                                        ; implicit-def: $vgpr27
.LBB6_4089:                             ;   in Loop: Header=BB6_3218 Depth=4
	s_andn2_saveexec_b64 s[28:29], s[36:37]
; %bb.4090:                             ;   in Loop: Header=BB6_3218 Depth=4
	v_or_b32_e32 v35, 0x7b, v27
; %bb.4091:                             ;   in Loop: Header=BB6_3218 Depth=4
	s_or_b64 exec, exec, s[28:29]
                                        ; implicit-def: $vgpr0
.LBB6_4092:                             ;   in Loop: Header=BB6_3218 Depth=4
	s_andn2_saveexec_b64 s[28:29], s[34:35]
	s_cbranch_execz .LBB6_4098
; %bb.4093:                             ;   in Loop: Header=BB6_3218 Depth=4
	v_cmp_ne_u64_e32 vcc, 0, v[33:34]
                                        ; implicit-def: $vgpr35
	s_and_saveexec_b64 s[34:35], vcc
	s_xor_b64 vcc, exec, s[34:35]
; %bb.4094:                             ;   in Loop: Header=BB6_3218 Depth=4
	v_or_b32_sdwa v35, v0, s83 dst_sel:DWORD dst_unused:UNUSED_PAD src0_sel:BYTE_3 src1_sel:DWORD
                                        ; implicit-def: $vgpr0
; %bb.4095:                             ;   in Loop: Header=BB6_3218 Depth=4
	s_andn2_saveexec_b64 s[34:35], vcc
; %bb.4096:                             ;   in Loop: Header=BB6_3218 Depth=4
	v_cmp_lt_i32_e32 vcc, -1, v0
	v_mov_b32_e32 v0, 0x7c
	v_cndmask_b32_e32 v35, -4, v0, vcc
; %bb.4097:                             ;   in Loop: Header=BB6_3218 Depth=4
	s_or_b64 exec, exec, s[34:35]
.LBB6_4098:                             ;   in Loop: Header=BB6_3218 Depth=4
	s_or_b64 exec, exec, s[28:29]
	buffer_load_dword v0, off, s[0:3], s33 offset:240 ; 4-byte Folded Reload
	buffer_load_dword v1, off, s[0:3], s33 offset:244 ; 4-byte Folded Reload
	s_waitcnt vmcnt(0)
	v_mov_b32_e32 v1, 0
	v_mov_b32_e32 v27, v0
	v_cmp_ne_u16_e32 vcc, 0, v27
	v_mov_b32_e32 v0, 0
	s_and_saveexec_b64 s[28:29], vcc
	s_cbranch_execz .LBB6_4106
; %bb.4099:                             ;   in Loop: Header=BB6_3218 Depth=4
	v_cmp_ne_u16_e32 vcc, s80, v27
	v_bfrev_b32_e32 v1, 1
	s_and_saveexec_b64 s[34:35], vcc
	s_cbranch_execz .LBB6_4105
; %bb.4100:                             ;   in Loop: Header=BB6_3218 Depth=4
	v_and_b32_e32 v1, 0x7c, v27
	v_and_b32_e32 v2, 3, v27
	v_cmp_ne_u32_e32 vcc, s81, v1
                                        ; implicit-def: $vgpr1
	s_and_saveexec_b64 s[36:37], vcc
	s_xor_b64 s[36:37], exec, s[36:37]
	s_cbranch_execz .LBB6_4102
; %bb.4101:                             ;   in Loop: Header=BB6_3218 Depth=4
	buffer_load_dword v38, off, s[0:3], s33 offset:240 ; 4-byte Folded Reload
	buffer_load_dword v39, off, s[0:3], s33 offset:244 ; 4-byte Folded Reload
	v_ffbh_u32_e32 v27, v2
	v_min_u32_e32 v27, 32, v27
	s_waitcnt vmcnt(0)
	v_mov_b32_e32 v39, v34
	v_subrev_u32_e32 v33, 29, v27
	v_sub_u32_e32 v27, 30, v27
	v_and_b32_e32 v1, 0xff, v38
	v_bfe_u32 v1, v1, 2, 5
	v_lshlrev_b64 v[36:37], v33, v[38:39]
	v_cmp_eq_u32_e32 vcc, 0, v1
	v_and_b32_e32 v33, 3, v36
	v_cndmask_b32_e32 v1, v1, v27, vcc
	v_and_b32_sdwa v27, sext(v38), s82 dst_sel:DWORD dst_unused:UNUSED_PAD src0_sel:WORD_0 src1_sel:DWORD
	v_cndmask_b32_e32 v2, v2, v33, vcc
	v_lshl_add_u32 v1, v1, 23, v27
	v_lshl_or_b32 v1, v2, 21, v1
	v_add_u32_e32 v1, 0x38000000, v1
                                        ; implicit-def: $vgpr27
                                        ; implicit-def: $vgpr2
	buffer_store_dword v27, off, s[0:3], s33 offset:240 ; 4-byte Folded Spill
	s_nop 0
	buffer_store_dword v28, off, s[0:3], s33 offset:244 ; 4-byte Folded Spill
.LBB6_4102:                             ;   in Loop: Header=BB6_3218 Depth=4
	s_andn2_saveexec_b64 s[36:37], s[36:37]
	s_cbranch_execz .LBB6_4104
; %bb.4103:                             ;   in Loop: Header=BB6_3218 Depth=4
	buffer_load_dword v36, off, s[0:3], s33 offset:240 ; 4-byte Folded Reload
	buffer_load_dword v37, off, s[0:3], s33 offset:244 ; 4-byte Folded Reload
	v_mov_b32_e32 v1, 0xff800000
	v_mov_b32_e32 v27, 0x7f800000
	s_waitcnt vmcnt(1)
	v_cmp_lt_i16_e32 vcc, -1, v36
	v_cndmask_b32_e32 v1, v1, v27, vcc
	v_cmp_eq_u32_e32 vcc, 0, v2
	v_mov_b32_e32 v2, 0x7f800001
	v_cndmask_b32_e32 v1, v2, v1, vcc
.LBB6_4104:                             ;   in Loop: Header=BB6_3218 Depth=4
	s_or_b64 exec, exec, s[36:37]
.LBB6_4105:                             ;   in Loop: Header=BB6_3218 Depth=4
	s_or_b64 exec, exec, s[34:35]
.LBB6_4106:                             ;   in Loop: Header=BB6_3218 Depth=4
	s_or_b64 exec, exec, s[28:29]
	buffer_load_dword v36, off, s[0:3], s33 offset:232 ; 4-byte Folded Reload
	buffer_load_dword v37, off, s[0:3], s33 offset:236 ; 4-byte Folded Reload
	s_waitcnt vmcnt(1)
	v_mov_b32_e32 v27, v36
	v_cmp_ne_u16_e32 vcc, 0, v27
	s_and_saveexec_b64 s[28:29], vcc
	s_cbranch_execz .LBB6_4114
; %bb.4107:                             ;   in Loop: Header=BB6_3218 Depth=4
	v_cmp_ne_u16_e32 vcc, s80, v27
	v_bfrev_b32_e32 v0, 1
	s_and_saveexec_b64 s[34:35], vcc
	s_cbranch_execz .LBB6_4113
; %bb.4108:                             ;   in Loop: Header=BB6_3218 Depth=4
	v_and_b32_e32 v0, 0x7c, v27
	v_and_b32_e32 v2, 3, v27
	v_cmp_ne_u32_e32 vcc, s81, v0
                                        ; implicit-def: $vgpr0
	s_and_saveexec_b64 s[36:37], vcc
	s_xor_b64 s[36:37], exec, s[36:37]
	s_cbranch_execz .LBB6_4110
; %bb.4109:                             ;   in Loop: Header=BB6_3218 Depth=4
	buffer_load_dword v38, off, s[0:3], s33 offset:232 ; 4-byte Folded Reload
	buffer_load_dword v39, off, s[0:3], s33 offset:236 ; 4-byte Folded Reload
	v_ffbh_u32_e32 v27, v2
	v_min_u32_e32 v27, 32, v27
	s_waitcnt vmcnt(0)
	v_mov_b32_e32 v39, v34
	v_subrev_u32_e32 v33, 29, v27
	v_sub_u32_e32 v27, 30, v27
	v_and_b32_e32 v0, 0xff, v38
	v_bfe_u32 v0, v0, 2, 5
	v_lshlrev_b64 v[36:37], v33, v[38:39]
	v_cmp_eq_u32_e32 vcc, 0, v0
	v_and_b32_e32 v33, 3, v36
	v_cndmask_b32_e32 v0, v0, v27, vcc
	v_and_b32_sdwa v27, sext(v38), s82 dst_sel:DWORD dst_unused:UNUSED_PAD src0_sel:WORD_0 src1_sel:DWORD
	v_cndmask_b32_e32 v2, v2, v33, vcc
	v_lshl_add_u32 v0, v0, 23, v27
	v_lshl_or_b32 v0, v2, 21, v0
	v_add_u32_e32 v0, 0x38000000, v0
                                        ; implicit-def: $vgpr27
                                        ; implicit-def: $vgpr2
	buffer_store_dword v27, off, s[0:3], s33 offset:232 ; 4-byte Folded Spill
	s_nop 0
	buffer_store_dword v28, off, s[0:3], s33 offset:236 ; 4-byte Folded Spill
.LBB6_4110:                             ;   in Loop: Header=BB6_3218 Depth=4
	s_andn2_saveexec_b64 s[36:37], s[36:37]
	s_cbranch_execz .LBB6_4112
; %bb.4111:                             ;   in Loop: Header=BB6_3218 Depth=4
	buffer_load_dword v36, off, s[0:3], s33 offset:232 ; 4-byte Folded Reload
	buffer_load_dword v37, off, s[0:3], s33 offset:236 ; 4-byte Folded Reload
	v_mov_b32_e32 v0, 0xff800000
	v_mov_b32_e32 v27, 0x7f800000
	s_waitcnt vmcnt(1)
	v_cmp_lt_i16_e32 vcc, -1, v36
	v_cndmask_b32_e32 v0, v0, v27, vcc
	v_cmp_eq_u32_e32 vcc, 0, v2
	v_mov_b32_e32 v2, 0x7f800001
	v_cndmask_b32_e32 v0, v2, v0, vcc
.LBB6_4112:                             ;   in Loop: Header=BB6_3218 Depth=4
	s_or_b64 exec, exec, s[36:37]
.LBB6_4113:                             ;   in Loop: Header=BB6_3218 Depth=4
	s_or_b64 exec, exec, s[34:35]
.LBB6_4114:                             ;   in Loop: Header=BB6_3218 Depth=4
	s_or_b64 exec, exec, s[28:29]
	v_mul_f32_e32 v0, v1, v0
	v_and_b32_e32 v1, 0x7f800000, v0
	v_mov_b32_e32 v2, v34
	v_cmp_ne_u64_e32 vcc, s[76:77], v[1:2]
	v_and_b32_e32 v33, 0x7fffff, v0
                                        ; implicit-def: $vgpr36
	s_and_saveexec_b64 s[28:29], vcc
	s_xor_b64 s[34:35], exec, s[28:29]
	s_cbranch_execz .LBB6_4132
; %bb.4115:                             ;   in Loop: Header=BB6_3218 Depth=4
	v_and_b32_e32 v1, 0x7fffffff, v0
	v_mov_b32_e32 v2, v34
	v_cmp_gt_u64_e32 vcc, s[78:79], v[1:2]
	v_and_b32_sdwa v27, v0, s44 dst_sel:DWORD dst_unused:UNUSED_PAD src0_sel:BYTE_3 src1_sel:DWORD
                                        ; implicit-def: $vgpr36
	s_and_saveexec_b64 s[28:29], vcc
	s_xor_b64 s[36:37], exec, s[28:29]
	s_cbranch_execz .LBB6_4129
; %bb.4116:                             ;   in Loop: Header=BB6_3218 Depth=4
	v_cmp_ne_u32_e32 vcc, 0, v0
	v_mov_b32_e32 v36, 0
	s_and_saveexec_b64 s[38:39], vcc
	s_cbranch_execz .LBB6_4128
; %bb.4117:                             ;   in Loop: Header=BB6_3218 Depth=4
	v_bfe_u32 v36, v0, 23, 8
	v_cmp_gt_u32_e64 s[28:29], s45, v36
	v_sub_u32_e32 v0, 0x71, v36
	v_cmp_eq_u32_e32 vcc, 0, v36
	v_cndmask_b32_e64 v0, 0, v0, s[28:29]
	v_mov_b32_e32 v2, 0x70
	s_waitcnt vmcnt(0)
	v_cndmask_b32_e32 v37, v0, v2, vcc
	v_add_u32_e32 v2, 21, v37
	v_or_b32_e32 v1, 0x800000, v33
	v_lshlrev_b64 v[38:39], v2, -1
	v_cndmask_b32_e32 v0, v1, v33, vcc
	v_mov_b32_e32 v1, v34
	v_add_u32_e32 v2, 20, v37
	v_bfi_b32 v38, v38, 0, v0
	v_lshlrev_b64 v[48:49], v2, 1
	v_lshrrev_b64 v[0:1], v37, v[0:1]
	v_bfi_b32 v39, v39, 0, 0
	v_cmp_eq_u64_e64 s[28:29], v[38:39], v[48:49]
	v_mov_b32_e32 v2, v1
	v_mov_b32_e32 v1, v0
	s_and_saveexec_b64 s[48:49], s[28:29]
; %bb.4118:                             ;   in Loop: Header=BB6_3218 Depth=4
	v_bfe_u32 v1, v0, 21, 1
	v_add_co_u32_e64 v1, s[28:29], v0, v1
	v_add_co_u32_e64 v1, s[28:29], -1, v1
; %bb.4119:                             ;   in Loop: Header=BB6_3218 Depth=4
	s_or_b64 exec, exec, s[48:49]
	v_add_u32_e32 v2, 0xffffff81, v36
	v_mov_b32_e32 v33, 0xffffff82
	v_cndmask_b32_e32 v2, v2, v33, vcc
	v_lshrrev_b32_e32 v33, 23, v0
	v_add3_u32 v37, v37, v2, v33
	v_add_u32_e32 v36, 14, v37
	v_and_b32_e32 v1, 0x1fffff, v1
	v_add_u32_e32 v33, v1, v0
	v_cmp_ne_u32_e32 vcc, 0, v36
                                        ; implicit-def: $vgpr0_vgpr1
                                        ; implicit-def: $vgpr2
	s_and_saveexec_b64 s[28:29], vcc
	s_xor_b64 s[28:29], exec, s[28:29]
; %bb.4120:                             ;   in Loop: Header=BB6_3218 Depth=4
	v_cmp_lt_u64_e32 vcc, s[88:89], v[33:34]
	v_add_u32_e32 v0, 15, v37
	v_cndmask_b32_e32 v2, v36, v0, vcc
	v_cndmask_b32_e64 v0, 0, 1, vcc
	v_lshrrev_b64 v[0:1], v0, v[33:34]
; %bb.4121:                             ;   in Loop: Header=BB6_3218 Depth=4
	s_or_saveexec_b64 s[28:29], s[28:29]
	buffer_load_dword v48, off, s[0:3], s33 offset:92 ; 4-byte Folded Reload
	buffer_load_dword v49, off, s[0:3], s33 offset:96 ; 4-byte Folded Reload
	s_xor_b64 exec, exec, s[28:29]
; %bb.4122:                             ;   in Loop: Header=BB6_3218 Depth=4
	v_mov_b32_e32 v0, v33
	v_mov_b32_e32 v1, v34
	v_bfe_u32 v2, v33, 23, 1
; %bb.4123:                             ;   in Loop: Header=BB6_3218 Depth=4
	s_or_b64 exec, exec, s[28:29]
	v_lshrrev_b64 v[0:1], 21, v[0:1]
	v_cmp_gt_i32_e32 vcc, 32, v2
	v_cndmask_b32_e32 v1, 0, v1, vcc
	v_cndmask_b32_e32 v0, 3, v0, vcc
	v_cmp_ne_u64_e32 vcc, 0, v[0:1]
	v_cmp_ne_u32_e64 s[28:29], 0, v2
	s_or_b64 s[28:29], s[28:29], vcc
                                        ; implicit-def: $vgpr36
	s_and_saveexec_b64 vcc, s[28:29]
	s_xor_b64 s[28:29], exec, vcc
; %bb.4124:                             ;   in Loop: Header=BB6_3218 Depth=4
	v_min_i32_e32 v1, 31, v2
	v_lshl_or_b32 v1, v1, 2, v27
	v_and_or_b32 v36, v0, 3, v1
                                        ; implicit-def: $vgpr27
; %bb.4125:                             ;   in Loop: Header=BB6_3218 Depth=4
	s_andn2_saveexec_b64 s[28:29], s[28:29]
; %bb.4126:                             ;   in Loop: Header=BB6_3218 Depth=4
	v_mov_b32_e32 v36, v27
; %bb.4127:                             ;   in Loop: Header=BB6_3218 Depth=4
	s_or_b64 exec, exec, s[28:29]
.LBB6_4128:                             ;   in Loop: Header=BB6_3218 Depth=4
	s_or_b64 exec, exec, s[38:39]
                                        ; implicit-def: $vgpr27
.LBB6_4129:                             ;   in Loop: Header=BB6_3218 Depth=4
	s_andn2_saveexec_b64 s[28:29], s[36:37]
; %bb.4130:                             ;   in Loop: Header=BB6_3218 Depth=4
	v_or_b32_e32 v36, 0x7b, v27
; %bb.4131:                             ;   in Loop: Header=BB6_3218 Depth=4
	s_or_b64 exec, exec, s[28:29]
                                        ; implicit-def: $vgpr0
.LBB6_4132:                             ;   in Loop: Header=BB6_3218 Depth=4
	s_andn2_saveexec_b64 s[28:29], s[34:35]
	s_cbranch_execz .LBB6_4138
; %bb.4133:                             ;   in Loop: Header=BB6_3218 Depth=4
	v_cmp_ne_u64_e32 vcc, 0, v[33:34]
                                        ; implicit-def: $vgpr36
	s_and_saveexec_b64 s[34:35], vcc
	s_xor_b64 vcc, exec, s[34:35]
; %bb.4134:                             ;   in Loop: Header=BB6_3218 Depth=4
	v_or_b32_sdwa v36, v0, s83 dst_sel:DWORD dst_unused:UNUSED_PAD src0_sel:BYTE_3 src1_sel:DWORD
                                        ; implicit-def: $vgpr0
; %bb.4135:                             ;   in Loop: Header=BB6_3218 Depth=4
	s_andn2_saveexec_b64 s[34:35], vcc
; %bb.4136:                             ;   in Loop: Header=BB6_3218 Depth=4
	v_cmp_lt_i32_e32 vcc, -1, v0
	v_mov_b32_e32 v0, 0x7c
	v_cndmask_b32_e32 v36, -4, v0, vcc
; %bb.4137:                             ;   in Loop: Header=BB6_3218 Depth=4
	s_or_b64 exec, exec, s[34:35]
.LBB6_4138:                             ;   in Loop: Header=BB6_3218 Depth=4
	s_or_b64 exec, exec, s[28:29]
	buffer_load_dword v0, off, s[0:3], s33 offset:224 ; 4-byte Folded Reload
	buffer_load_dword v1, off, s[0:3], s33 offset:228 ; 4-byte Folded Reload
	s_waitcnt vmcnt(0)
	v_mov_b32_e32 v1, 0
	v_mov_b32_e32 v27, v0
	v_cmp_ne_u16_e32 vcc, 0, v27
	v_mov_b32_e32 v0, 0
	s_and_saveexec_b64 s[28:29], vcc
	s_cbranch_execz .LBB6_4146
; %bb.4139:                             ;   in Loop: Header=BB6_3218 Depth=4
	v_cmp_ne_u16_e32 vcc, s80, v27
	v_bfrev_b32_e32 v1, 1
	s_and_saveexec_b64 s[34:35], vcc
	s_cbranch_execz .LBB6_4145
; %bb.4140:                             ;   in Loop: Header=BB6_3218 Depth=4
	v_and_b32_e32 v1, 0x7c, v27
	v_and_b32_e32 v2, 3, v27
	v_cmp_ne_u32_e32 vcc, s81, v1
                                        ; implicit-def: $vgpr1
	s_and_saveexec_b64 s[36:37], vcc
	s_xor_b64 s[36:37], exec, s[36:37]
	s_cbranch_execz .LBB6_4142
; %bb.4141:                             ;   in Loop: Header=BB6_3218 Depth=4
	buffer_load_dword v49, off, s[0:3], s33 offset:224 ; 4-byte Folded Reload
	buffer_load_dword v50, off, s[0:3], s33 offset:228 ; 4-byte Folded Reload
	v_ffbh_u32_e32 v27, v2
	v_min_u32_e32 v27, 32, v27
	s_waitcnt vmcnt(0)
	v_mov_b32_e32 v50, v34
	v_subrev_u32_e32 v33, 29, v27
	v_sub_u32_e32 v27, 30, v27
	v_and_b32_e32 v1, 0xff, v49
	v_bfe_u32 v1, v1, 2, 5
	v_lshlrev_b64 v[37:38], v33, v[49:50]
	v_cmp_eq_u32_e32 vcc, 0, v1
	v_and_b32_e32 v33, 3, v37
	v_cndmask_b32_e32 v1, v1, v27, vcc
	v_and_b32_sdwa v27, sext(v49), s82 dst_sel:DWORD dst_unused:UNUSED_PAD src0_sel:WORD_0 src1_sel:DWORD
	v_cndmask_b32_e32 v2, v2, v33, vcc
	v_lshl_add_u32 v1, v1, 23, v27
	v_lshl_or_b32 v1, v2, 21, v1
	v_add_u32_e32 v1, 0x38000000, v1
                                        ; implicit-def: $vgpr27
                                        ; implicit-def: $vgpr2
	buffer_store_dword v27, off, s[0:3], s33 offset:224 ; 4-byte Folded Spill
	s_nop 0
	buffer_store_dword v28, off, s[0:3], s33 offset:228 ; 4-byte Folded Spill
.LBB6_4142:                             ;   in Loop: Header=BB6_3218 Depth=4
	s_andn2_saveexec_b64 s[36:37], s[36:37]
	s_cbranch_execz .LBB6_4144
; %bb.4143:                             ;   in Loop: Header=BB6_3218 Depth=4
	buffer_load_dword v37, off, s[0:3], s33 offset:224 ; 4-byte Folded Reload
	buffer_load_dword v38, off, s[0:3], s33 offset:228 ; 4-byte Folded Reload
	v_mov_b32_e32 v1, 0xff800000
	v_mov_b32_e32 v27, 0x7f800000
	s_waitcnt vmcnt(1)
	v_cmp_lt_i16_e32 vcc, -1, v37
	v_cndmask_b32_e32 v1, v1, v27, vcc
	v_cmp_eq_u32_e32 vcc, 0, v2
	v_mov_b32_e32 v2, 0x7f800001
	v_cndmask_b32_e32 v1, v2, v1, vcc
.LBB6_4144:                             ;   in Loop: Header=BB6_3218 Depth=4
	s_or_b64 exec, exec, s[36:37]
.LBB6_4145:                             ;   in Loop: Header=BB6_3218 Depth=4
	s_or_b64 exec, exec, s[34:35]
.LBB6_4146:                             ;   in Loop: Header=BB6_3218 Depth=4
	s_or_b64 exec, exec, s[28:29]
	buffer_load_dword v37, off, s[0:3], s33 offset:216 ; 4-byte Folded Reload
	buffer_load_dword v38, off, s[0:3], s33 offset:220 ; 4-byte Folded Reload
	s_waitcnt vmcnt(1)
	v_mov_b32_e32 v27, v37
	v_cmp_ne_u16_e32 vcc, 0, v27
	s_and_saveexec_b64 s[28:29], vcc
	s_cbranch_execz .LBB6_4154
; %bb.4147:                             ;   in Loop: Header=BB6_3218 Depth=4
	v_cmp_ne_u16_e32 vcc, s80, v27
	v_bfrev_b32_e32 v0, 1
	s_and_saveexec_b64 s[34:35], vcc
	s_cbranch_execz .LBB6_4153
; %bb.4148:                             ;   in Loop: Header=BB6_3218 Depth=4
	v_and_b32_e32 v0, 0x7c, v27
	v_and_b32_e32 v2, 3, v27
	v_cmp_ne_u32_e32 vcc, s81, v0
                                        ; implicit-def: $vgpr0
	s_and_saveexec_b64 s[36:37], vcc
	s_xor_b64 s[36:37], exec, s[36:37]
	s_cbranch_execz .LBB6_4150
; %bb.4149:                             ;   in Loop: Header=BB6_3218 Depth=4
	buffer_load_dword v49, off, s[0:3], s33 offset:216 ; 4-byte Folded Reload
	buffer_load_dword v50, off, s[0:3], s33 offset:220 ; 4-byte Folded Reload
	v_ffbh_u32_e32 v27, v2
	v_min_u32_e32 v27, 32, v27
	s_waitcnt vmcnt(0)
	v_mov_b32_e32 v50, v34
	v_subrev_u32_e32 v33, 29, v27
	v_sub_u32_e32 v27, 30, v27
	v_and_b32_e32 v0, 0xff, v49
	v_bfe_u32 v0, v0, 2, 5
	v_lshlrev_b64 v[37:38], v33, v[49:50]
	v_cmp_eq_u32_e32 vcc, 0, v0
	v_and_b32_e32 v33, 3, v37
	v_cndmask_b32_e32 v0, v0, v27, vcc
	v_and_b32_sdwa v27, sext(v49), s82 dst_sel:DWORD dst_unused:UNUSED_PAD src0_sel:WORD_0 src1_sel:DWORD
	v_cndmask_b32_e32 v2, v2, v33, vcc
	v_lshl_add_u32 v0, v0, 23, v27
	v_lshl_or_b32 v0, v2, 21, v0
	v_add_u32_e32 v0, 0x38000000, v0
                                        ; implicit-def: $vgpr27
                                        ; implicit-def: $vgpr2
	buffer_store_dword v27, off, s[0:3], s33 offset:216 ; 4-byte Folded Spill
	s_nop 0
	buffer_store_dword v28, off, s[0:3], s33 offset:220 ; 4-byte Folded Spill
.LBB6_4150:                             ;   in Loop: Header=BB6_3218 Depth=4
	s_andn2_saveexec_b64 s[36:37], s[36:37]
	s_cbranch_execz .LBB6_4152
; %bb.4151:                             ;   in Loop: Header=BB6_3218 Depth=4
	buffer_load_dword v37, off, s[0:3], s33 offset:216 ; 4-byte Folded Reload
	buffer_load_dword v38, off, s[0:3], s33 offset:220 ; 4-byte Folded Reload
	v_mov_b32_e32 v0, 0xff800000
	v_mov_b32_e32 v27, 0x7f800000
	s_waitcnt vmcnt(1)
	v_cmp_lt_i16_e32 vcc, -1, v37
	v_cndmask_b32_e32 v0, v0, v27, vcc
	v_cmp_eq_u32_e32 vcc, 0, v2
	v_mov_b32_e32 v2, 0x7f800001
	v_cndmask_b32_e32 v0, v2, v0, vcc
.LBB6_4152:                             ;   in Loop: Header=BB6_3218 Depth=4
	s_or_b64 exec, exec, s[36:37]
.LBB6_4153:                             ;   in Loop: Header=BB6_3218 Depth=4
	s_or_b64 exec, exec, s[34:35]
.LBB6_4154:                             ;   in Loop: Header=BB6_3218 Depth=4
	s_or_b64 exec, exec, s[28:29]
	v_mul_f32_e32 v0, v1, v0
	v_and_b32_e32 v1, 0x7f800000, v0
	v_mov_b32_e32 v2, v34
	v_cmp_ne_u64_e32 vcc, s[76:77], v[1:2]
	v_and_b32_e32 v33, 0x7fffff, v0
                                        ; implicit-def: $vgpr37
	s_and_saveexec_b64 s[28:29], vcc
	s_xor_b64 s[34:35], exec, s[28:29]
	s_cbranch_execz .LBB6_4172
; %bb.4155:                             ;   in Loop: Header=BB6_3218 Depth=4
	v_and_b32_e32 v1, 0x7fffffff, v0
	v_mov_b32_e32 v2, v34
	v_cmp_gt_u64_e32 vcc, s[78:79], v[1:2]
	v_and_b32_sdwa v27, v0, s44 dst_sel:DWORD dst_unused:UNUSED_PAD src0_sel:BYTE_3 src1_sel:DWORD
                                        ; implicit-def: $vgpr37
	s_and_saveexec_b64 s[28:29], vcc
	s_xor_b64 s[36:37], exec, s[28:29]
	s_cbranch_execz .LBB6_4169
; %bb.4156:                             ;   in Loop: Header=BB6_3218 Depth=4
	v_cmp_ne_u32_e32 vcc, 0, v0
	v_mov_b32_e32 v37, 0
	s_and_saveexec_b64 s[38:39], vcc
	s_cbranch_execz .LBB6_4168
; %bb.4157:                             ;   in Loop: Header=BB6_3218 Depth=4
	v_bfe_u32 v37, v0, 23, 8
	v_cmp_gt_u32_e64 s[28:29], s45, v37
	v_sub_u32_e32 v0, 0x71, v37
	v_cmp_eq_u32_e32 vcc, 0, v37
	v_cndmask_b32_e64 v0, 0, v0, s[28:29]
	v_mov_b32_e32 v2, 0x70
	s_waitcnt vmcnt(0)
	v_cndmask_b32_e32 v38, v0, v2, vcc
	v_add_u32_e32 v2, 21, v38
	v_or_b32_e32 v1, 0x800000, v33
	v_lshlrev_b64 v[48:49], v2, -1
	v_cndmask_b32_e32 v0, v1, v33, vcc
	v_mov_b32_e32 v1, v34
	v_add_u32_e32 v2, 20, v38
	v_bfi_b32 v48, v48, 0, v0
	v_lshlrev_b64 v[50:51], v2, 1
	v_lshrrev_b64 v[0:1], v38, v[0:1]
	v_bfi_b32 v49, v49, 0, 0
	v_cmp_eq_u64_e64 s[28:29], v[48:49], v[50:51]
	v_mov_b32_e32 v2, v1
	v_mov_b32_e32 v1, v0
	s_and_saveexec_b64 s[48:49], s[28:29]
; %bb.4158:                             ;   in Loop: Header=BB6_3218 Depth=4
	v_bfe_u32 v1, v0, 21, 1
	v_add_co_u32_e64 v1, s[28:29], v0, v1
	v_add_co_u32_e64 v1, s[28:29], -1, v1
; %bb.4159:                             ;   in Loop: Header=BB6_3218 Depth=4
	s_or_b64 exec, exec, s[48:49]
	v_add_u32_e32 v2, 0xffffff81, v37
	v_mov_b32_e32 v33, 0xffffff82
	v_cndmask_b32_e32 v2, v2, v33, vcc
	v_lshrrev_b32_e32 v33, 23, v0
	v_add3_u32 v38, v38, v2, v33
	v_add_u32_e32 v37, 14, v38
	v_and_b32_e32 v1, 0x1fffff, v1
	v_add_u32_e32 v33, v1, v0
	v_cmp_ne_u32_e32 vcc, 0, v37
                                        ; implicit-def: $vgpr0_vgpr1
                                        ; implicit-def: $vgpr2
	s_and_saveexec_b64 s[28:29], vcc
	s_xor_b64 s[28:29], exec, s[28:29]
; %bb.4160:                             ;   in Loop: Header=BB6_3218 Depth=4
	v_cmp_lt_u64_e32 vcc, s[88:89], v[33:34]
	v_add_u32_e32 v0, 15, v38
	v_cndmask_b32_e32 v2, v37, v0, vcc
	v_cndmask_b32_e64 v0, 0, 1, vcc
	v_lshrrev_b64 v[0:1], v0, v[33:34]
; %bb.4161:                             ;   in Loop: Header=BB6_3218 Depth=4
	s_or_saveexec_b64 s[28:29], s[28:29]
	buffer_load_dword v48, off, s[0:3], s33 offset:92 ; 4-byte Folded Reload
	buffer_load_dword v49, off, s[0:3], s33 offset:96 ; 4-byte Folded Reload
	s_xor_b64 exec, exec, s[28:29]
; %bb.4162:                             ;   in Loop: Header=BB6_3218 Depth=4
	v_mov_b32_e32 v0, v33
	v_mov_b32_e32 v1, v34
	v_bfe_u32 v2, v33, 23, 1
; %bb.4163:                             ;   in Loop: Header=BB6_3218 Depth=4
	s_or_b64 exec, exec, s[28:29]
	v_lshrrev_b64 v[0:1], 21, v[0:1]
	v_cmp_gt_i32_e32 vcc, 32, v2
	v_cndmask_b32_e32 v1, 0, v1, vcc
	v_cndmask_b32_e32 v0, 3, v0, vcc
	v_cmp_ne_u64_e32 vcc, 0, v[0:1]
	v_cmp_ne_u32_e64 s[28:29], 0, v2
	s_or_b64 s[28:29], s[28:29], vcc
                                        ; implicit-def: $vgpr37
	s_and_saveexec_b64 vcc, s[28:29]
	s_xor_b64 s[28:29], exec, vcc
; %bb.4164:                             ;   in Loop: Header=BB6_3218 Depth=4
	v_min_i32_e32 v1, 31, v2
	v_lshl_or_b32 v1, v1, 2, v27
	v_and_or_b32 v37, v0, 3, v1
                                        ; implicit-def: $vgpr27
; %bb.4165:                             ;   in Loop: Header=BB6_3218 Depth=4
	s_andn2_saveexec_b64 s[28:29], s[28:29]
; %bb.4166:                             ;   in Loop: Header=BB6_3218 Depth=4
	v_mov_b32_e32 v37, v27
; %bb.4167:                             ;   in Loop: Header=BB6_3218 Depth=4
	s_or_b64 exec, exec, s[28:29]
.LBB6_4168:                             ;   in Loop: Header=BB6_3218 Depth=4
	s_or_b64 exec, exec, s[38:39]
                                        ; implicit-def: $vgpr27
.LBB6_4169:                             ;   in Loop: Header=BB6_3218 Depth=4
	s_andn2_saveexec_b64 s[28:29], s[36:37]
; %bb.4170:                             ;   in Loop: Header=BB6_3218 Depth=4
	v_or_b32_e32 v37, 0x7b, v27
; %bb.4171:                             ;   in Loop: Header=BB6_3218 Depth=4
	s_or_b64 exec, exec, s[28:29]
                                        ; implicit-def: $vgpr0
.LBB6_4172:                             ;   in Loop: Header=BB6_3218 Depth=4
	s_andn2_saveexec_b64 s[28:29], s[34:35]
	s_cbranch_execz .LBB6_4178
; %bb.4173:                             ;   in Loop: Header=BB6_3218 Depth=4
	v_cmp_ne_u64_e32 vcc, 0, v[33:34]
                                        ; implicit-def: $vgpr37
	s_and_saveexec_b64 s[34:35], vcc
	s_xor_b64 vcc, exec, s[34:35]
; %bb.4174:                             ;   in Loop: Header=BB6_3218 Depth=4
	v_or_b32_sdwa v37, v0, s83 dst_sel:DWORD dst_unused:UNUSED_PAD src0_sel:BYTE_3 src1_sel:DWORD
                                        ; implicit-def: $vgpr0
; %bb.4175:                             ;   in Loop: Header=BB6_3218 Depth=4
	s_andn2_saveexec_b64 s[34:35], vcc
; %bb.4176:                             ;   in Loop: Header=BB6_3218 Depth=4
	v_cmp_lt_i32_e32 vcc, -1, v0
	v_mov_b32_e32 v0, 0x7c
	v_cndmask_b32_e32 v37, -4, v0, vcc
; %bb.4177:                             ;   in Loop: Header=BB6_3218 Depth=4
	s_or_b64 exec, exec, s[34:35]
.LBB6_4178:                             ;   in Loop: Header=BB6_3218 Depth=4
	s_or_b64 exec, exec, s[28:29]
	buffer_load_dword v0, off, s[0:3], s33 offset:208 ; 4-byte Folded Reload
	buffer_load_dword v1, off, s[0:3], s33 offset:212 ; 4-byte Folded Reload
	s_waitcnt vmcnt(0)
	v_mov_b32_e32 v1, 0
	v_mov_b32_e32 v27, v0
	v_cmp_ne_u16_e32 vcc, 0, v27
	v_mov_b32_e32 v0, 0
	s_and_saveexec_b64 s[28:29], vcc
	s_cbranch_execz .LBB6_4186
; %bb.4179:                             ;   in Loop: Header=BB6_3218 Depth=4
	v_cmp_ne_u16_e32 vcc, s80, v27
	v_bfrev_b32_e32 v1, 1
	s_and_saveexec_b64 s[34:35], vcc
	s_cbranch_execz .LBB6_4185
; %bb.4180:                             ;   in Loop: Header=BB6_3218 Depth=4
	v_and_b32_e32 v1, 0x7c, v27
	v_and_b32_e32 v2, 3, v27
	v_cmp_ne_u32_e32 vcc, s81, v1
                                        ; implicit-def: $vgpr1
	s_and_saveexec_b64 s[36:37], vcc
	s_xor_b64 s[36:37], exec, s[36:37]
	s_cbranch_execz .LBB6_4182
; %bb.4181:                             ;   in Loop: Header=BB6_3218 Depth=4
	buffer_load_dword v49, off, s[0:3], s33 offset:208 ; 4-byte Folded Reload
	buffer_load_dword v50, off, s[0:3], s33 offset:212 ; 4-byte Folded Reload
	v_ffbh_u32_e32 v27, v2
	v_min_u32_e32 v27, 32, v27
	s_waitcnt vmcnt(0)
	v_mov_b32_e32 v50, v34
	v_subrev_u32_e32 v33, 29, v27
	v_sub_u32_e32 v27, 30, v27
	v_and_b32_e32 v1, 0xff, v49
	v_bfe_u32 v1, v1, 2, 5
	v_lshlrev_b64 v[38:39], v33, v[49:50]
	v_cmp_eq_u32_e32 vcc, 0, v1
	v_and_b32_e32 v33, 3, v38
	v_cndmask_b32_e32 v1, v1, v27, vcc
	v_and_b32_sdwa v27, sext(v49), s82 dst_sel:DWORD dst_unused:UNUSED_PAD src0_sel:WORD_0 src1_sel:DWORD
	v_cndmask_b32_e32 v2, v2, v33, vcc
	v_lshl_add_u32 v1, v1, 23, v27
	v_lshl_or_b32 v1, v2, 21, v1
	v_add_u32_e32 v1, 0x38000000, v1
                                        ; implicit-def: $vgpr27
                                        ; implicit-def: $vgpr2
	buffer_store_dword v27, off, s[0:3], s33 offset:208 ; 4-byte Folded Spill
	s_nop 0
	buffer_store_dword v28, off, s[0:3], s33 offset:212 ; 4-byte Folded Spill
.LBB6_4182:                             ;   in Loop: Header=BB6_3218 Depth=4
	s_andn2_saveexec_b64 s[36:37], s[36:37]
	s_cbranch_execz .LBB6_4184
; %bb.4183:                             ;   in Loop: Header=BB6_3218 Depth=4
	buffer_load_dword v38, off, s[0:3], s33 offset:208 ; 4-byte Folded Reload
	buffer_load_dword v39, off, s[0:3], s33 offset:212 ; 4-byte Folded Reload
	v_mov_b32_e32 v1, 0xff800000
	v_mov_b32_e32 v27, 0x7f800000
	s_waitcnt vmcnt(1)
	v_cmp_lt_i16_e32 vcc, -1, v38
	v_cndmask_b32_e32 v1, v1, v27, vcc
	v_cmp_eq_u32_e32 vcc, 0, v2
	v_mov_b32_e32 v2, 0x7f800001
	v_cndmask_b32_e32 v1, v2, v1, vcc
.LBB6_4184:                             ;   in Loop: Header=BB6_3218 Depth=4
	s_or_b64 exec, exec, s[36:37]
.LBB6_4185:                             ;   in Loop: Header=BB6_3218 Depth=4
	s_or_b64 exec, exec, s[34:35]
.LBB6_4186:                             ;   in Loop: Header=BB6_3218 Depth=4
	s_or_b64 exec, exec, s[28:29]
	buffer_load_dword v38, off, s[0:3], s33 offset:200 ; 4-byte Folded Reload
	buffer_load_dword v39, off, s[0:3], s33 offset:204 ; 4-byte Folded Reload
	s_waitcnt vmcnt(1)
	v_mov_b32_e32 v27, v38
	v_cmp_ne_u16_e32 vcc, 0, v27
	s_and_saveexec_b64 s[28:29], vcc
	s_cbranch_execz .LBB6_4194
; %bb.4187:                             ;   in Loop: Header=BB6_3218 Depth=4
	v_cmp_ne_u16_e32 vcc, s80, v27
	v_bfrev_b32_e32 v0, 1
	s_and_saveexec_b64 s[34:35], vcc
	s_cbranch_execz .LBB6_4193
; %bb.4188:                             ;   in Loop: Header=BB6_3218 Depth=4
	v_and_b32_e32 v0, 0x7c, v27
	v_and_b32_e32 v2, 3, v27
	v_cmp_ne_u32_e32 vcc, s81, v0
                                        ; implicit-def: $vgpr0
	s_and_saveexec_b64 s[36:37], vcc
	s_xor_b64 s[36:37], exec, s[36:37]
	s_cbranch_execz .LBB6_4190
; %bb.4189:                             ;   in Loop: Header=BB6_3218 Depth=4
	buffer_load_dword v49, off, s[0:3], s33 offset:200 ; 4-byte Folded Reload
	buffer_load_dword v50, off, s[0:3], s33 offset:204 ; 4-byte Folded Reload
	v_ffbh_u32_e32 v27, v2
	v_min_u32_e32 v27, 32, v27
	s_waitcnt vmcnt(0)
	v_mov_b32_e32 v50, v34
	v_subrev_u32_e32 v33, 29, v27
	v_sub_u32_e32 v27, 30, v27
	v_and_b32_e32 v0, 0xff, v49
	v_bfe_u32 v0, v0, 2, 5
	v_lshlrev_b64 v[38:39], v33, v[49:50]
	v_cmp_eq_u32_e32 vcc, 0, v0
	v_and_b32_e32 v33, 3, v38
	v_cndmask_b32_e32 v0, v0, v27, vcc
	v_and_b32_sdwa v27, sext(v49), s82 dst_sel:DWORD dst_unused:UNUSED_PAD src0_sel:WORD_0 src1_sel:DWORD
	v_cndmask_b32_e32 v2, v2, v33, vcc
	v_lshl_add_u32 v0, v0, 23, v27
	v_lshl_or_b32 v0, v2, 21, v0
	v_add_u32_e32 v0, 0x38000000, v0
                                        ; implicit-def: $vgpr27
                                        ; implicit-def: $vgpr2
	buffer_store_dword v27, off, s[0:3], s33 offset:200 ; 4-byte Folded Spill
	s_nop 0
	buffer_store_dword v28, off, s[0:3], s33 offset:204 ; 4-byte Folded Spill
.LBB6_4190:                             ;   in Loop: Header=BB6_3218 Depth=4
	s_andn2_saveexec_b64 s[36:37], s[36:37]
	s_cbranch_execz .LBB6_4192
; %bb.4191:                             ;   in Loop: Header=BB6_3218 Depth=4
	buffer_load_dword v38, off, s[0:3], s33 offset:200 ; 4-byte Folded Reload
	buffer_load_dword v39, off, s[0:3], s33 offset:204 ; 4-byte Folded Reload
	v_mov_b32_e32 v0, 0xff800000
	v_mov_b32_e32 v27, 0x7f800000
	s_waitcnt vmcnt(1)
	v_cmp_lt_i16_e32 vcc, -1, v38
	v_cndmask_b32_e32 v0, v0, v27, vcc
	v_cmp_eq_u32_e32 vcc, 0, v2
	v_mov_b32_e32 v2, 0x7f800001
	v_cndmask_b32_e32 v0, v2, v0, vcc
.LBB6_4192:                             ;   in Loop: Header=BB6_3218 Depth=4
	s_or_b64 exec, exec, s[36:37]
.LBB6_4193:                             ;   in Loop: Header=BB6_3218 Depth=4
	s_or_b64 exec, exec, s[34:35]
.LBB6_4194:                             ;   in Loop: Header=BB6_3218 Depth=4
	s_or_b64 exec, exec, s[28:29]
	v_mul_f32_e32 v0, v1, v0
	v_and_b32_e32 v1, 0x7f800000, v0
	v_mov_b32_e32 v2, v34
	v_cmp_ne_u64_e32 vcc, s[76:77], v[1:2]
	v_and_b32_e32 v33, 0x7fffff, v0
                                        ; implicit-def: $vgpr38
	s_and_saveexec_b64 s[28:29], vcc
	s_xor_b64 s[34:35], exec, s[28:29]
	s_cbranch_execz .LBB6_4212
; %bb.4195:                             ;   in Loop: Header=BB6_3218 Depth=4
	v_and_b32_e32 v1, 0x7fffffff, v0
	v_mov_b32_e32 v2, v34
	v_cmp_gt_u64_e32 vcc, s[78:79], v[1:2]
	v_and_b32_sdwa v27, v0, s44 dst_sel:DWORD dst_unused:UNUSED_PAD src0_sel:BYTE_3 src1_sel:DWORD
                                        ; implicit-def: $vgpr38
	s_and_saveexec_b64 s[28:29], vcc
	s_xor_b64 s[36:37], exec, s[28:29]
	s_cbranch_execz .LBB6_4209
; %bb.4196:                             ;   in Loop: Header=BB6_3218 Depth=4
	v_cmp_ne_u32_e32 vcc, 0, v0
	v_mov_b32_e32 v38, 0
	s_and_saveexec_b64 s[38:39], vcc
	s_cbranch_execz .LBB6_4208
; %bb.4197:                             ;   in Loop: Header=BB6_3218 Depth=4
	v_bfe_u32 v38, v0, 23, 8
	v_cmp_gt_u32_e64 s[28:29], s45, v38
	v_sub_u32_e32 v0, 0x71, v38
	v_cmp_eq_u32_e32 vcc, 0, v38
	v_cndmask_b32_e64 v0, 0, v0, s[28:29]
	v_mov_b32_e32 v2, 0x70
	s_waitcnt vmcnt(0)
	v_cndmask_b32_e32 v39, v0, v2, vcc
	v_add_u32_e32 v2, 21, v39
	v_or_b32_e32 v1, 0x800000, v33
	v_lshlrev_b64 v[48:49], v2, -1
	v_cndmask_b32_e32 v0, v1, v33, vcc
	v_mov_b32_e32 v1, v34
	v_add_u32_e32 v2, 20, v39
	v_bfi_b32 v48, v48, 0, v0
	v_lshlrev_b64 v[50:51], v2, 1
	v_lshrrev_b64 v[0:1], v39, v[0:1]
	v_bfi_b32 v49, v49, 0, 0
	v_cmp_eq_u64_e64 s[28:29], v[48:49], v[50:51]
	v_mov_b32_e32 v2, v1
	v_mov_b32_e32 v1, v0
	s_and_saveexec_b64 s[48:49], s[28:29]
; %bb.4198:                             ;   in Loop: Header=BB6_3218 Depth=4
	v_bfe_u32 v1, v0, 21, 1
	v_add_co_u32_e64 v1, s[28:29], v0, v1
	v_add_co_u32_e64 v1, s[28:29], -1, v1
; %bb.4199:                             ;   in Loop: Header=BB6_3218 Depth=4
	s_or_b64 exec, exec, s[48:49]
	v_add_u32_e32 v2, 0xffffff81, v38
	v_mov_b32_e32 v33, 0xffffff82
	v_cndmask_b32_e32 v2, v2, v33, vcc
	v_lshrrev_b32_e32 v33, 23, v0
	v_add3_u32 v39, v39, v2, v33
	v_add_u32_e32 v38, 14, v39
	v_and_b32_e32 v1, 0x1fffff, v1
	v_add_u32_e32 v33, v1, v0
	v_cmp_ne_u32_e32 vcc, 0, v38
                                        ; implicit-def: $vgpr0_vgpr1
                                        ; implicit-def: $vgpr2
	s_and_saveexec_b64 s[28:29], vcc
	s_xor_b64 s[28:29], exec, s[28:29]
; %bb.4200:                             ;   in Loop: Header=BB6_3218 Depth=4
	v_cmp_lt_u64_e32 vcc, s[88:89], v[33:34]
	v_add_u32_e32 v0, 15, v39
	v_cndmask_b32_e32 v2, v38, v0, vcc
	v_cndmask_b32_e64 v0, 0, 1, vcc
	v_lshrrev_b64 v[0:1], v0, v[33:34]
; %bb.4201:                             ;   in Loop: Header=BB6_3218 Depth=4
	s_or_saveexec_b64 s[28:29], s[28:29]
	buffer_load_dword v48, off, s[0:3], s33 offset:92 ; 4-byte Folded Reload
	buffer_load_dword v49, off, s[0:3], s33 offset:96 ; 4-byte Folded Reload
	s_xor_b64 exec, exec, s[28:29]
; %bb.4202:                             ;   in Loop: Header=BB6_3218 Depth=4
	v_mov_b32_e32 v0, v33
	v_mov_b32_e32 v1, v34
	v_bfe_u32 v2, v33, 23, 1
; %bb.4203:                             ;   in Loop: Header=BB6_3218 Depth=4
	s_or_b64 exec, exec, s[28:29]
	v_lshrrev_b64 v[0:1], 21, v[0:1]
	v_cmp_gt_i32_e32 vcc, 32, v2
	v_cndmask_b32_e32 v1, 0, v1, vcc
	v_cndmask_b32_e32 v0, 3, v0, vcc
	v_cmp_ne_u64_e32 vcc, 0, v[0:1]
	v_cmp_ne_u32_e64 s[28:29], 0, v2
	s_or_b64 s[28:29], s[28:29], vcc
                                        ; implicit-def: $vgpr38
	s_and_saveexec_b64 vcc, s[28:29]
	s_xor_b64 s[28:29], exec, vcc
; %bb.4204:                             ;   in Loop: Header=BB6_3218 Depth=4
	v_min_i32_e32 v1, 31, v2
	v_lshl_or_b32 v1, v1, 2, v27
	v_and_or_b32 v38, v0, 3, v1
                                        ; implicit-def: $vgpr27
; %bb.4205:                             ;   in Loop: Header=BB6_3218 Depth=4
	s_andn2_saveexec_b64 s[28:29], s[28:29]
; %bb.4206:                             ;   in Loop: Header=BB6_3218 Depth=4
	v_mov_b32_e32 v38, v27
; %bb.4207:                             ;   in Loop: Header=BB6_3218 Depth=4
	s_or_b64 exec, exec, s[28:29]
.LBB6_4208:                             ;   in Loop: Header=BB6_3218 Depth=4
	s_or_b64 exec, exec, s[38:39]
                                        ; implicit-def: $vgpr27
.LBB6_4209:                             ;   in Loop: Header=BB6_3218 Depth=4
	s_andn2_saveexec_b64 s[28:29], s[36:37]
; %bb.4210:                             ;   in Loop: Header=BB6_3218 Depth=4
	v_or_b32_e32 v38, 0x7b, v27
; %bb.4211:                             ;   in Loop: Header=BB6_3218 Depth=4
	s_or_b64 exec, exec, s[28:29]
                                        ; implicit-def: $vgpr0
.LBB6_4212:                             ;   in Loop: Header=BB6_3218 Depth=4
	s_andn2_saveexec_b64 s[28:29], s[34:35]
	s_cbranch_execz .LBB6_4218
; %bb.4213:                             ;   in Loop: Header=BB6_3218 Depth=4
	v_cmp_ne_u64_e32 vcc, 0, v[33:34]
                                        ; implicit-def: $vgpr38
	s_and_saveexec_b64 s[34:35], vcc
	s_xor_b64 vcc, exec, s[34:35]
; %bb.4214:                             ;   in Loop: Header=BB6_3218 Depth=4
	v_or_b32_sdwa v38, v0, s83 dst_sel:DWORD dst_unused:UNUSED_PAD src0_sel:BYTE_3 src1_sel:DWORD
                                        ; implicit-def: $vgpr0
; %bb.4215:                             ;   in Loop: Header=BB6_3218 Depth=4
	s_andn2_saveexec_b64 s[34:35], vcc
; %bb.4216:                             ;   in Loop: Header=BB6_3218 Depth=4
	v_cmp_lt_i32_e32 vcc, -1, v0
	v_mov_b32_e32 v0, 0x7c
	v_cndmask_b32_e32 v38, -4, v0, vcc
; %bb.4217:                             ;   in Loop: Header=BB6_3218 Depth=4
	s_or_b64 exec, exec, s[34:35]
.LBB6_4218:                             ;   in Loop: Header=BB6_3218 Depth=4
	s_or_b64 exec, exec, s[28:29]
	v_cmp_ne_u16_e32 vcc, 0, v26
	v_mov_b32_e32 v0, 0
	v_mov_b32_e32 v1, 0
	s_and_saveexec_b64 s[28:29], vcc
	s_cbranch_execz .LBB6_4226
; %bb.4219:                             ;   in Loop: Header=BB6_3218 Depth=4
	v_cmp_ne_u16_e32 vcc, s80, v26
	v_bfrev_b32_e32 v1, 1
	s_and_saveexec_b64 s[34:35], vcc
	s_cbranch_execz .LBB6_4225
; %bb.4220:                             ;   in Loop: Header=BB6_3218 Depth=4
	v_and_b32_e32 v1, 0x7c, v26
	v_and_b32_e32 v2, 3, v26
	v_cmp_ne_u32_e32 vcc, s81, v1
                                        ; implicit-def: $vgpr1
	s_and_saveexec_b64 s[36:37], vcc
	s_xor_b64 s[36:37], exec, s[36:37]
	s_cbranch_execz .LBB6_4222
; %bb.4221:                             ;   in Loop: Header=BB6_3218 Depth=4
	v_ffbh_u32_e32 v33, v2
	v_min_u32_e32 v33, 32, v33
	v_mov_b32_e32 v27, v34
	s_waitcnt vmcnt(0)
	v_subrev_u32_e32 v39, 29, v33
	v_lshlrev_b64 v[48:49], v39, v[26:27]
	v_sub_u32_e32 v27, 30, v33
	v_and_b32_e32 v33, 3, v48
	buffer_load_dword v48, off, s[0:3], s33 offset:92 ; 4-byte Folded Reload
	buffer_load_dword v49, off, s[0:3], s33 offset:96 ; 4-byte Folded Reload
	v_and_b32_e32 v1, 0xff, v26
	v_bfe_u32 v1, v1, 2, 5
	v_cmp_eq_u32_e32 vcc, 0, v1
	v_cndmask_b32_e32 v1, v1, v27, vcc
	v_and_b32_sdwa v26, sext(v26), s82 dst_sel:DWORD dst_unused:UNUSED_PAD src0_sel:WORD_0 src1_sel:DWORD
	v_cndmask_b32_e32 v2, v2, v33, vcc
	v_lshl_add_u32 v1, v1, 23, v26
	v_lshl_or_b32 v1, v2, 21, v1
	v_add_u32_e32 v1, 0x38000000, v1
                                        ; implicit-def: $vgpr2
                                        ; implicit-def: $vgpr26
.LBB6_4222:                             ;   in Loop: Header=BB6_3218 Depth=4
	s_andn2_saveexec_b64 s[36:37], s[36:37]
; %bb.4223:                             ;   in Loop: Header=BB6_3218 Depth=4
	v_cmp_lt_i16_e32 vcc, -1, v26
	v_mov_b32_e32 v1, 0xff800000
	v_mov_b32_e32 v26, 0x7f800000
	v_cndmask_b32_e32 v1, v1, v26, vcc
	v_cmp_eq_u32_e32 vcc, 0, v2
	v_mov_b32_e32 v2, 0x7f800001
	v_cndmask_b32_e32 v1, v2, v1, vcc
; %bb.4224:                             ;   in Loop: Header=BB6_3218 Depth=4
	s_or_b64 exec, exec, s[36:37]
.LBB6_4225:                             ;   in Loop: Header=BB6_3218 Depth=4
	s_or_b64 exec, exec, s[34:35]
.LBB6_4226:                             ;   in Loop: Header=BB6_3218 Depth=4
	s_or_b64 exec, exec, s[28:29]
	buffer_load_dword v26, off, s[0:3], s33 offset:192 ; 4-byte Folded Reload
	buffer_load_dword v27, off, s[0:3], s33 offset:196 ; 4-byte Folded Reload
	s_waitcnt vmcnt(1)
	v_cmp_ne_u16_e32 vcc, 0, v26
	s_and_saveexec_b64 s[28:29], vcc
	s_cbranch_execz .LBB6_4234
; %bb.4227:                             ;   in Loop: Header=BB6_3218 Depth=4
	v_cmp_ne_u16_e32 vcc, s80, v26
	v_bfrev_b32_e32 v0, 1
	s_and_saveexec_b64 s[34:35], vcc
	s_cbranch_execz .LBB6_4233
; %bb.4228:                             ;   in Loop: Header=BB6_3218 Depth=4
	v_and_b32_e32 v0, 0x7c, v26
	v_and_b32_e32 v2, 3, v26
	v_cmp_ne_u32_e32 vcc, s81, v0
                                        ; implicit-def: $vgpr0
	s_and_saveexec_b64 s[36:37], vcc
	s_xor_b64 s[36:37], exec, s[36:37]
	s_cbranch_execz .LBB6_4230
; %bb.4229:                             ;   in Loop: Header=BB6_3218 Depth=4
	buffer_load_dword v49, off, s[0:3], s33 offset:192 ; 4-byte Folded Reload
	buffer_load_dword v50, off, s[0:3], s33 offset:196 ; 4-byte Folded Reload
	v_ffbh_u32_e32 v26, v2
	v_min_u32_e32 v33, 32, v26
	s_waitcnt vmcnt(0)
	v_mov_b32_e32 v50, v34
	v_subrev_u32_e32 v26, 29, v33
	v_and_b32_e32 v0, 0xff, v49
	v_lshlrev_b64 v[26:27], v26, v[49:50]
	v_bfe_u32 v0, v0, 2, 5
	v_sub_u32_e32 v27, 30, v33
	v_and_b32_e32 v26, 3, v26
	v_cmp_eq_u32_e32 vcc, 0, v0
	v_cndmask_b32_e32 v0, v0, v27, vcc
	v_cndmask_b32_e32 v2, v2, v26, vcc
	v_and_b32_sdwa v26, sext(v49), s82 dst_sel:DWORD dst_unused:UNUSED_PAD src0_sel:WORD_0 src1_sel:DWORD
	v_lshl_add_u32 v0, v0, 23, v26
	v_lshl_or_b32 v0, v2, 21, v0
	v_add_u32_e32 v0, 0x38000000, v0
                                        ; implicit-def: $vgpr26
                                        ; implicit-def: $vgpr2
	buffer_store_dword v26, off, s[0:3], s33 offset:192 ; 4-byte Folded Spill
	s_nop 0
	buffer_store_dword v27, off, s[0:3], s33 offset:196 ; 4-byte Folded Spill
.LBB6_4230:                             ;   in Loop: Header=BB6_3218 Depth=4
	s_andn2_saveexec_b64 s[36:37], s[36:37]
	s_cbranch_execz .LBB6_4232
; %bb.4231:                             ;   in Loop: Header=BB6_3218 Depth=4
	buffer_load_dword v26, off, s[0:3], s33 offset:192 ; 4-byte Folded Reload
	buffer_load_dword v27, off, s[0:3], s33 offset:196 ; 4-byte Folded Reload
	v_mov_b32_e32 v0, 0xff800000
	s_waitcnt vmcnt(1)
	v_cmp_lt_i16_e32 vcc, -1, v26
	v_mov_b32_e32 v26, 0x7f800000
	v_cndmask_b32_e32 v0, v0, v26, vcc
	v_cmp_eq_u32_e32 vcc, 0, v2
	v_mov_b32_e32 v2, 0x7f800001
	v_cndmask_b32_e32 v0, v2, v0, vcc
.LBB6_4232:                             ;   in Loop: Header=BB6_3218 Depth=4
	s_or_b64 exec, exec, s[36:37]
.LBB6_4233:                             ;   in Loop: Header=BB6_3218 Depth=4
	s_or_b64 exec, exec, s[34:35]
.LBB6_4234:                             ;   in Loop: Header=BB6_3218 Depth=4
	s_or_b64 exec, exec, s[28:29]
	v_mul_f32_e32 v0, v1, v0
	v_and_b32_e32 v1, 0x7f800000, v0
	v_mov_b32_e32 v2, v34
	v_cmp_ne_u64_e32 vcc, s[76:77], v[1:2]
	v_and_b32_e32 v33, 0x7fffff, v0
                                        ; implicit-def: $vgpr26
	s_and_saveexec_b64 s[28:29], vcc
	s_xor_b64 s[34:35], exec, s[28:29]
	s_cbranch_execz .LBB6_4252
; %bb.4235:                             ;   in Loop: Header=BB6_3218 Depth=4
	v_and_b32_e32 v1, 0x7fffffff, v0
	v_mov_b32_e32 v2, v34
	v_cmp_gt_u64_e32 vcc, s[78:79], v[1:2]
	s_waitcnt vmcnt(0)
	v_and_b32_sdwa v27, v0, s44 dst_sel:DWORD dst_unused:UNUSED_PAD src0_sel:BYTE_3 src1_sel:DWORD
                                        ; implicit-def: $vgpr26
	s_and_saveexec_b64 s[28:29], vcc
	s_xor_b64 s[36:37], exec, s[28:29]
	s_cbranch_execz .LBB6_4249
; %bb.4236:                             ;   in Loop: Header=BB6_3218 Depth=4
	v_cmp_ne_u32_e32 vcc, 0, v0
	v_mov_b32_e32 v26, 0
	s_and_saveexec_b64 s[38:39], vcc
	s_cbranch_execz .LBB6_4248
; %bb.4237:                             ;   in Loop: Header=BB6_3218 Depth=4
	v_bfe_u32 v26, v0, 23, 8
	v_cmp_gt_u32_e64 s[28:29], s45, v26
	v_sub_u32_e32 v0, 0x71, v26
	v_cmp_eq_u32_e32 vcc, 0, v26
	v_cndmask_b32_e64 v0, 0, v0, s[28:29]
	v_mov_b32_e32 v2, 0x70
	v_cndmask_b32_e32 v39, v0, v2, vcc
	v_add_u32_e32 v2, 21, v39
	v_or_b32_e32 v1, 0x800000, v33
	v_lshlrev_b64 v[48:49], v2, -1
	v_cndmask_b32_e32 v0, v1, v33, vcc
	v_mov_b32_e32 v1, v34
	v_add_u32_e32 v2, 20, v39
	v_bfi_b32 v48, v48, 0, v0
	v_lshlrev_b64 v[50:51], v2, 1
	v_lshrrev_b64 v[0:1], v39, v[0:1]
	v_bfi_b32 v49, v49, 0, 0
	v_cmp_eq_u64_e64 s[28:29], v[48:49], v[50:51]
	v_mov_b32_e32 v2, v1
	v_mov_b32_e32 v1, v0
	s_and_saveexec_b64 s[48:49], s[28:29]
; %bb.4238:                             ;   in Loop: Header=BB6_3218 Depth=4
	v_bfe_u32 v1, v0, 21, 1
	v_add_co_u32_e64 v1, s[28:29], v0, v1
	v_add_co_u32_e64 v1, s[28:29], -1, v1
; %bb.4239:                             ;   in Loop: Header=BB6_3218 Depth=4
	s_or_b64 exec, exec, s[48:49]
	v_add_u32_e32 v2, 0xffffff81, v26
	v_mov_b32_e32 v26, 0xffffff82
	v_cndmask_b32_e32 v2, v2, v26, vcc
	v_lshrrev_b32_e32 v26, 23, v0
	v_add3_u32 v39, v39, v2, v26
	v_add_u32_e32 v26, 14, v39
	v_and_b32_e32 v1, 0x1fffff, v1
	v_add_u32_e32 v33, v1, v0
	v_cmp_ne_u32_e32 vcc, 0, v26
                                        ; implicit-def: $vgpr0_vgpr1
                                        ; implicit-def: $vgpr2
	s_and_saveexec_b64 s[28:29], vcc
	s_xor_b64 s[28:29], exec, s[28:29]
; %bb.4240:                             ;   in Loop: Header=BB6_3218 Depth=4
	v_cmp_lt_u64_e32 vcc, s[88:89], v[33:34]
	v_add_u32_e32 v0, 15, v39
	v_cndmask_b32_e32 v2, v26, v0, vcc
	v_cndmask_b32_e64 v0, 0, 1, vcc
	v_lshrrev_b64 v[0:1], v0, v[33:34]
; %bb.4241:                             ;   in Loop: Header=BB6_3218 Depth=4
	s_or_saveexec_b64 s[28:29], s[28:29]
	buffer_load_dword v48, off, s[0:3], s33 offset:92 ; 4-byte Folded Reload
	buffer_load_dword v49, off, s[0:3], s33 offset:96 ; 4-byte Folded Reload
	s_xor_b64 exec, exec, s[28:29]
; %bb.4242:                             ;   in Loop: Header=BB6_3218 Depth=4
	v_mov_b32_e32 v0, v33
	v_mov_b32_e32 v1, v34
	v_bfe_u32 v2, v33, 23, 1
; %bb.4243:                             ;   in Loop: Header=BB6_3218 Depth=4
	s_or_b64 exec, exec, s[28:29]
	v_lshrrev_b64 v[0:1], 21, v[0:1]
	v_cmp_gt_i32_e32 vcc, 32, v2
	v_cndmask_b32_e32 v1, 0, v1, vcc
	v_cndmask_b32_e32 v0, 3, v0, vcc
	v_cmp_ne_u64_e32 vcc, 0, v[0:1]
	v_cmp_ne_u32_e64 s[28:29], 0, v2
	s_or_b64 s[28:29], s[28:29], vcc
                                        ; implicit-def: $vgpr26
	s_and_saveexec_b64 vcc, s[28:29]
	s_xor_b64 s[28:29], exec, vcc
; %bb.4244:                             ;   in Loop: Header=BB6_3218 Depth=4
	v_min_i32_e32 v1, 31, v2
	v_lshl_or_b32 v1, v1, 2, v27
	v_and_or_b32 v26, v0, 3, v1
                                        ; implicit-def: $vgpr27
; %bb.4245:                             ;   in Loop: Header=BB6_3218 Depth=4
	s_andn2_saveexec_b64 s[28:29], s[28:29]
; %bb.4246:                             ;   in Loop: Header=BB6_3218 Depth=4
	v_mov_b32_e32 v26, v27
; %bb.4247:                             ;   in Loop: Header=BB6_3218 Depth=4
	s_or_b64 exec, exec, s[28:29]
.LBB6_4248:                             ;   in Loop: Header=BB6_3218 Depth=4
	s_or_b64 exec, exec, s[38:39]
                                        ; implicit-def: $vgpr27
.LBB6_4249:                             ;   in Loop: Header=BB6_3218 Depth=4
	s_andn2_saveexec_b64 s[28:29], s[36:37]
; %bb.4250:                             ;   in Loop: Header=BB6_3218 Depth=4
	v_or_b32_e32 v26, 0x7b, v27
; %bb.4251:                             ;   in Loop: Header=BB6_3218 Depth=4
	s_or_b64 exec, exec, s[28:29]
                                        ; implicit-def: $vgpr0
.LBB6_4252:                             ;   in Loop: Header=BB6_3218 Depth=4
	s_andn2_saveexec_b64 s[28:29], s[34:35]
	s_cbranch_execz .LBB6_4258
; %bb.4253:                             ;   in Loop: Header=BB6_3218 Depth=4
	v_cmp_ne_u64_e32 vcc, 0, v[33:34]
                                        ; implicit-def: $vgpr26
	s_and_saveexec_b64 s[34:35], vcc
	s_xor_b64 vcc, exec, s[34:35]
; %bb.4254:                             ;   in Loop: Header=BB6_3218 Depth=4
	v_or_b32_sdwa v26, v0, s83 dst_sel:DWORD dst_unused:UNUSED_PAD src0_sel:BYTE_3 src1_sel:DWORD
                                        ; implicit-def: $vgpr0
; %bb.4255:                             ;   in Loop: Header=BB6_3218 Depth=4
	s_andn2_saveexec_b64 s[34:35], vcc
; %bb.4256:                             ;   in Loop: Header=BB6_3218 Depth=4
	v_cmp_lt_i32_e32 vcc, -1, v0
	v_mov_b32_e32 v0, 0x7c
	v_cndmask_b32_e32 v26, -4, v0, vcc
; %bb.4257:                             ;   in Loop: Header=BB6_3218 Depth=4
	s_or_b64 exec, exec, s[34:35]
.LBB6_4258:                             ;   in Loop: Header=BB6_3218 Depth=4
	s_or_b64 exec, exec, s[28:29]
	buffer_load_dword v0, off, s[0:3], s33 offset:184 ; 4-byte Folded Reload
	buffer_load_dword v1, off, s[0:3], s33 offset:188 ; 4-byte Folded Reload
	s_waitcnt vmcnt(0)
	v_mov_b32_e32 v1, 0
	v_mov_b32_e32 v27, v0
	v_cmp_ne_u16_e32 vcc, 0, v27
	v_mov_b32_e32 v0, 0
	s_and_saveexec_b64 s[28:29], vcc
	s_cbranch_execz .LBB6_4266
; %bb.4259:                             ;   in Loop: Header=BB6_3218 Depth=4
	v_cmp_ne_u16_e32 vcc, s80, v27
	v_bfrev_b32_e32 v1, 1
	s_and_saveexec_b64 s[34:35], vcc
	s_cbranch_execz .LBB6_4265
; %bb.4260:                             ;   in Loop: Header=BB6_3218 Depth=4
	v_and_b32_e32 v1, 0x7c, v27
	v_and_b32_e32 v2, 3, v27
	v_cmp_ne_u32_e32 vcc, s81, v1
                                        ; implicit-def: $vgpr1
	s_and_saveexec_b64 s[36:37], vcc
	s_xor_b64 s[36:37], exec, s[36:37]
	s_cbranch_execz .LBB6_4262
; %bb.4261:                             ;   in Loop: Header=BB6_3218 Depth=4
	buffer_load_dword v50, off, s[0:3], s33 offset:184 ; 4-byte Folded Reload
	buffer_load_dword v51, off, s[0:3], s33 offset:188 ; 4-byte Folded Reload
	v_ffbh_u32_e32 v27, v2
	v_min_u32_e32 v27, 32, v27
	s_waitcnt vmcnt(0)
	v_mov_b32_e32 v51, v34
	v_subrev_u32_e32 v33, 29, v27
	v_sub_u32_e32 v27, 30, v27
	v_and_b32_e32 v1, 0xff, v50
	v_lshlrev_b64 v[48:49], v33, v[50:51]
	v_bfe_u32 v1, v1, 2, 5
	v_and_b32_e32 v33, 3, v48
	buffer_load_dword v48, off, s[0:3], s33 offset:92 ; 4-byte Folded Reload
	buffer_load_dword v49, off, s[0:3], s33 offset:96 ; 4-byte Folded Reload
	v_cmp_eq_u32_e32 vcc, 0, v1
	v_cndmask_b32_e32 v1, v1, v27, vcc
	v_and_b32_sdwa v27, sext(v50), s82 dst_sel:DWORD dst_unused:UNUSED_PAD src0_sel:WORD_0 src1_sel:DWORD
	v_cndmask_b32_e32 v2, v2, v33, vcc
	v_lshl_add_u32 v1, v1, 23, v27
	v_lshl_or_b32 v1, v2, 21, v1
	v_add_u32_e32 v1, 0x38000000, v1
                                        ; implicit-def: $vgpr27
                                        ; implicit-def: $vgpr2
	buffer_store_dword v27, off, s[0:3], s33 offset:184 ; 4-byte Folded Spill
	s_nop 0
	buffer_store_dword v28, off, s[0:3], s33 offset:188 ; 4-byte Folded Spill
.LBB6_4262:                             ;   in Loop: Header=BB6_3218 Depth=4
	s_andn2_saveexec_b64 s[36:37], s[36:37]
	s_cbranch_execz .LBB6_4264
; %bb.4263:                             ;   in Loop: Header=BB6_3218 Depth=4
	buffer_load_dword v49, off, s[0:3], s33 offset:184 ; 4-byte Folded Reload
	buffer_load_dword v50, off, s[0:3], s33 offset:188 ; 4-byte Folded Reload
	v_mov_b32_e32 v1, 0xff800000
	v_mov_b32_e32 v27, 0x7f800000
	s_waitcnt vmcnt(1)
	v_cmp_lt_i16_e32 vcc, -1, v49
	v_cndmask_b32_e32 v1, v1, v27, vcc
	v_cmp_eq_u32_e32 vcc, 0, v2
	v_mov_b32_e32 v2, 0x7f800001
	v_cndmask_b32_e32 v1, v2, v1, vcc
.LBB6_4264:                             ;   in Loop: Header=BB6_3218 Depth=4
	s_or_b64 exec, exec, s[36:37]
.LBB6_4265:                             ;   in Loop: Header=BB6_3218 Depth=4
	s_or_b64 exec, exec, s[34:35]
.LBB6_4266:                             ;   in Loop: Header=BB6_3218 Depth=4
	s_or_b64 exec, exec, s[28:29]
	s_waitcnt vmcnt(3)
	v_cmp_ne_u16_e32 vcc, 0, v48
	s_and_saveexec_b64 s[28:29], vcc
	s_cbranch_execz .LBB6_4274
; %bb.4267:                             ;   in Loop: Header=BB6_3218 Depth=4
	v_cmp_ne_u16_e32 vcc, s80, v48
	v_bfrev_b32_e32 v0, 1
	s_and_saveexec_b64 s[34:35], vcc
	s_cbranch_execz .LBB6_4273
; %bb.4268:                             ;   in Loop: Header=BB6_3218 Depth=4
	v_and_b32_e32 v0, 0x7c, v48
	v_and_b32_e32 v2, 3, v48
	v_cmp_ne_u32_e32 vcc, s81, v0
                                        ; implicit-def: $vgpr0
	s_and_saveexec_b64 s[36:37], vcc
	s_xor_b64 s[36:37], exec, s[36:37]
	s_cbranch_execz .LBB6_4270
; %bb.4269:                             ;   in Loop: Header=BB6_3218 Depth=4
	s_waitcnt vmcnt(2)
	v_mov_b32_e32 v49, v34
	v_ffbh_u32_e32 v27, v2
	v_min_u32_e32 v27, 32, v27
	s_waitcnt vmcnt(0)
	v_mov_b32_e32 v51, v49
	v_and_b32_e32 v0, 0xff, v48
	v_subrev_u32_e32 v33, 29, v27
	v_mov_b32_e32 v50, v48
	v_bfe_u32 v0, v0, 2, 5
	v_lshlrev_b64 v[48:49], v33, v[50:51]
	v_sub_u32_e32 v27, 30, v27
	v_cmp_eq_u32_e32 vcc, 0, v0
	v_and_b32_e32 v33, 3, v48
	v_cndmask_b32_e32 v0, v0, v27, vcc
	v_and_b32_sdwa v27, sext(v50), s82 dst_sel:DWORD dst_unused:UNUSED_PAD src0_sel:WORD_0 src1_sel:DWORD
	v_cndmask_b32_e32 v2, v2, v33, vcc
	v_lshl_add_u32 v0, v0, 23, v27
	v_lshl_or_b32 v0, v2, 21, v0
	v_add_u32_e32 v0, 0x38000000, v0
                                        ; implicit-def: $vgpr2
                                        ; implicit-def: $vgpr48
.LBB6_4270:                             ;   in Loop: Header=BB6_3218 Depth=4
	s_andn2_saveexec_b64 s[36:37], s[36:37]
; %bb.4271:                             ;   in Loop: Header=BB6_3218 Depth=4
	v_cmp_lt_i16_e32 vcc, -1, v48
	v_mov_b32_e32 v0, 0xff800000
	v_mov_b32_e32 v27, 0x7f800000
	v_cndmask_b32_e32 v0, v0, v27, vcc
	v_cmp_eq_u32_e32 vcc, 0, v2
	v_mov_b32_e32 v2, 0x7f800001
	v_cndmask_b32_e32 v0, v2, v0, vcc
; %bb.4272:                             ;   in Loop: Header=BB6_3218 Depth=4
	s_or_b64 exec, exec, s[36:37]
.LBB6_4273:                             ;   in Loop: Header=BB6_3218 Depth=4
	s_or_b64 exec, exec, s[34:35]
.LBB6_4274:                             ;   in Loop: Header=BB6_3218 Depth=4
	s_or_b64 exec, exec, s[28:29]
	v_mul_f32_e32 v0, v1, v0
	v_and_b32_e32 v1, 0x7f800000, v0
	v_mov_b32_e32 v2, v34
	v_cmp_ne_u64_e32 vcc, s[76:77], v[1:2]
	v_and_b32_e32 v33, 0x7fffff, v0
                                        ; implicit-def: $vgpr27
	s_and_saveexec_b64 s[28:29], vcc
	s_xor_b64 s[34:35], exec, s[28:29]
	s_cbranch_execz .LBB6_4292
; %bb.4275:                             ;   in Loop: Header=BB6_3218 Depth=4
	v_and_b32_e32 v1, 0x7fffffff, v0
	v_mov_b32_e32 v2, v34
	v_cmp_gt_u64_e32 vcc, s[78:79], v[1:2]
	v_and_b32_sdwa v39, v0, s44 dst_sel:DWORD dst_unused:UNUSED_PAD src0_sel:BYTE_3 src1_sel:DWORD
                                        ; implicit-def: $vgpr27
	s_and_saveexec_b64 s[28:29], vcc
	s_xor_b64 s[36:37], exec, s[28:29]
	s_cbranch_execz .LBB6_4289
; %bb.4276:                             ;   in Loop: Header=BB6_3218 Depth=4
	v_cmp_ne_u32_e32 vcc, 0, v0
	v_mov_b32_e32 v27, 0
	s_and_saveexec_b64 s[38:39], vcc
	s_cbranch_execz .LBB6_4288
; %bb.4277:                             ;   in Loop: Header=BB6_3218 Depth=4
	v_bfe_u32 v27, v0, 23, 8
	v_cmp_gt_u32_e64 s[28:29], s45, v27
	v_sub_u32_e32 v0, 0x71, v27
	v_cmp_eq_u32_e32 vcc, 0, v27
	v_cndmask_b32_e64 v0, 0, v0, s[28:29]
	v_mov_b32_e32 v2, 0x70
	v_cndmask_b32_e32 v48, v0, v2, vcc
	v_add_u32_e32 v2, 21, v48
	v_or_b32_e32 v1, 0x800000, v33
	s_waitcnt vmcnt(0)
	v_lshlrev_b64 v[49:50], v2, -1
	v_cndmask_b32_e32 v0, v1, v33, vcc
	v_mov_b32_e32 v1, v34
	v_add_u32_e32 v2, 20, v48
	v_bfi_b32 v49, v49, 0, v0
	v_lshlrev_b64 v[51:52], v2, 1
	v_lshrrev_b64 v[0:1], v48, v[0:1]
	v_bfi_b32 v50, v50, 0, 0
	v_cmp_eq_u64_e64 s[28:29], v[49:50], v[51:52]
	v_mov_b32_e32 v2, v1
	v_mov_b32_e32 v1, v0
	s_and_saveexec_b64 s[48:49], s[28:29]
; %bb.4278:                             ;   in Loop: Header=BB6_3218 Depth=4
	v_bfe_u32 v1, v0, 21, 1
	v_add_co_u32_e64 v1, s[28:29], v0, v1
	v_add_co_u32_e64 v1, s[28:29], -1, v1
; %bb.4279:                             ;   in Loop: Header=BB6_3218 Depth=4
	s_or_b64 exec, exec, s[48:49]
	v_add_u32_e32 v2, 0xffffff81, v27
	v_mov_b32_e32 v27, 0xffffff82
	v_cndmask_b32_e32 v2, v2, v27, vcc
	v_lshrrev_b32_e32 v27, 23, v0
	v_add3_u32 v48, v48, v2, v27
	v_add_u32_e32 v27, 14, v48
	v_and_b32_e32 v1, 0x1fffff, v1
	v_add_u32_e32 v33, v1, v0
	v_cmp_ne_u32_e32 vcc, 0, v27
                                        ; implicit-def: $vgpr0_vgpr1
                                        ; implicit-def: $vgpr2
	s_and_saveexec_b64 s[28:29], vcc
	s_xor_b64 s[28:29], exec, s[28:29]
; %bb.4280:                             ;   in Loop: Header=BB6_3218 Depth=4
	v_cmp_lt_u64_e32 vcc, s[88:89], v[33:34]
	v_add_u32_e32 v0, 15, v48
	v_cndmask_b32_e32 v2, v27, v0, vcc
	v_cndmask_b32_e64 v0, 0, 1, vcc
	v_lshrrev_b64 v[0:1], v0, v[33:34]
; %bb.4281:                             ;   in Loop: Header=BB6_3218 Depth=4
	s_andn2_saveexec_b64 s[28:29], s[28:29]
; %bb.4282:                             ;   in Loop: Header=BB6_3218 Depth=4
	v_mov_b32_e32 v0, v33
	v_mov_b32_e32 v1, v34
	v_bfe_u32 v2, v33, 23, 1
; %bb.4283:                             ;   in Loop: Header=BB6_3218 Depth=4
	s_or_b64 exec, exec, s[28:29]
	v_lshrrev_b64 v[0:1], 21, v[0:1]
	v_cmp_gt_i32_e32 vcc, 32, v2
	v_cndmask_b32_e32 v1, 0, v1, vcc
	v_cndmask_b32_e32 v0, 3, v0, vcc
	v_cmp_ne_u64_e32 vcc, 0, v[0:1]
	v_cmp_ne_u32_e64 s[28:29], 0, v2
	s_or_b64 s[28:29], s[28:29], vcc
                                        ; implicit-def: $vgpr27
	s_and_saveexec_b64 vcc, s[28:29]
	s_xor_b64 s[28:29], exec, vcc
; %bb.4284:                             ;   in Loop: Header=BB6_3218 Depth=4
	v_min_i32_e32 v1, 31, v2
	v_lshl_or_b32 v1, v1, 2, v39
	v_and_or_b32 v27, v0, 3, v1
                                        ; implicit-def: $vgpr39
; %bb.4285:                             ;   in Loop: Header=BB6_3218 Depth=4
	s_andn2_saveexec_b64 s[28:29], s[28:29]
; %bb.4286:                             ;   in Loop: Header=BB6_3218 Depth=4
	v_mov_b32_e32 v27, v39
; %bb.4287:                             ;   in Loop: Header=BB6_3218 Depth=4
	s_or_b64 exec, exec, s[28:29]
.LBB6_4288:                             ;   in Loop: Header=BB6_3218 Depth=4
	s_or_b64 exec, exec, s[38:39]
                                        ; implicit-def: $vgpr39
.LBB6_4289:                             ;   in Loop: Header=BB6_3218 Depth=4
	s_andn2_saveexec_b64 s[28:29], s[36:37]
; %bb.4290:                             ;   in Loop: Header=BB6_3218 Depth=4
	v_or_b32_e32 v27, 0x7b, v39
; %bb.4291:                             ;   in Loop: Header=BB6_3218 Depth=4
	s_or_b64 exec, exec, s[28:29]
                                        ; implicit-def: $vgpr0
.LBB6_4292:                             ;   in Loop: Header=BB6_3218 Depth=4
	s_andn2_saveexec_b64 s[28:29], s[34:35]
	s_cbranch_execz .LBB6_4298
; %bb.4293:                             ;   in Loop: Header=BB6_3218 Depth=4
	v_cmp_ne_u64_e32 vcc, 0, v[33:34]
                                        ; implicit-def: $vgpr27
	s_and_saveexec_b64 s[34:35], vcc
	s_xor_b64 vcc, exec, s[34:35]
; %bb.4294:                             ;   in Loop: Header=BB6_3218 Depth=4
	v_or_b32_sdwa v27, v0, s83 dst_sel:DWORD dst_unused:UNUSED_PAD src0_sel:BYTE_3 src1_sel:DWORD
                                        ; implicit-def: $vgpr0
; %bb.4295:                             ;   in Loop: Header=BB6_3218 Depth=4
	s_andn2_saveexec_b64 s[34:35], vcc
; %bb.4296:                             ;   in Loop: Header=BB6_3218 Depth=4
	v_cmp_lt_i32_e32 vcc, -1, v0
	v_mov_b32_e32 v0, 0x7c
	v_cndmask_b32_e32 v27, -4, v0, vcc
; %bb.4297:                             ;   in Loop: Header=BB6_3218 Depth=4
	s_or_b64 exec, exec, s[34:35]
.LBB6_4298:                             ;   in Loop: Header=BB6_3218 Depth=4
	s_or_b64 exec, exec, s[28:29]
	buffer_load_dword v0, off, s[0:3], s33 offset:176 ; 4-byte Folded Reload
	buffer_load_dword v1, off, s[0:3], s33 offset:180 ; 4-byte Folded Reload
	s_waitcnt vmcnt(0)
	v_mov_b32_e32 v1, 0
	v_mov_b32_e32 v33, v0
	v_cmp_ne_u16_e32 vcc, 0, v33
	v_mov_b32_e32 v0, 0
	s_and_saveexec_b64 s[28:29], vcc
	s_cbranch_execz .LBB6_4306
; %bb.4299:                             ;   in Loop: Header=BB6_3218 Depth=4
	v_cmp_ne_u16_e32 vcc, s80, v33
	v_bfrev_b32_e32 v1, 1
	s_and_saveexec_b64 s[34:35], vcc
	s_cbranch_execz .LBB6_4305
; %bb.4300:                             ;   in Loop: Header=BB6_3218 Depth=4
	v_and_b32_e32 v1, 0x7c, v33
	v_and_b32_e32 v2, 3, v33
	v_cmp_ne_u32_e32 vcc, s81, v1
                                        ; implicit-def: $vgpr1
	s_and_saveexec_b64 s[36:37], vcc
	s_xor_b64 s[36:37], exec, s[36:37]
	s_cbranch_execz .LBB6_4302
; %bb.4301:                             ;   in Loop: Header=BB6_3218 Depth=4
	buffer_load_dword v50, off, s[0:3], s33 offset:176 ; 4-byte Folded Reload
	buffer_load_dword v51, off, s[0:3], s33 offset:180 ; 4-byte Folded Reload
	v_ffbh_u32_e32 v33, v2
	v_min_u32_e32 v33, 32, v33
	s_waitcnt vmcnt(0)
	v_mov_b32_e32 v51, v34
	v_subrev_u32_e32 v39, 29, v33
	v_sub_u32_e32 v33, 30, v33
	v_and_b32_e32 v1, 0xff, v50
	v_bfe_u32 v1, v1, 2, 5
	v_lshlrev_b64 v[48:49], v39, v[50:51]
	v_cmp_eq_u32_e32 vcc, 0, v1
	v_and_b32_e32 v39, 3, v48
	v_cndmask_b32_e32 v1, v1, v33, vcc
	v_and_b32_sdwa v33, sext(v50), s82 dst_sel:DWORD dst_unused:UNUSED_PAD src0_sel:WORD_0 src1_sel:DWORD
	v_cndmask_b32_e32 v2, v2, v39, vcc
	v_lshl_add_u32 v1, v1, 23, v33
	v_lshl_or_b32 v1, v2, 21, v1
	v_add_u32_e32 v1, 0x38000000, v1
                                        ; implicit-def: $vgpr33
                                        ; implicit-def: $vgpr2
	buffer_store_dword v33, off, s[0:3], s33 offset:176 ; 4-byte Folded Spill
	s_nop 0
	buffer_store_dword v34, off, s[0:3], s33 offset:180 ; 4-byte Folded Spill
.LBB6_4302:                             ;   in Loop: Header=BB6_3218 Depth=4
	s_andn2_saveexec_b64 s[36:37], s[36:37]
	s_cbranch_execz .LBB6_4304
; %bb.4303:                             ;   in Loop: Header=BB6_3218 Depth=4
	buffer_load_dword v48, off, s[0:3], s33 offset:176 ; 4-byte Folded Reload
	buffer_load_dword v49, off, s[0:3], s33 offset:180 ; 4-byte Folded Reload
	v_mov_b32_e32 v1, 0xff800000
	v_mov_b32_e32 v33, 0x7f800000
	s_waitcnt vmcnt(1)
	v_cmp_lt_i16_e32 vcc, -1, v48
	v_cndmask_b32_e32 v1, v1, v33, vcc
	v_cmp_eq_u32_e32 vcc, 0, v2
	v_mov_b32_e32 v2, 0x7f800001
	v_cndmask_b32_e32 v1, v2, v1, vcc
.LBB6_4304:                             ;   in Loop: Header=BB6_3218 Depth=4
	s_or_b64 exec, exec, s[36:37]
.LBB6_4305:                             ;   in Loop: Header=BB6_3218 Depth=4
	s_or_b64 exec, exec, s[34:35]
.LBB6_4306:                             ;   in Loop: Header=BB6_3218 Depth=4
	s_or_b64 exec, exec, s[28:29]
	buffer_load_dword v48, off, s[0:3], s33 offset:168 ; 4-byte Folded Reload
	buffer_load_dword v49, off, s[0:3], s33 offset:172 ; 4-byte Folded Reload
	s_waitcnt vmcnt(1)
	v_mov_b32_e32 v33, v48
	v_cmp_ne_u16_e32 vcc, 0, v33
	s_and_saveexec_b64 s[28:29], vcc
	s_cbranch_execz .LBB6_4314
; %bb.4307:                             ;   in Loop: Header=BB6_3218 Depth=4
	v_cmp_ne_u16_e32 vcc, s80, v33
	v_bfrev_b32_e32 v0, 1
	s_and_saveexec_b64 s[34:35], vcc
	s_cbranch_execz .LBB6_4313
; %bb.4308:                             ;   in Loop: Header=BB6_3218 Depth=4
	v_and_b32_e32 v0, 0x7c, v33
	v_and_b32_e32 v2, 3, v33
	v_cmp_ne_u32_e32 vcc, s81, v0
                                        ; implicit-def: $vgpr0
	s_and_saveexec_b64 s[36:37], vcc
	s_xor_b64 s[36:37], exec, s[36:37]
	s_cbranch_execz .LBB6_4310
; %bb.4309:                             ;   in Loop: Header=BB6_3218 Depth=4
	buffer_load_dword v50, off, s[0:3], s33 offset:168 ; 4-byte Folded Reload
	buffer_load_dword v51, off, s[0:3], s33 offset:172 ; 4-byte Folded Reload
	v_ffbh_u32_e32 v33, v2
	v_min_u32_e32 v33, 32, v33
	s_waitcnt vmcnt(0)
	v_mov_b32_e32 v51, v34
	v_subrev_u32_e32 v39, 29, v33
	v_sub_u32_e32 v33, 30, v33
	v_and_b32_e32 v0, 0xff, v50
	v_bfe_u32 v0, v0, 2, 5
	v_lshlrev_b64 v[48:49], v39, v[50:51]
	v_cmp_eq_u32_e32 vcc, 0, v0
	v_and_b32_e32 v39, 3, v48
	v_cndmask_b32_e32 v0, v0, v33, vcc
	v_and_b32_sdwa v33, sext(v50), s82 dst_sel:DWORD dst_unused:UNUSED_PAD src0_sel:WORD_0 src1_sel:DWORD
	v_cndmask_b32_e32 v2, v2, v39, vcc
	v_lshl_add_u32 v0, v0, 23, v33
	v_lshl_or_b32 v0, v2, 21, v0
	v_add_u32_e32 v0, 0x38000000, v0
                                        ; implicit-def: $vgpr33
                                        ; implicit-def: $vgpr2
	buffer_store_dword v33, off, s[0:3], s33 offset:168 ; 4-byte Folded Spill
	s_nop 0
	buffer_store_dword v34, off, s[0:3], s33 offset:172 ; 4-byte Folded Spill
.LBB6_4310:                             ;   in Loop: Header=BB6_3218 Depth=4
	s_andn2_saveexec_b64 s[36:37], s[36:37]
	s_cbranch_execz .LBB6_4312
; %bb.4311:                             ;   in Loop: Header=BB6_3218 Depth=4
	buffer_load_dword v48, off, s[0:3], s33 offset:168 ; 4-byte Folded Reload
	buffer_load_dword v49, off, s[0:3], s33 offset:172 ; 4-byte Folded Reload
	v_mov_b32_e32 v0, 0xff800000
	v_mov_b32_e32 v33, 0x7f800000
	s_waitcnt vmcnt(1)
	v_cmp_lt_i16_e32 vcc, -1, v48
	v_cndmask_b32_e32 v0, v0, v33, vcc
	v_cmp_eq_u32_e32 vcc, 0, v2
	v_mov_b32_e32 v2, 0x7f800001
	v_cndmask_b32_e32 v0, v2, v0, vcc
.LBB6_4312:                             ;   in Loop: Header=BB6_3218 Depth=4
	s_or_b64 exec, exec, s[36:37]
.LBB6_4313:                             ;   in Loop: Header=BB6_3218 Depth=4
	s_or_b64 exec, exec, s[34:35]
.LBB6_4314:                             ;   in Loop: Header=BB6_3218 Depth=4
	s_or_b64 exec, exec, s[28:29]
	v_mul_f32_e32 v0, v1, v0
	v_and_b32_e32 v1, 0x7f800000, v0
	v_mov_b32_e32 v2, v34
	v_cmp_ne_u64_e32 vcc, s[76:77], v[1:2]
	v_and_b32_e32 v33, 0x7fffff, v0
                                        ; implicit-def: $vgpr39
	s_and_saveexec_b64 s[28:29], vcc
	s_xor_b64 s[34:35], exec, s[28:29]
	s_cbranch_execz .LBB6_4332
; %bb.4315:                             ;   in Loop: Header=BB6_3218 Depth=4
	v_and_b32_e32 v1, 0x7fffffff, v0
	v_mov_b32_e32 v2, v34
	v_cmp_gt_u64_e32 vcc, s[78:79], v[1:2]
	v_and_b32_sdwa v48, v0, s44 dst_sel:DWORD dst_unused:UNUSED_PAD src0_sel:BYTE_3 src1_sel:DWORD
                                        ; implicit-def: $vgpr39
	s_and_saveexec_b64 s[28:29], vcc
	s_xor_b64 s[36:37], exec, s[28:29]
	s_cbranch_execz .LBB6_4329
; %bb.4316:                             ;   in Loop: Header=BB6_3218 Depth=4
	v_cmp_ne_u32_e32 vcc, 0, v0
	v_mov_b32_e32 v39, 0
	s_and_saveexec_b64 s[38:39], vcc
	s_cbranch_execz .LBB6_4328
; %bb.4317:                             ;   in Loop: Header=BB6_3218 Depth=4
	v_bfe_u32 v39, v0, 23, 8
	v_cmp_gt_u32_e64 s[28:29], s45, v39
	v_sub_u32_e32 v0, 0x71, v39
	v_cmp_eq_u32_e32 vcc, 0, v39
	v_cndmask_b32_e64 v0, 0, v0, s[28:29]
	v_mov_b32_e32 v2, 0x70
	s_waitcnt vmcnt(0)
	v_cndmask_b32_e32 v49, v0, v2, vcc
	v_add_u32_e32 v2, 21, v49
	v_or_b32_e32 v1, 0x800000, v33
	v_lshlrev_b64 v[50:51], v2, -1
	v_cndmask_b32_e32 v0, v1, v33, vcc
	v_mov_b32_e32 v1, v34
	v_add_u32_e32 v2, 20, v49
	v_bfi_b32 v50, v50, 0, v0
	v_lshlrev_b64 v[52:53], v2, 1
	v_lshrrev_b64 v[0:1], v49, v[0:1]
	v_bfi_b32 v51, v51, 0, 0
	v_cmp_eq_u64_e64 s[28:29], v[50:51], v[52:53]
	v_mov_b32_e32 v2, v1
	v_mov_b32_e32 v1, v0
	s_and_saveexec_b64 s[48:49], s[28:29]
; %bb.4318:                             ;   in Loop: Header=BB6_3218 Depth=4
	v_bfe_u32 v1, v0, 21, 1
	v_add_co_u32_e64 v1, s[28:29], v0, v1
	v_add_co_u32_e64 v1, s[28:29], -1, v1
; %bb.4319:                             ;   in Loop: Header=BB6_3218 Depth=4
	s_or_b64 exec, exec, s[48:49]
	v_add_u32_e32 v2, 0xffffff81, v39
	v_mov_b32_e32 v33, 0xffffff82
	v_cndmask_b32_e32 v2, v2, v33, vcc
	v_lshrrev_b32_e32 v33, 23, v0
	v_add3_u32 v49, v49, v2, v33
	v_add_u32_e32 v39, 14, v49
	v_and_b32_e32 v1, 0x1fffff, v1
	v_add_u32_e32 v33, v1, v0
	v_cmp_ne_u32_e32 vcc, 0, v39
                                        ; implicit-def: $vgpr0_vgpr1
                                        ; implicit-def: $vgpr2
	s_and_saveexec_b64 s[28:29], vcc
	s_xor_b64 s[28:29], exec, s[28:29]
; %bb.4320:                             ;   in Loop: Header=BB6_3218 Depth=4
	v_cmp_lt_u64_e32 vcc, s[88:89], v[33:34]
	v_add_u32_e32 v0, 15, v49
	v_cndmask_b32_e32 v2, v39, v0, vcc
	v_cndmask_b32_e64 v0, 0, 1, vcc
	v_lshrrev_b64 v[0:1], v0, v[33:34]
; %bb.4321:                             ;   in Loop: Header=BB6_3218 Depth=4
	s_andn2_saveexec_b64 s[28:29], s[28:29]
; %bb.4322:                             ;   in Loop: Header=BB6_3218 Depth=4
	v_mov_b32_e32 v0, v33
	v_mov_b32_e32 v1, v34
	v_bfe_u32 v2, v33, 23, 1
; %bb.4323:                             ;   in Loop: Header=BB6_3218 Depth=4
	s_or_b64 exec, exec, s[28:29]
	v_lshrrev_b64 v[0:1], 21, v[0:1]
	v_cmp_gt_i32_e32 vcc, 32, v2
	v_cndmask_b32_e32 v1, 0, v1, vcc
	v_cndmask_b32_e32 v0, 3, v0, vcc
	v_cmp_ne_u64_e32 vcc, 0, v[0:1]
	v_cmp_ne_u32_e64 s[28:29], 0, v2
	s_or_b64 s[28:29], s[28:29], vcc
                                        ; implicit-def: $vgpr39
	s_and_saveexec_b64 vcc, s[28:29]
	s_xor_b64 s[28:29], exec, vcc
; %bb.4324:                             ;   in Loop: Header=BB6_3218 Depth=4
	v_min_i32_e32 v1, 31, v2
	v_lshl_or_b32 v1, v1, 2, v48
	v_and_or_b32 v39, v0, 3, v1
                                        ; implicit-def: $vgpr48
; %bb.4325:                             ;   in Loop: Header=BB6_3218 Depth=4
	s_andn2_saveexec_b64 s[28:29], s[28:29]
; %bb.4326:                             ;   in Loop: Header=BB6_3218 Depth=4
	v_mov_b32_e32 v39, v48
; %bb.4327:                             ;   in Loop: Header=BB6_3218 Depth=4
	s_or_b64 exec, exec, s[28:29]
.LBB6_4328:                             ;   in Loop: Header=BB6_3218 Depth=4
	s_or_b64 exec, exec, s[38:39]
                                        ; implicit-def: $vgpr48
.LBB6_4329:                             ;   in Loop: Header=BB6_3218 Depth=4
	s_andn2_saveexec_b64 s[28:29], s[36:37]
; %bb.4330:                             ;   in Loop: Header=BB6_3218 Depth=4
	v_or_b32_e32 v39, 0x7b, v48
; %bb.4331:                             ;   in Loop: Header=BB6_3218 Depth=4
	s_or_b64 exec, exec, s[28:29]
                                        ; implicit-def: $vgpr0
.LBB6_4332:                             ;   in Loop: Header=BB6_3218 Depth=4
	s_andn2_saveexec_b64 s[28:29], s[34:35]
	s_cbranch_execz .LBB6_4338
; %bb.4333:                             ;   in Loop: Header=BB6_3218 Depth=4
	v_cmp_ne_u64_e32 vcc, 0, v[33:34]
                                        ; implicit-def: $vgpr39
	s_and_saveexec_b64 s[34:35], vcc
	s_xor_b64 vcc, exec, s[34:35]
; %bb.4334:                             ;   in Loop: Header=BB6_3218 Depth=4
	v_or_b32_sdwa v39, v0, s83 dst_sel:DWORD dst_unused:UNUSED_PAD src0_sel:BYTE_3 src1_sel:DWORD
                                        ; implicit-def: $vgpr0
; %bb.4335:                             ;   in Loop: Header=BB6_3218 Depth=4
	s_andn2_saveexec_b64 s[34:35], vcc
; %bb.4336:                             ;   in Loop: Header=BB6_3218 Depth=4
	v_cmp_lt_i32_e32 vcc, -1, v0
	v_mov_b32_e32 v0, 0x7c
	v_cndmask_b32_e32 v39, -4, v0, vcc
; %bb.4337:                             ;   in Loop: Header=BB6_3218 Depth=4
	s_or_b64 exec, exec, s[34:35]
.LBB6_4338:                             ;   in Loop: Header=BB6_3218 Depth=4
	s_or_b64 exec, exec, s[28:29]
	buffer_load_dword v0, off, s[0:3], s33 offset:160 ; 4-byte Folded Reload
	buffer_load_dword v1, off, s[0:3], s33 offset:164 ; 4-byte Folded Reload
	s_waitcnt vmcnt(0)
	v_mov_b32_e32 v1, 0
	v_mov_b32_e32 v33, v0
	v_cmp_ne_u16_e32 vcc, 0, v33
	v_mov_b32_e32 v0, 0
	s_and_saveexec_b64 s[28:29], vcc
	s_cbranch_execz .LBB6_4346
; %bb.4339:                             ;   in Loop: Header=BB6_3218 Depth=4
	v_cmp_ne_u16_e32 vcc, s80, v33
	v_bfrev_b32_e32 v1, 1
	s_and_saveexec_b64 s[34:35], vcc
	s_cbranch_execz .LBB6_4345
; %bb.4340:                             ;   in Loop: Header=BB6_3218 Depth=4
	v_and_b32_e32 v1, 0x7c, v33
	v_and_b32_e32 v2, 3, v33
	v_cmp_ne_u32_e32 vcc, s81, v1
                                        ; implicit-def: $vgpr1
	s_and_saveexec_b64 s[36:37], vcc
	s_xor_b64 s[36:37], exec, s[36:37]
	s_cbranch_execz .LBB6_4342
; %bb.4341:                             ;   in Loop: Header=BB6_3218 Depth=4
	buffer_load_dword v50, off, s[0:3], s33 offset:160 ; 4-byte Folded Reload
	buffer_load_dword v51, off, s[0:3], s33 offset:164 ; 4-byte Folded Reload
	v_ffbh_u32_e32 v33, v2
	v_min_u32_e32 v33, 32, v33
	s_waitcnt vmcnt(0)
	v_mov_b32_e32 v51, v34
	v_subrev_u32_e32 v48, 29, v33
	v_sub_u32_e32 v33, 30, v33
	v_and_b32_e32 v1, 0xff, v50
	v_bfe_u32 v1, v1, 2, 5
	v_lshlrev_b64 v[48:49], v48, v[50:51]
	v_cmp_eq_u32_e32 vcc, 0, v1
	v_and_b32_e32 v48, 3, v48
	v_cndmask_b32_e32 v1, v1, v33, vcc
	v_and_b32_sdwa v33, sext(v50), s82 dst_sel:DWORD dst_unused:UNUSED_PAD src0_sel:WORD_0 src1_sel:DWORD
	v_cndmask_b32_e32 v2, v2, v48, vcc
	v_lshl_add_u32 v1, v1, 23, v33
	v_lshl_or_b32 v1, v2, 21, v1
	v_add_u32_e32 v1, 0x38000000, v1
                                        ; implicit-def: $vgpr33
                                        ; implicit-def: $vgpr2
	buffer_store_dword v33, off, s[0:3], s33 offset:160 ; 4-byte Folded Spill
	s_nop 0
	buffer_store_dword v34, off, s[0:3], s33 offset:164 ; 4-byte Folded Spill
.LBB6_4342:                             ;   in Loop: Header=BB6_3218 Depth=4
	s_andn2_saveexec_b64 s[36:37], s[36:37]
	s_cbranch_execz .LBB6_4344
; %bb.4343:                             ;   in Loop: Header=BB6_3218 Depth=4
	buffer_load_dword v48, off, s[0:3], s33 offset:160 ; 4-byte Folded Reload
	buffer_load_dword v49, off, s[0:3], s33 offset:164 ; 4-byte Folded Reload
	v_mov_b32_e32 v1, 0xff800000
	v_mov_b32_e32 v33, 0x7f800000
	s_waitcnt vmcnt(1)
	v_cmp_lt_i16_e32 vcc, -1, v48
	v_cndmask_b32_e32 v1, v1, v33, vcc
	v_cmp_eq_u32_e32 vcc, 0, v2
	v_mov_b32_e32 v2, 0x7f800001
	v_cndmask_b32_e32 v1, v2, v1, vcc
.LBB6_4344:                             ;   in Loop: Header=BB6_3218 Depth=4
	s_or_b64 exec, exec, s[36:37]
.LBB6_4345:                             ;   in Loop: Header=BB6_3218 Depth=4
	s_or_b64 exec, exec, s[34:35]
.LBB6_4346:                             ;   in Loop: Header=BB6_3218 Depth=4
	s_or_b64 exec, exec, s[28:29]
	buffer_load_dword v48, off, s[0:3], s33 offset:152 ; 4-byte Folded Reload
	buffer_load_dword v49, off, s[0:3], s33 offset:156 ; 4-byte Folded Reload
	s_waitcnt vmcnt(1)
	v_mov_b32_e32 v33, v48
	v_cmp_ne_u16_e32 vcc, 0, v33
	s_and_saveexec_b64 s[28:29], vcc
	s_cbranch_execz .LBB6_4354
; %bb.4347:                             ;   in Loop: Header=BB6_3218 Depth=4
	v_cmp_ne_u16_e32 vcc, s80, v33
	v_bfrev_b32_e32 v0, 1
	s_and_saveexec_b64 s[34:35], vcc
	s_cbranch_execz .LBB6_4353
; %bb.4348:                             ;   in Loop: Header=BB6_3218 Depth=4
	v_and_b32_e32 v0, 0x7c, v33
	v_and_b32_e32 v2, 3, v33
	v_cmp_ne_u32_e32 vcc, s81, v0
                                        ; implicit-def: $vgpr0
	s_and_saveexec_b64 s[36:37], vcc
	s_xor_b64 s[36:37], exec, s[36:37]
	s_cbranch_execz .LBB6_4350
; %bb.4349:                             ;   in Loop: Header=BB6_3218 Depth=4
	buffer_load_dword v50, off, s[0:3], s33 offset:152 ; 4-byte Folded Reload
	buffer_load_dword v51, off, s[0:3], s33 offset:156 ; 4-byte Folded Reload
	v_ffbh_u32_e32 v33, v2
	v_min_u32_e32 v33, 32, v33
	s_waitcnt vmcnt(0)
	v_mov_b32_e32 v51, v34
	v_subrev_u32_e32 v48, 29, v33
	v_sub_u32_e32 v33, 30, v33
	v_and_b32_e32 v0, 0xff, v50
	v_bfe_u32 v0, v0, 2, 5
	v_lshlrev_b64 v[48:49], v48, v[50:51]
	v_cmp_eq_u32_e32 vcc, 0, v0
	v_and_b32_e32 v48, 3, v48
	v_cndmask_b32_e32 v0, v0, v33, vcc
	v_and_b32_sdwa v33, sext(v50), s82 dst_sel:DWORD dst_unused:UNUSED_PAD src0_sel:WORD_0 src1_sel:DWORD
	v_cndmask_b32_e32 v2, v2, v48, vcc
	v_lshl_add_u32 v0, v0, 23, v33
	v_lshl_or_b32 v0, v2, 21, v0
	v_add_u32_e32 v0, 0x38000000, v0
                                        ; implicit-def: $vgpr33
                                        ; implicit-def: $vgpr2
	buffer_store_dword v33, off, s[0:3], s33 offset:152 ; 4-byte Folded Spill
	s_nop 0
	buffer_store_dword v34, off, s[0:3], s33 offset:156 ; 4-byte Folded Spill
.LBB6_4350:                             ;   in Loop: Header=BB6_3218 Depth=4
	s_andn2_saveexec_b64 s[36:37], s[36:37]
	s_cbranch_execz .LBB6_4352
; %bb.4351:                             ;   in Loop: Header=BB6_3218 Depth=4
	buffer_load_dword v48, off, s[0:3], s33 offset:152 ; 4-byte Folded Reload
	buffer_load_dword v49, off, s[0:3], s33 offset:156 ; 4-byte Folded Reload
	v_mov_b32_e32 v0, 0xff800000
	v_mov_b32_e32 v33, 0x7f800000
	s_waitcnt vmcnt(1)
	v_cmp_lt_i16_e32 vcc, -1, v48
	v_cndmask_b32_e32 v0, v0, v33, vcc
	v_cmp_eq_u32_e32 vcc, 0, v2
	v_mov_b32_e32 v2, 0x7f800001
	v_cndmask_b32_e32 v0, v2, v0, vcc
.LBB6_4352:                             ;   in Loop: Header=BB6_3218 Depth=4
	s_or_b64 exec, exec, s[36:37]
.LBB6_4353:                             ;   in Loop: Header=BB6_3218 Depth=4
	s_or_b64 exec, exec, s[34:35]
.LBB6_4354:                             ;   in Loop: Header=BB6_3218 Depth=4
	s_or_b64 exec, exec, s[28:29]
	v_mul_f32_e32 v0, v1, v0
	v_and_b32_e32 v1, 0x7f800000, v0
	v_mov_b32_e32 v2, v34
	v_cmp_ne_u64_e32 vcc, s[76:77], v[1:2]
	v_and_b32_e32 v33, 0x7fffff, v0
                                        ; implicit-def: $vgpr48
	s_and_saveexec_b64 s[28:29], vcc
	s_xor_b64 s[34:35], exec, s[28:29]
	s_cbranch_execz .LBB6_4372
; %bb.4355:                             ;   in Loop: Header=BB6_3218 Depth=4
	v_and_b32_e32 v1, 0x7fffffff, v0
	v_mov_b32_e32 v2, v34
	v_cmp_gt_u64_e32 vcc, s[78:79], v[1:2]
	s_waitcnt vmcnt(0)
	v_and_b32_sdwa v49, v0, s44 dst_sel:DWORD dst_unused:UNUSED_PAD src0_sel:BYTE_3 src1_sel:DWORD
                                        ; implicit-def: $vgpr48
	s_and_saveexec_b64 s[28:29], vcc
	s_xor_b64 s[36:37], exec, s[28:29]
	s_cbranch_execz .LBB6_4369
; %bb.4356:                             ;   in Loop: Header=BB6_3218 Depth=4
	v_cmp_ne_u32_e32 vcc, 0, v0
	v_mov_b32_e32 v48, 0
	s_and_saveexec_b64 s[38:39], vcc
	s_cbranch_execz .LBB6_4368
; %bb.4357:                             ;   in Loop: Header=BB6_3218 Depth=4
	v_bfe_u32 v48, v0, 23, 8
	v_cmp_gt_u32_e64 s[28:29], s45, v48
	v_sub_u32_e32 v0, 0x71, v48
	v_cmp_eq_u32_e32 vcc, 0, v48
	v_cndmask_b32_e64 v0, 0, v0, s[28:29]
	v_mov_b32_e32 v2, 0x70
	v_cndmask_b32_e32 v50, v0, v2, vcc
	v_add_u32_e32 v2, 21, v50
	v_or_b32_e32 v1, 0x800000, v33
	v_lshlrev_b64 v[51:52], v2, -1
	v_cndmask_b32_e32 v0, v1, v33, vcc
	v_mov_b32_e32 v1, v34
	v_add_u32_e32 v2, 20, v50
	v_bfi_b32 v51, v51, 0, v0
	v_lshlrev_b64 v[53:54], v2, 1
	v_lshrrev_b64 v[0:1], v50, v[0:1]
	v_bfi_b32 v52, v52, 0, 0
	v_cmp_eq_u64_e64 s[28:29], v[51:52], v[53:54]
	v_mov_b32_e32 v2, v1
	v_mov_b32_e32 v1, v0
	s_and_saveexec_b64 s[48:49], s[28:29]
; %bb.4358:                             ;   in Loop: Header=BB6_3218 Depth=4
	v_bfe_u32 v1, v0, 21, 1
	v_add_co_u32_e64 v1, s[28:29], v0, v1
	v_add_co_u32_e64 v1, s[28:29], -1, v1
; %bb.4359:                             ;   in Loop: Header=BB6_3218 Depth=4
	s_or_b64 exec, exec, s[48:49]
	v_add_u32_e32 v2, 0xffffff81, v48
	v_mov_b32_e32 v33, 0xffffff82
	v_cndmask_b32_e32 v2, v2, v33, vcc
	v_lshrrev_b32_e32 v33, 23, v0
	v_add3_u32 v50, v50, v2, v33
	v_add_u32_e32 v48, 14, v50
	v_and_b32_e32 v1, 0x1fffff, v1
	v_add_u32_e32 v33, v1, v0
	v_cmp_ne_u32_e32 vcc, 0, v48
                                        ; implicit-def: $vgpr0_vgpr1
                                        ; implicit-def: $vgpr2
	s_and_saveexec_b64 s[28:29], vcc
	s_xor_b64 s[28:29], exec, s[28:29]
; %bb.4360:                             ;   in Loop: Header=BB6_3218 Depth=4
	v_cmp_lt_u64_e32 vcc, s[88:89], v[33:34]
	v_add_u32_e32 v0, 15, v50
	v_cndmask_b32_e32 v2, v48, v0, vcc
	v_cndmask_b32_e64 v0, 0, 1, vcc
	v_lshrrev_b64 v[0:1], v0, v[33:34]
; %bb.4361:                             ;   in Loop: Header=BB6_3218 Depth=4
	s_andn2_saveexec_b64 s[28:29], s[28:29]
; %bb.4362:                             ;   in Loop: Header=BB6_3218 Depth=4
	v_mov_b32_e32 v0, v33
	v_mov_b32_e32 v1, v34
	v_bfe_u32 v2, v33, 23, 1
; %bb.4363:                             ;   in Loop: Header=BB6_3218 Depth=4
	s_or_b64 exec, exec, s[28:29]
	v_lshrrev_b64 v[0:1], 21, v[0:1]
	v_cmp_gt_i32_e32 vcc, 32, v2
	v_cndmask_b32_e32 v1, 0, v1, vcc
	v_cndmask_b32_e32 v0, 3, v0, vcc
	v_cmp_ne_u64_e32 vcc, 0, v[0:1]
	v_cmp_ne_u32_e64 s[28:29], 0, v2
	s_or_b64 s[28:29], s[28:29], vcc
                                        ; implicit-def: $vgpr48
	s_and_saveexec_b64 vcc, s[28:29]
	s_xor_b64 s[28:29], exec, vcc
; %bb.4364:                             ;   in Loop: Header=BB6_3218 Depth=4
	v_min_i32_e32 v1, 31, v2
	v_lshl_or_b32 v1, v1, 2, v49
	v_and_or_b32 v48, v0, 3, v1
                                        ; implicit-def: $vgpr49
; %bb.4365:                             ;   in Loop: Header=BB6_3218 Depth=4
	s_andn2_saveexec_b64 s[28:29], s[28:29]
; %bb.4366:                             ;   in Loop: Header=BB6_3218 Depth=4
	v_mov_b32_e32 v48, v49
; %bb.4367:                             ;   in Loop: Header=BB6_3218 Depth=4
	s_or_b64 exec, exec, s[28:29]
.LBB6_4368:                             ;   in Loop: Header=BB6_3218 Depth=4
	s_or_b64 exec, exec, s[38:39]
                                        ; implicit-def: $vgpr49
.LBB6_4369:                             ;   in Loop: Header=BB6_3218 Depth=4
	s_andn2_saveexec_b64 s[28:29], s[36:37]
; %bb.4370:                             ;   in Loop: Header=BB6_3218 Depth=4
	v_or_b32_e32 v48, 0x7b, v49
; %bb.4371:                             ;   in Loop: Header=BB6_3218 Depth=4
	s_or_b64 exec, exec, s[28:29]
                                        ; implicit-def: $vgpr0
.LBB6_4372:                             ;   in Loop: Header=BB6_3218 Depth=4
	s_andn2_saveexec_b64 s[28:29], s[34:35]
	s_cbranch_execz .LBB6_4378
; %bb.4373:                             ;   in Loop: Header=BB6_3218 Depth=4
	v_cmp_ne_u64_e32 vcc, 0, v[33:34]
                                        ; implicit-def: $vgpr48
	s_and_saveexec_b64 s[34:35], vcc
	s_xor_b64 vcc, exec, s[34:35]
; %bb.4374:                             ;   in Loop: Header=BB6_3218 Depth=4
	v_or_b32_sdwa v48, v0, s83 dst_sel:DWORD dst_unused:UNUSED_PAD src0_sel:BYTE_3 src1_sel:DWORD
                                        ; implicit-def: $vgpr0
; %bb.4375:                             ;   in Loop: Header=BB6_3218 Depth=4
	s_andn2_saveexec_b64 s[34:35], vcc
; %bb.4376:                             ;   in Loop: Header=BB6_3218 Depth=4
	v_cmp_lt_i32_e32 vcc, -1, v0
	v_mov_b32_e32 v0, 0x7c
	v_cndmask_b32_e32 v48, -4, v0, vcc
; %bb.4377:                             ;   in Loop: Header=BB6_3218 Depth=4
	s_or_b64 exec, exec, s[34:35]
.LBB6_4378:                             ;   in Loop: Header=BB6_3218 Depth=4
	s_or_b64 exec, exec, s[28:29]
	buffer_load_dword v0, off, s[0:3], s33 offset:144 ; 4-byte Folded Reload
	buffer_load_dword v1, off, s[0:3], s33 offset:148 ; 4-byte Folded Reload
	s_waitcnt vmcnt(0)
	v_mov_b32_e32 v1, 0
	v_mov_b32_e32 v33, v0
	v_cmp_ne_u16_e32 vcc, 0, v33
	v_mov_b32_e32 v0, 0
	s_and_saveexec_b64 s[28:29], vcc
	s_cbranch_execz .LBB6_4386
; %bb.4379:                             ;   in Loop: Header=BB6_3218 Depth=4
	v_cmp_ne_u16_e32 vcc, s80, v33
	v_bfrev_b32_e32 v1, 1
	s_and_saveexec_b64 s[34:35], vcc
	s_cbranch_execz .LBB6_4385
; %bb.4380:                             ;   in Loop: Header=BB6_3218 Depth=4
	v_and_b32_e32 v1, 0x7c, v33
	v_and_b32_e32 v2, 3, v33
	v_cmp_ne_u32_e32 vcc, s81, v1
                                        ; implicit-def: $vgpr1
	s_and_saveexec_b64 s[36:37], vcc
	s_xor_b64 s[36:37], exec, s[36:37]
	s_cbranch_execz .LBB6_4382
; %bb.4381:                             ;   in Loop: Header=BB6_3218 Depth=4
	buffer_load_dword v51, off, s[0:3], s33 offset:144 ; 4-byte Folded Reload
	buffer_load_dword v52, off, s[0:3], s33 offset:148 ; 4-byte Folded Reload
	v_ffbh_u32_e32 v33, v2
	v_min_u32_e32 v33, 32, v33
	s_waitcnt vmcnt(0)
	v_mov_b32_e32 v52, v34
	v_subrev_u32_e32 v49, 29, v33
	v_sub_u32_e32 v33, 30, v33
	v_and_b32_e32 v1, 0xff, v51
	v_bfe_u32 v1, v1, 2, 5
	v_lshlrev_b64 v[49:50], v49, v[51:52]
	v_cmp_eq_u32_e32 vcc, 0, v1
	v_and_b32_e32 v49, 3, v49
	v_cndmask_b32_e32 v1, v1, v33, vcc
	v_and_b32_sdwa v33, sext(v51), s82 dst_sel:DWORD dst_unused:UNUSED_PAD src0_sel:WORD_0 src1_sel:DWORD
	v_cndmask_b32_e32 v2, v2, v49, vcc
	v_lshl_add_u32 v1, v1, 23, v33
	v_lshl_or_b32 v1, v2, 21, v1
	v_add_u32_e32 v1, 0x38000000, v1
                                        ; implicit-def: $vgpr33
                                        ; implicit-def: $vgpr2
	buffer_store_dword v33, off, s[0:3], s33 offset:144 ; 4-byte Folded Spill
	s_nop 0
	buffer_store_dword v34, off, s[0:3], s33 offset:148 ; 4-byte Folded Spill
.LBB6_4382:                             ;   in Loop: Header=BB6_3218 Depth=4
	s_andn2_saveexec_b64 s[36:37], s[36:37]
	s_cbranch_execz .LBB6_4384
; %bb.4383:                             ;   in Loop: Header=BB6_3218 Depth=4
	buffer_load_dword v49, off, s[0:3], s33 offset:144 ; 4-byte Folded Reload
	buffer_load_dword v50, off, s[0:3], s33 offset:148 ; 4-byte Folded Reload
	v_mov_b32_e32 v1, 0xff800000
	v_mov_b32_e32 v33, 0x7f800000
	s_waitcnt vmcnt(1)
	v_cmp_lt_i16_e32 vcc, -1, v49
	v_cndmask_b32_e32 v1, v1, v33, vcc
	v_cmp_eq_u32_e32 vcc, 0, v2
	v_mov_b32_e32 v2, 0x7f800001
	v_cndmask_b32_e32 v1, v2, v1, vcc
.LBB6_4384:                             ;   in Loop: Header=BB6_3218 Depth=4
	s_or_b64 exec, exec, s[36:37]
.LBB6_4385:                             ;   in Loop: Header=BB6_3218 Depth=4
	s_or_b64 exec, exec, s[34:35]
.LBB6_4386:                             ;   in Loop: Header=BB6_3218 Depth=4
	s_or_b64 exec, exec, s[28:29]
	buffer_load_dword v49, off, s[0:3], s33 offset:136 ; 4-byte Folded Reload
	buffer_load_dword v50, off, s[0:3], s33 offset:140 ; 4-byte Folded Reload
	s_waitcnt vmcnt(1)
	v_mov_b32_e32 v33, v49
	v_cmp_ne_u16_e32 vcc, 0, v33
	s_and_saveexec_b64 s[28:29], vcc
	s_cbranch_execz .LBB6_4394
; %bb.4387:                             ;   in Loop: Header=BB6_3218 Depth=4
	v_cmp_ne_u16_e32 vcc, s80, v33
	v_bfrev_b32_e32 v0, 1
	s_and_saveexec_b64 s[34:35], vcc
	s_cbranch_execz .LBB6_4393
; %bb.4388:                             ;   in Loop: Header=BB6_3218 Depth=4
	v_and_b32_e32 v0, 0x7c, v33
	v_and_b32_e32 v2, 3, v33
	v_cmp_ne_u32_e32 vcc, s81, v0
                                        ; implicit-def: $vgpr0
	s_and_saveexec_b64 s[36:37], vcc
	s_xor_b64 s[36:37], exec, s[36:37]
	s_cbranch_execz .LBB6_4390
; %bb.4389:                             ;   in Loop: Header=BB6_3218 Depth=4
	buffer_load_dword v51, off, s[0:3], s33 offset:136 ; 4-byte Folded Reload
	buffer_load_dword v52, off, s[0:3], s33 offset:140 ; 4-byte Folded Reload
	v_ffbh_u32_e32 v33, v2
	v_min_u32_e32 v33, 32, v33
	s_waitcnt vmcnt(0)
	v_mov_b32_e32 v52, v34
	v_subrev_u32_e32 v49, 29, v33
	v_sub_u32_e32 v33, 30, v33
	v_and_b32_e32 v0, 0xff, v51
	v_bfe_u32 v0, v0, 2, 5
	v_lshlrev_b64 v[49:50], v49, v[51:52]
	v_cmp_eq_u32_e32 vcc, 0, v0
	v_and_b32_e32 v49, 3, v49
	v_cndmask_b32_e32 v0, v0, v33, vcc
	v_and_b32_sdwa v33, sext(v51), s82 dst_sel:DWORD dst_unused:UNUSED_PAD src0_sel:WORD_0 src1_sel:DWORD
	v_cndmask_b32_e32 v2, v2, v49, vcc
	v_lshl_add_u32 v0, v0, 23, v33
	v_lshl_or_b32 v0, v2, 21, v0
	v_add_u32_e32 v0, 0x38000000, v0
                                        ; implicit-def: $vgpr33
                                        ; implicit-def: $vgpr2
	buffer_store_dword v33, off, s[0:3], s33 offset:136 ; 4-byte Folded Spill
	s_nop 0
	buffer_store_dword v34, off, s[0:3], s33 offset:140 ; 4-byte Folded Spill
.LBB6_4390:                             ;   in Loop: Header=BB6_3218 Depth=4
	s_andn2_saveexec_b64 s[36:37], s[36:37]
	s_cbranch_execz .LBB6_4392
; %bb.4391:                             ;   in Loop: Header=BB6_3218 Depth=4
	buffer_load_dword v49, off, s[0:3], s33 offset:136 ; 4-byte Folded Reload
	buffer_load_dword v50, off, s[0:3], s33 offset:140 ; 4-byte Folded Reload
	v_mov_b32_e32 v0, 0xff800000
	v_mov_b32_e32 v33, 0x7f800000
	s_waitcnt vmcnt(1)
	v_cmp_lt_i16_e32 vcc, -1, v49
	v_cndmask_b32_e32 v0, v0, v33, vcc
	v_cmp_eq_u32_e32 vcc, 0, v2
	v_mov_b32_e32 v2, 0x7f800001
	v_cndmask_b32_e32 v0, v2, v0, vcc
.LBB6_4392:                             ;   in Loop: Header=BB6_3218 Depth=4
	s_or_b64 exec, exec, s[36:37]
.LBB6_4393:                             ;   in Loop: Header=BB6_3218 Depth=4
	s_or_b64 exec, exec, s[34:35]
.LBB6_4394:                             ;   in Loop: Header=BB6_3218 Depth=4
	s_or_b64 exec, exec, s[28:29]
	v_mul_f32_e32 v0, v1, v0
	v_and_b32_e32 v1, 0x7f800000, v0
	v_mov_b32_e32 v2, v34
	v_cmp_ne_u64_e32 vcc, s[76:77], v[1:2]
	v_and_b32_e32 v33, 0x7fffff, v0
                                        ; implicit-def: $vgpr49
	s_and_saveexec_b64 s[28:29], vcc
	s_xor_b64 s[34:35], exec, s[28:29]
	s_cbranch_execz .LBB6_4412
; %bb.4395:                             ;   in Loop: Header=BB6_3218 Depth=4
	v_and_b32_e32 v1, 0x7fffffff, v0
	v_mov_b32_e32 v2, v34
	v_cmp_gt_u64_e32 vcc, s[78:79], v[1:2]
	s_waitcnt vmcnt(0)
	v_and_b32_sdwa v50, v0, s44 dst_sel:DWORD dst_unused:UNUSED_PAD src0_sel:BYTE_3 src1_sel:DWORD
                                        ; implicit-def: $vgpr49
	s_and_saveexec_b64 s[28:29], vcc
	s_xor_b64 s[36:37], exec, s[28:29]
	s_cbranch_execz .LBB6_4409
; %bb.4396:                             ;   in Loop: Header=BB6_3218 Depth=4
	v_cmp_ne_u32_e32 vcc, 0, v0
	v_mov_b32_e32 v49, 0
	s_and_saveexec_b64 s[38:39], vcc
	s_cbranch_execz .LBB6_4408
; %bb.4397:                             ;   in Loop: Header=BB6_3218 Depth=4
	v_bfe_u32 v49, v0, 23, 8
	v_cmp_gt_u32_e64 s[28:29], s45, v49
	v_sub_u32_e32 v0, 0x71, v49
	v_cmp_eq_u32_e32 vcc, 0, v49
	v_cndmask_b32_e64 v0, 0, v0, s[28:29]
	v_mov_b32_e32 v2, 0x70
	v_cndmask_b32_e32 v51, v0, v2, vcc
	v_add_u32_e32 v2, 21, v51
	v_or_b32_e32 v1, 0x800000, v33
	v_lshlrev_b64 v[52:53], v2, -1
	v_cndmask_b32_e32 v0, v1, v33, vcc
	v_mov_b32_e32 v1, v34
	v_add_u32_e32 v2, 20, v51
	v_bfi_b32 v52, v52, 0, v0
	v_lshlrev_b64 v[54:55], v2, 1
	v_lshrrev_b64 v[0:1], v51, v[0:1]
	v_bfi_b32 v53, v53, 0, 0
	v_cmp_eq_u64_e64 s[28:29], v[52:53], v[54:55]
	v_mov_b32_e32 v2, v1
	v_mov_b32_e32 v1, v0
	s_and_saveexec_b64 s[48:49], s[28:29]
; %bb.4398:                             ;   in Loop: Header=BB6_3218 Depth=4
	v_bfe_u32 v1, v0, 21, 1
	v_add_co_u32_e64 v1, s[28:29], v0, v1
	v_add_co_u32_e64 v1, s[28:29], -1, v1
; %bb.4399:                             ;   in Loop: Header=BB6_3218 Depth=4
	s_or_b64 exec, exec, s[48:49]
	v_add_u32_e32 v2, 0xffffff81, v49
	v_mov_b32_e32 v33, 0xffffff82
	v_cndmask_b32_e32 v2, v2, v33, vcc
	v_lshrrev_b32_e32 v33, 23, v0
	v_add3_u32 v51, v51, v2, v33
	v_add_u32_e32 v49, 14, v51
	v_and_b32_e32 v1, 0x1fffff, v1
	v_add_u32_e32 v33, v1, v0
	v_cmp_ne_u32_e32 vcc, 0, v49
                                        ; implicit-def: $vgpr0_vgpr1
                                        ; implicit-def: $vgpr2
	s_and_saveexec_b64 s[28:29], vcc
	s_xor_b64 s[28:29], exec, s[28:29]
; %bb.4400:                             ;   in Loop: Header=BB6_3218 Depth=4
	v_cmp_lt_u64_e32 vcc, s[88:89], v[33:34]
	v_add_u32_e32 v0, 15, v51
	v_cndmask_b32_e32 v2, v49, v0, vcc
	v_cndmask_b32_e64 v0, 0, 1, vcc
	v_lshrrev_b64 v[0:1], v0, v[33:34]
; %bb.4401:                             ;   in Loop: Header=BB6_3218 Depth=4
	s_andn2_saveexec_b64 s[28:29], s[28:29]
; %bb.4402:                             ;   in Loop: Header=BB6_3218 Depth=4
	v_mov_b32_e32 v0, v33
	v_mov_b32_e32 v1, v34
	v_bfe_u32 v2, v33, 23, 1
; %bb.4403:                             ;   in Loop: Header=BB6_3218 Depth=4
	s_or_b64 exec, exec, s[28:29]
	v_lshrrev_b64 v[0:1], 21, v[0:1]
	v_cmp_gt_i32_e32 vcc, 32, v2
	v_cndmask_b32_e32 v1, 0, v1, vcc
	v_cndmask_b32_e32 v0, 3, v0, vcc
	v_cmp_ne_u64_e32 vcc, 0, v[0:1]
	v_cmp_ne_u32_e64 s[28:29], 0, v2
	s_or_b64 s[28:29], s[28:29], vcc
                                        ; implicit-def: $vgpr49
	s_and_saveexec_b64 vcc, s[28:29]
	s_xor_b64 s[28:29], exec, vcc
; %bb.4404:                             ;   in Loop: Header=BB6_3218 Depth=4
	v_min_i32_e32 v1, 31, v2
	v_lshl_or_b32 v1, v1, 2, v50
	v_and_or_b32 v49, v0, 3, v1
                                        ; implicit-def: $vgpr50
; %bb.4405:                             ;   in Loop: Header=BB6_3218 Depth=4
	s_andn2_saveexec_b64 s[28:29], s[28:29]
; %bb.4406:                             ;   in Loop: Header=BB6_3218 Depth=4
	v_mov_b32_e32 v49, v50
; %bb.4407:                             ;   in Loop: Header=BB6_3218 Depth=4
	s_or_b64 exec, exec, s[28:29]
.LBB6_4408:                             ;   in Loop: Header=BB6_3218 Depth=4
	s_or_b64 exec, exec, s[38:39]
                                        ; implicit-def: $vgpr50
.LBB6_4409:                             ;   in Loop: Header=BB6_3218 Depth=4
	s_andn2_saveexec_b64 s[28:29], s[36:37]
; %bb.4410:                             ;   in Loop: Header=BB6_3218 Depth=4
	v_or_b32_e32 v49, 0x7b, v50
; %bb.4411:                             ;   in Loop: Header=BB6_3218 Depth=4
	s_or_b64 exec, exec, s[28:29]
                                        ; implicit-def: $vgpr0
.LBB6_4412:                             ;   in Loop: Header=BB6_3218 Depth=4
	s_andn2_saveexec_b64 s[28:29], s[34:35]
	s_cbranch_execz .LBB6_4418
; %bb.4413:                             ;   in Loop: Header=BB6_3218 Depth=4
	v_cmp_ne_u64_e32 vcc, 0, v[33:34]
                                        ; implicit-def: $vgpr49
	s_and_saveexec_b64 s[34:35], vcc
	s_xor_b64 vcc, exec, s[34:35]
; %bb.4414:                             ;   in Loop: Header=BB6_3218 Depth=4
	v_or_b32_sdwa v49, v0, s83 dst_sel:DWORD dst_unused:UNUSED_PAD src0_sel:BYTE_3 src1_sel:DWORD
                                        ; implicit-def: $vgpr0
; %bb.4415:                             ;   in Loop: Header=BB6_3218 Depth=4
	s_andn2_saveexec_b64 s[34:35], vcc
; %bb.4416:                             ;   in Loop: Header=BB6_3218 Depth=4
	v_cmp_lt_i32_e32 vcc, -1, v0
	v_mov_b32_e32 v0, 0x7c
	v_cndmask_b32_e32 v49, -4, v0, vcc
; %bb.4417:                             ;   in Loop: Header=BB6_3218 Depth=4
	s_or_b64 exec, exec, s[34:35]
.LBB6_4418:                             ;   in Loop: Header=BB6_3218 Depth=4
	s_or_b64 exec, exec, s[28:29]
	buffer_load_dword v0, off, s[0:3], s33 offset:128 ; 4-byte Folded Reload
	buffer_load_dword v1, off, s[0:3], s33 offset:132 ; 4-byte Folded Reload
	s_waitcnt vmcnt(0)
	v_mov_b32_e32 v1, 0
	v_mov_b32_e32 v33, v0
	v_cmp_ne_u16_e32 vcc, 0, v33
	v_mov_b32_e32 v0, 0
	s_and_saveexec_b64 s[28:29], vcc
	s_cbranch_execz .LBB6_4426
; %bb.4419:                             ;   in Loop: Header=BB6_3218 Depth=4
	v_cmp_ne_u16_e32 vcc, s80, v33
	v_bfrev_b32_e32 v1, 1
	s_and_saveexec_b64 s[34:35], vcc
	s_cbranch_execz .LBB6_4425
; %bb.4420:                             ;   in Loop: Header=BB6_3218 Depth=4
	v_and_b32_e32 v1, 0x7c, v33
	v_and_b32_e32 v2, 3, v33
	v_cmp_ne_u32_e32 vcc, s81, v1
                                        ; implicit-def: $vgpr1
	s_and_saveexec_b64 s[36:37], vcc
	s_xor_b64 s[36:37], exec, s[36:37]
	s_cbranch_execz .LBB6_4422
; %bb.4421:                             ;   in Loop: Header=BB6_3218 Depth=4
	buffer_load_dword v52, off, s[0:3], s33 offset:128 ; 4-byte Folded Reload
	buffer_load_dword v53, off, s[0:3], s33 offset:132 ; 4-byte Folded Reload
	v_ffbh_u32_e32 v33, v2
	v_min_u32_e32 v33, 32, v33
	s_waitcnt vmcnt(0)
	v_mov_b32_e32 v53, v34
	v_subrev_u32_e32 v50, 29, v33
	v_sub_u32_e32 v33, 30, v33
	v_and_b32_e32 v1, 0xff, v52
	v_bfe_u32 v1, v1, 2, 5
	v_lshlrev_b64 v[50:51], v50, v[52:53]
	v_cmp_eq_u32_e32 vcc, 0, v1
	v_and_b32_e32 v50, 3, v50
	v_cndmask_b32_e32 v1, v1, v33, vcc
	v_and_b32_sdwa v33, sext(v52), s82 dst_sel:DWORD dst_unused:UNUSED_PAD src0_sel:WORD_0 src1_sel:DWORD
	v_cndmask_b32_e32 v2, v2, v50, vcc
	v_lshl_add_u32 v1, v1, 23, v33
	v_lshl_or_b32 v1, v2, 21, v1
	v_add_u32_e32 v1, 0x38000000, v1
                                        ; implicit-def: $vgpr33
                                        ; implicit-def: $vgpr2
	buffer_store_dword v33, off, s[0:3], s33 offset:128 ; 4-byte Folded Spill
	s_nop 0
	buffer_store_dword v34, off, s[0:3], s33 offset:132 ; 4-byte Folded Spill
.LBB6_4422:                             ;   in Loop: Header=BB6_3218 Depth=4
	s_andn2_saveexec_b64 s[36:37], s[36:37]
	s_cbranch_execz .LBB6_4424
; %bb.4423:                             ;   in Loop: Header=BB6_3218 Depth=4
	buffer_load_dword v50, off, s[0:3], s33 offset:128 ; 4-byte Folded Reload
	buffer_load_dword v51, off, s[0:3], s33 offset:132 ; 4-byte Folded Reload
	v_mov_b32_e32 v1, 0xff800000
	v_mov_b32_e32 v33, 0x7f800000
	s_waitcnt vmcnt(1)
	v_cmp_lt_i16_e32 vcc, -1, v50
	v_cndmask_b32_e32 v1, v1, v33, vcc
	v_cmp_eq_u32_e32 vcc, 0, v2
	v_mov_b32_e32 v2, 0x7f800001
	v_cndmask_b32_e32 v1, v2, v1, vcc
.LBB6_4424:                             ;   in Loop: Header=BB6_3218 Depth=4
	s_or_b64 exec, exec, s[36:37]
.LBB6_4425:                             ;   in Loop: Header=BB6_3218 Depth=4
	s_or_b64 exec, exec, s[34:35]
.LBB6_4426:                             ;   in Loop: Header=BB6_3218 Depth=4
	s_or_b64 exec, exec, s[28:29]
	buffer_load_dword v50, off, s[0:3], s33 offset:120 ; 4-byte Folded Reload
	buffer_load_dword v51, off, s[0:3], s33 offset:124 ; 4-byte Folded Reload
	s_waitcnt vmcnt(1)
	v_mov_b32_e32 v33, v50
	v_cmp_ne_u16_e32 vcc, 0, v33
	s_and_saveexec_b64 s[28:29], vcc
	s_cbranch_execz .LBB6_4434
; %bb.4427:                             ;   in Loop: Header=BB6_3218 Depth=4
	v_cmp_ne_u16_e32 vcc, s80, v33
	v_bfrev_b32_e32 v0, 1
	s_and_saveexec_b64 s[34:35], vcc
	s_cbranch_execz .LBB6_4433
; %bb.4428:                             ;   in Loop: Header=BB6_3218 Depth=4
	v_and_b32_e32 v0, 0x7c, v33
	v_and_b32_e32 v2, 3, v33
	v_cmp_ne_u32_e32 vcc, s81, v0
                                        ; implicit-def: $vgpr0
	s_and_saveexec_b64 s[36:37], vcc
	s_xor_b64 s[36:37], exec, s[36:37]
	s_cbranch_execz .LBB6_4430
; %bb.4429:                             ;   in Loop: Header=BB6_3218 Depth=4
	buffer_load_dword v52, off, s[0:3], s33 offset:120 ; 4-byte Folded Reload
	buffer_load_dword v53, off, s[0:3], s33 offset:124 ; 4-byte Folded Reload
	v_ffbh_u32_e32 v33, v2
	v_min_u32_e32 v33, 32, v33
	s_waitcnt vmcnt(0)
	v_mov_b32_e32 v53, v34
	v_subrev_u32_e32 v50, 29, v33
	v_sub_u32_e32 v33, 30, v33
	v_and_b32_e32 v0, 0xff, v52
	v_bfe_u32 v0, v0, 2, 5
	v_lshlrev_b64 v[50:51], v50, v[52:53]
	v_cmp_eq_u32_e32 vcc, 0, v0
	v_and_b32_e32 v50, 3, v50
	v_cndmask_b32_e32 v0, v0, v33, vcc
	v_and_b32_sdwa v33, sext(v52), s82 dst_sel:DWORD dst_unused:UNUSED_PAD src0_sel:WORD_0 src1_sel:DWORD
	v_cndmask_b32_e32 v2, v2, v50, vcc
	v_lshl_add_u32 v0, v0, 23, v33
	v_lshl_or_b32 v0, v2, 21, v0
	v_add_u32_e32 v0, 0x38000000, v0
                                        ; implicit-def: $vgpr33
                                        ; implicit-def: $vgpr2
	buffer_store_dword v33, off, s[0:3], s33 offset:120 ; 4-byte Folded Spill
	s_nop 0
	buffer_store_dword v34, off, s[0:3], s33 offset:124 ; 4-byte Folded Spill
.LBB6_4430:                             ;   in Loop: Header=BB6_3218 Depth=4
	s_andn2_saveexec_b64 s[36:37], s[36:37]
	s_cbranch_execz .LBB6_4432
; %bb.4431:                             ;   in Loop: Header=BB6_3218 Depth=4
	buffer_load_dword v50, off, s[0:3], s33 offset:120 ; 4-byte Folded Reload
	buffer_load_dword v51, off, s[0:3], s33 offset:124 ; 4-byte Folded Reload
	v_mov_b32_e32 v0, 0xff800000
	v_mov_b32_e32 v33, 0x7f800000
	s_waitcnt vmcnt(1)
	v_cmp_lt_i16_e32 vcc, -1, v50
	v_cndmask_b32_e32 v0, v0, v33, vcc
	v_cmp_eq_u32_e32 vcc, 0, v2
	v_mov_b32_e32 v2, 0x7f800001
	v_cndmask_b32_e32 v0, v2, v0, vcc
.LBB6_4432:                             ;   in Loop: Header=BB6_3218 Depth=4
	s_or_b64 exec, exec, s[36:37]
.LBB6_4433:                             ;   in Loop: Header=BB6_3218 Depth=4
	s_or_b64 exec, exec, s[34:35]
.LBB6_4434:                             ;   in Loop: Header=BB6_3218 Depth=4
	s_or_b64 exec, exec, s[28:29]
	v_mul_f32_e32 v0, v1, v0
	v_and_b32_e32 v1, 0x7f800000, v0
	v_mov_b32_e32 v2, v34
	v_cmp_ne_u64_e32 vcc, s[76:77], v[1:2]
	v_and_b32_e32 v33, 0x7fffff, v0
                                        ; implicit-def: $vgpr50
	s_and_saveexec_b64 s[28:29], vcc
	s_xor_b64 s[34:35], exec, s[28:29]
	s_cbranch_execz .LBB6_4452
; %bb.4435:                             ;   in Loop: Header=BB6_3218 Depth=4
	v_and_b32_e32 v1, 0x7fffffff, v0
	v_mov_b32_e32 v2, v34
	v_cmp_gt_u64_e32 vcc, s[78:79], v[1:2]
	s_waitcnt vmcnt(0)
	v_and_b32_sdwa v51, v0, s44 dst_sel:DWORD dst_unused:UNUSED_PAD src0_sel:BYTE_3 src1_sel:DWORD
                                        ; implicit-def: $vgpr50
	s_and_saveexec_b64 s[28:29], vcc
	s_xor_b64 s[36:37], exec, s[28:29]
	s_cbranch_execz .LBB6_4449
; %bb.4436:                             ;   in Loop: Header=BB6_3218 Depth=4
	v_cmp_ne_u32_e32 vcc, 0, v0
	v_mov_b32_e32 v50, 0
	s_and_saveexec_b64 s[38:39], vcc
	s_cbranch_execz .LBB6_4448
; %bb.4437:                             ;   in Loop: Header=BB6_3218 Depth=4
	v_bfe_u32 v50, v0, 23, 8
	v_cmp_gt_u32_e64 s[28:29], s45, v50
	v_sub_u32_e32 v0, 0x71, v50
	v_cmp_eq_u32_e32 vcc, 0, v50
	v_cndmask_b32_e64 v0, 0, v0, s[28:29]
	v_mov_b32_e32 v2, 0x70
	v_cndmask_b32_e32 v52, v0, v2, vcc
	v_add_u32_e32 v2, 21, v52
	v_or_b32_e32 v1, 0x800000, v33
	v_lshlrev_b64 v[53:54], v2, -1
	v_cndmask_b32_e32 v0, v1, v33, vcc
	v_mov_b32_e32 v1, v34
	v_add_u32_e32 v2, 20, v52
	v_bfi_b32 v53, v53, 0, v0
	v_lshlrev_b64 v[40:41], v2, 1
	v_lshrrev_b64 v[0:1], v52, v[0:1]
	v_bfi_b32 v54, v54, 0, 0
	v_cmp_eq_u64_e64 s[28:29], v[53:54], v[40:41]
	v_mov_b32_e32 v2, v1
	v_mov_b32_e32 v1, v0
	s_and_saveexec_b64 s[48:49], s[28:29]
; %bb.4438:                             ;   in Loop: Header=BB6_3218 Depth=4
	v_bfe_u32 v1, v0, 21, 1
	v_add_co_u32_e64 v1, s[28:29], v0, v1
	v_add_co_u32_e64 v1, s[28:29], -1, v1
; %bb.4439:                             ;   in Loop: Header=BB6_3218 Depth=4
	s_or_b64 exec, exec, s[48:49]
	v_add_u32_e32 v2, 0xffffff81, v50
	v_mov_b32_e32 v33, 0xffffff82
	v_cndmask_b32_e32 v2, v2, v33, vcc
	v_lshrrev_b32_e32 v33, 23, v0
	v_add3_u32 v52, v52, v2, v33
	v_add_u32_e32 v50, 14, v52
	v_and_b32_e32 v1, 0x1fffff, v1
	v_add_u32_e32 v33, v1, v0
	v_cmp_ne_u32_e32 vcc, 0, v50
                                        ; implicit-def: $vgpr0_vgpr1
                                        ; implicit-def: $vgpr2
	s_and_saveexec_b64 s[28:29], vcc
	s_xor_b64 s[28:29], exec, s[28:29]
; %bb.4440:                             ;   in Loop: Header=BB6_3218 Depth=4
	v_cmp_lt_u64_e32 vcc, s[88:89], v[33:34]
	v_add_u32_e32 v0, 15, v52
	v_cndmask_b32_e32 v2, v50, v0, vcc
	v_cndmask_b32_e64 v0, 0, 1, vcc
	v_lshrrev_b64 v[0:1], v0, v[33:34]
; %bb.4441:                             ;   in Loop: Header=BB6_3218 Depth=4
	s_andn2_saveexec_b64 s[28:29], s[28:29]
; %bb.4442:                             ;   in Loop: Header=BB6_3218 Depth=4
	v_mov_b32_e32 v0, v33
	v_mov_b32_e32 v1, v34
	v_bfe_u32 v2, v33, 23, 1
; %bb.4443:                             ;   in Loop: Header=BB6_3218 Depth=4
	s_or_b64 exec, exec, s[28:29]
	v_lshrrev_b64 v[0:1], 21, v[0:1]
	v_cmp_gt_i32_e32 vcc, 32, v2
	v_cndmask_b32_e32 v1, 0, v1, vcc
	v_cndmask_b32_e32 v0, 3, v0, vcc
	v_cmp_ne_u64_e32 vcc, 0, v[0:1]
	v_cmp_ne_u32_e64 s[28:29], 0, v2
	s_or_b64 s[28:29], s[28:29], vcc
                                        ; implicit-def: $vgpr50
	s_and_saveexec_b64 vcc, s[28:29]
	s_xor_b64 s[28:29], exec, vcc
; %bb.4444:                             ;   in Loop: Header=BB6_3218 Depth=4
	v_min_i32_e32 v1, 31, v2
	v_lshl_or_b32 v1, v1, 2, v51
	v_and_or_b32 v50, v0, 3, v1
                                        ; implicit-def: $vgpr51
; %bb.4445:                             ;   in Loop: Header=BB6_3218 Depth=4
	s_andn2_saveexec_b64 s[28:29], s[28:29]
; %bb.4446:                             ;   in Loop: Header=BB6_3218 Depth=4
	v_mov_b32_e32 v50, v51
; %bb.4447:                             ;   in Loop: Header=BB6_3218 Depth=4
	s_or_b64 exec, exec, s[28:29]
.LBB6_4448:                             ;   in Loop: Header=BB6_3218 Depth=4
	s_or_b64 exec, exec, s[38:39]
                                        ; implicit-def: $vgpr51
.LBB6_4449:                             ;   in Loop: Header=BB6_3218 Depth=4
	s_andn2_saveexec_b64 s[28:29], s[36:37]
; %bb.4450:                             ;   in Loop: Header=BB6_3218 Depth=4
	v_or_b32_e32 v50, 0x7b, v51
; %bb.4451:                             ;   in Loop: Header=BB6_3218 Depth=4
	s_or_b64 exec, exec, s[28:29]
                                        ; implicit-def: $vgpr0
.LBB6_4452:                             ;   in Loop: Header=BB6_3218 Depth=4
	s_andn2_saveexec_b64 s[28:29], s[34:35]
	s_cbranch_execz .LBB6_4458
; %bb.4453:                             ;   in Loop: Header=BB6_3218 Depth=4
	v_cmp_ne_u64_e32 vcc, 0, v[33:34]
                                        ; implicit-def: $vgpr50
	s_and_saveexec_b64 s[34:35], vcc
	s_xor_b64 vcc, exec, s[34:35]
; %bb.4454:                             ;   in Loop: Header=BB6_3218 Depth=4
	v_or_b32_sdwa v50, v0, s83 dst_sel:DWORD dst_unused:UNUSED_PAD src0_sel:BYTE_3 src1_sel:DWORD
                                        ; implicit-def: $vgpr0
; %bb.4455:                             ;   in Loop: Header=BB6_3218 Depth=4
	s_andn2_saveexec_b64 s[34:35], vcc
; %bb.4456:                             ;   in Loop: Header=BB6_3218 Depth=4
	v_cmp_lt_i32_e32 vcc, -1, v0
	v_mov_b32_e32 v0, 0x7c
	v_cndmask_b32_e32 v50, -4, v0, vcc
; %bb.4457:                             ;   in Loop: Header=BB6_3218 Depth=4
	s_or_b64 exec, exec, s[34:35]
.LBB6_4458:                             ;   in Loop: Header=BB6_3218 Depth=4
	s_or_b64 exec, exec, s[28:29]
	buffer_load_dword v0, off, s[0:3], s33 offset:112 ; 4-byte Folded Reload
	buffer_load_dword v1, off, s[0:3], s33 offset:116 ; 4-byte Folded Reload
	s_waitcnt vmcnt(0)
	v_mov_b32_e32 v1, 0
	v_mov_b32_e32 v33, v0
	v_cmp_ne_u16_e32 vcc, 0, v33
	v_mov_b32_e32 v0, 0
	s_and_saveexec_b64 s[28:29], vcc
	s_cbranch_execz .LBB6_4466
; %bb.4459:                             ;   in Loop: Header=BB6_3218 Depth=4
	v_cmp_ne_u16_e32 vcc, s80, v33
	v_bfrev_b32_e32 v1, 1
	s_and_saveexec_b64 s[34:35], vcc
	s_cbranch_execz .LBB6_4465
; %bb.4460:                             ;   in Loop: Header=BB6_3218 Depth=4
	v_and_b32_e32 v1, 0x7c, v33
	v_and_b32_e32 v2, 3, v33
	v_cmp_ne_u32_e32 vcc, s81, v1
                                        ; implicit-def: $vgpr1
	s_and_saveexec_b64 s[36:37], vcc
	s_xor_b64 s[36:37], exec, s[36:37]
	s_cbranch_execz .LBB6_4462
; %bb.4461:                             ;   in Loop: Header=BB6_3218 Depth=4
	buffer_load_dword v53, off, s[0:3], s33 offset:112 ; 4-byte Folded Reload
	buffer_load_dword v54, off, s[0:3], s33 offset:116 ; 4-byte Folded Reload
	v_ffbh_u32_e32 v33, v2
	v_min_u32_e32 v33, 32, v33
	s_waitcnt vmcnt(0)
	v_mov_b32_e32 v54, v34
	v_subrev_u32_e32 v51, 29, v33
	v_sub_u32_e32 v33, 30, v33
	v_and_b32_e32 v1, 0xff, v53
	v_bfe_u32 v1, v1, 2, 5
	v_lshlrev_b64 v[51:52], v51, v[53:54]
	v_cmp_eq_u32_e32 vcc, 0, v1
	v_and_b32_e32 v51, 3, v51
	v_cndmask_b32_e32 v1, v1, v33, vcc
	v_and_b32_sdwa v33, sext(v53), s82 dst_sel:DWORD dst_unused:UNUSED_PAD src0_sel:WORD_0 src1_sel:DWORD
	v_cndmask_b32_e32 v2, v2, v51, vcc
	v_lshl_add_u32 v1, v1, 23, v33
	v_lshl_or_b32 v1, v2, 21, v1
	v_add_u32_e32 v1, 0x38000000, v1
                                        ; implicit-def: $vgpr33
                                        ; implicit-def: $vgpr2
	buffer_store_dword v33, off, s[0:3], s33 offset:112 ; 4-byte Folded Spill
	s_nop 0
	buffer_store_dword v34, off, s[0:3], s33 offset:116 ; 4-byte Folded Spill
.LBB6_4462:                             ;   in Loop: Header=BB6_3218 Depth=4
	s_andn2_saveexec_b64 s[36:37], s[36:37]
	s_cbranch_execz .LBB6_4464
; %bb.4463:                             ;   in Loop: Header=BB6_3218 Depth=4
	buffer_load_dword v51, off, s[0:3], s33 offset:112 ; 4-byte Folded Reload
	buffer_load_dword v52, off, s[0:3], s33 offset:116 ; 4-byte Folded Reload
	v_mov_b32_e32 v1, 0xff800000
	v_mov_b32_e32 v33, 0x7f800000
	s_waitcnt vmcnt(1)
	v_cmp_lt_i16_e32 vcc, -1, v51
	v_cndmask_b32_e32 v1, v1, v33, vcc
	v_cmp_eq_u32_e32 vcc, 0, v2
	v_mov_b32_e32 v2, 0x7f800001
	v_cndmask_b32_e32 v1, v2, v1, vcc
.LBB6_4464:                             ;   in Loop: Header=BB6_3218 Depth=4
	s_or_b64 exec, exec, s[36:37]
.LBB6_4465:                             ;   in Loop: Header=BB6_3218 Depth=4
	s_or_b64 exec, exec, s[34:35]
.LBB6_4466:                             ;   in Loop: Header=BB6_3218 Depth=4
	s_or_b64 exec, exec, s[28:29]
	buffer_load_dword v51, off, s[0:3], s33 offset:104 ; 4-byte Folded Reload
	buffer_load_dword v52, off, s[0:3], s33 offset:108 ; 4-byte Folded Reload
	s_waitcnt vmcnt(1)
	v_mov_b32_e32 v33, v51
	v_cmp_ne_u16_e32 vcc, 0, v33
	s_and_saveexec_b64 s[28:29], vcc
	s_cbranch_execz .LBB6_4474
; %bb.4467:                             ;   in Loop: Header=BB6_3218 Depth=4
	v_cmp_ne_u16_e32 vcc, s80, v33
	v_bfrev_b32_e32 v0, 1
	s_and_saveexec_b64 s[34:35], vcc
	s_cbranch_execz .LBB6_4473
; %bb.4468:                             ;   in Loop: Header=BB6_3218 Depth=4
	v_and_b32_e32 v0, 0x7c, v33
	v_and_b32_e32 v2, 3, v33
	v_cmp_ne_u32_e32 vcc, s81, v0
                                        ; implicit-def: $vgpr0
	s_and_saveexec_b64 s[36:37], vcc
	s_xor_b64 s[36:37], exec, s[36:37]
	s_cbranch_execz .LBB6_4470
; %bb.4469:                             ;   in Loop: Header=BB6_3218 Depth=4
	buffer_load_dword v53, off, s[0:3], s33 offset:104 ; 4-byte Folded Reload
	buffer_load_dword v54, off, s[0:3], s33 offset:108 ; 4-byte Folded Reload
	v_ffbh_u32_e32 v33, v2
	v_min_u32_e32 v33, 32, v33
	s_waitcnt vmcnt(0)
	v_mov_b32_e32 v54, v34
	v_subrev_u32_e32 v51, 29, v33
	v_sub_u32_e32 v33, 30, v33
	v_and_b32_e32 v0, 0xff, v53
	v_bfe_u32 v0, v0, 2, 5
	v_lshlrev_b64 v[51:52], v51, v[53:54]
	v_cmp_eq_u32_e32 vcc, 0, v0
	v_and_b32_e32 v51, 3, v51
	v_cndmask_b32_e32 v0, v0, v33, vcc
	v_and_b32_sdwa v33, sext(v53), s82 dst_sel:DWORD dst_unused:UNUSED_PAD src0_sel:WORD_0 src1_sel:DWORD
	v_cndmask_b32_e32 v2, v2, v51, vcc
	v_lshl_add_u32 v0, v0, 23, v33
	v_lshl_or_b32 v0, v2, 21, v0
	v_add_u32_e32 v0, 0x38000000, v0
                                        ; implicit-def: $vgpr33
                                        ; implicit-def: $vgpr2
	buffer_store_dword v33, off, s[0:3], s33 offset:104 ; 4-byte Folded Spill
	s_nop 0
	buffer_store_dword v34, off, s[0:3], s33 offset:108 ; 4-byte Folded Spill
.LBB6_4470:                             ;   in Loop: Header=BB6_3218 Depth=4
	s_andn2_saveexec_b64 s[36:37], s[36:37]
	s_cbranch_execz .LBB6_4472
; %bb.4471:                             ;   in Loop: Header=BB6_3218 Depth=4
	buffer_load_dword v51, off, s[0:3], s33 offset:104 ; 4-byte Folded Reload
	buffer_load_dword v52, off, s[0:3], s33 offset:108 ; 4-byte Folded Reload
	v_mov_b32_e32 v0, 0xff800000
	v_mov_b32_e32 v33, 0x7f800000
	s_waitcnt vmcnt(1)
	v_cmp_lt_i16_e32 vcc, -1, v51
	v_cndmask_b32_e32 v0, v0, v33, vcc
	v_cmp_eq_u32_e32 vcc, 0, v2
	v_mov_b32_e32 v2, 0x7f800001
	v_cndmask_b32_e32 v0, v2, v0, vcc
.LBB6_4472:                             ;   in Loop: Header=BB6_3218 Depth=4
	s_or_b64 exec, exec, s[36:37]
.LBB6_4473:                             ;   in Loop: Header=BB6_3218 Depth=4
	s_or_b64 exec, exec, s[34:35]
.LBB6_4474:                             ;   in Loop: Header=BB6_3218 Depth=4
	s_or_b64 exec, exec, s[28:29]
	v_mul_f32_e32 v0, v1, v0
	v_and_b32_e32 v1, 0x7f800000, v0
	v_mov_b32_e32 v2, v34
	v_cmp_ne_u64_e32 vcc, s[76:77], v[1:2]
	v_and_b32_e32 v33, 0x7fffff, v0
                                        ; implicit-def: $vgpr1
	s_and_saveexec_b64 s[28:29], vcc
	s_xor_b64 s[34:35], exec, s[28:29]
	s_cbranch_execz .LBB6_4492
; %bb.4475:                             ;   in Loop: Header=BB6_3218 Depth=4
	v_and_b32_e32 v1, 0x7fffffff, v0
	v_mov_b32_e32 v2, v34
	v_cmp_gt_u64_e32 vcc, s[78:79], v[1:2]
	v_and_b32_sdwa v51, v0, s44 dst_sel:DWORD dst_unused:UNUSED_PAD src0_sel:BYTE_3 src1_sel:DWORD
                                        ; implicit-def: $vgpr1
	s_and_saveexec_b64 s[28:29], vcc
	s_xor_b64 s[36:37], exec, s[28:29]
	s_cbranch_execz .LBB6_4489
; %bb.4476:                             ;   in Loop: Header=BB6_3218 Depth=4
	v_cmp_ne_u32_e32 vcc, 0, v0
	v_mov_b32_e32 v1, 0
	s_and_saveexec_b64 s[38:39], vcc
	s_cbranch_execz .LBB6_4488
; %bb.4477:                             ;   in Loop: Header=BB6_3218 Depth=4
	s_waitcnt vmcnt(0)
	v_bfe_u32 v52, v0, 23, 8
	v_cmp_gt_u32_e64 s[28:29], s45, v52
	v_sub_u32_e32 v0, 0x71, v52
	v_cmp_eq_u32_e32 vcc, 0, v52
	v_cndmask_b32_e64 v0, 0, v0, s[28:29]
	v_mov_b32_e32 v2, 0x70
	v_cndmask_b32_e32 v53, v0, v2, vcc
	v_add_u32_e32 v2, 21, v53
	v_or_b32_e32 v1, 0x800000, v33
	v_lshlrev_b64 v[54:55], v2, -1
	v_cndmask_b32_e32 v0, v1, v33, vcc
	v_mov_b32_e32 v1, v34
	v_add_u32_e32 v2, 20, v53
	v_bfi_b32 v54, v54, 0, v0
	v_lshlrev_b64 v[40:41], v2, 1
	v_lshrrev_b64 v[0:1], v53, v[0:1]
	v_bfi_b32 v55, v55, 0, 0
	v_cmp_eq_u64_e64 s[28:29], v[54:55], v[40:41]
	v_mov_b32_e32 v2, v1
	v_mov_b32_e32 v1, v0
	s_and_saveexec_b64 s[48:49], s[28:29]
; %bb.4478:                             ;   in Loop: Header=BB6_3218 Depth=4
	v_bfe_u32 v1, v0, 21, 1
	v_add_co_u32_e64 v1, s[28:29], v0, v1
	v_add_co_u32_e64 v1, s[28:29], -1, v1
; %bb.4479:                             ;   in Loop: Header=BB6_3218 Depth=4
	s_or_b64 exec, exec, s[48:49]
	v_add_u32_e32 v2, 0xffffff81, v52
	v_mov_b32_e32 v33, 0xffffff82
	v_cndmask_b32_e32 v2, v2, v33, vcc
	v_lshrrev_b32_e32 v33, 23, v0
	v_add3_u32 v53, v53, v2, v33
	v_add_u32_e32 v52, 14, v53
	v_and_b32_e32 v1, 0x1fffff, v1
	v_add_u32_e32 v33, v1, v0
	v_cmp_ne_u32_e32 vcc, 0, v52
                                        ; implicit-def: $vgpr0_vgpr1
                                        ; implicit-def: $vgpr2
	s_and_saveexec_b64 s[28:29], vcc
	s_xor_b64 s[28:29], exec, s[28:29]
; %bb.4480:                             ;   in Loop: Header=BB6_3218 Depth=4
	v_cmp_lt_u64_e32 vcc, s[88:89], v[33:34]
	v_add_u32_e32 v0, 15, v53
	v_cndmask_b32_e32 v2, v52, v0, vcc
	v_cndmask_b32_e64 v0, 0, 1, vcc
	v_lshrrev_b64 v[0:1], v0, v[33:34]
; %bb.4481:                             ;   in Loop: Header=BB6_3218 Depth=4
	s_andn2_saveexec_b64 s[28:29], s[28:29]
; %bb.4482:                             ;   in Loop: Header=BB6_3218 Depth=4
	v_mov_b32_e32 v0, v33
	v_mov_b32_e32 v1, v34
	v_bfe_u32 v2, v33, 23, 1
; %bb.4483:                             ;   in Loop: Header=BB6_3218 Depth=4
	s_or_b64 exec, exec, s[28:29]
	v_lshrrev_b64 v[0:1], 21, v[0:1]
	v_cmp_gt_i32_e32 vcc, 32, v2
	v_cndmask_b32_e32 v1, 0, v1, vcc
	v_cndmask_b32_e32 v0, 3, v0, vcc
	v_cmp_ne_u64_e32 vcc, 0, v[0:1]
	v_cmp_ne_u32_e64 s[28:29], 0, v2
	s_or_b64 s[28:29], s[28:29], vcc
                                        ; implicit-def: $vgpr1
	s_and_saveexec_b64 vcc, s[28:29]
	s_xor_b64 s[28:29], exec, vcc
; %bb.4484:                             ;   in Loop: Header=BB6_3218 Depth=4
	v_min_i32_e32 v1, 31, v2
	v_lshl_or_b32 v1, v1, 2, v51
	v_and_or_b32 v1, v0, 3, v1
                                        ; implicit-def: $vgpr51
; %bb.4485:                             ;   in Loop: Header=BB6_3218 Depth=4
	s_andn2_saveexec_b64 s[28:29], s[28:29]
; %bb.4486:                             ;   in Loop: Header=BB6_3218 Depth=4
	v_mov_b32_e32 v1, v51
; %bb.4487:                             ;   in Loop: Header=BB6_3218 Depth=4
	s_or_b64 exec, exec, s[28:29]
.LBB6_4488:                             ;   in Loop: Header=BB6_3218 Depth=4
	s_or_b64 exec, exec, s[38:39]
                                        ; implicit-def: $vgpr51
.LBB6_4489:                             ;   in Loop: Header=BB6_3218 Depth=4
	s_andn2_saveexec_b64 s[28:29], s[36:37]
; %bb.4490:                             ;   in Loop: Header=BB6_3218 Depth=4
	v_or_b32_e32 v1, 0x7b, v51
; %bb.4491:                             ;   in Loop: Header=BB6_3218 Depth=4
	s_or_b64 exec, exec, s[28:29]
                                        ; implicit-def: $vgpr0
.LBB6_4492:                             ;   in Loop: Header=BB6_3218 Depth=4
	s_andn2_saveexec_b64 s[28:29], s[34:35]
	s_cbranch_execz .LBB6_3217
; %bb.4493:                             ;   in Loop: Header=BB6_3218 Depth=4
	v_cmp_ne_u64_e32 vcc, 0, v[33:34]
                                        ; implicit-def: $vgpr1
	s_and_saveexec_b64 s[34:35], vcc
	s_xor_b64 vcc, exec, s[34:35]
; %bb.4494:                             ;   in Loop: Header=BB6_3218 Depth=4
	v_or_b32_sdwa v1, v0, s83 dst_sel:DWORD dst_unused:UNUSED_PAD src0_sel:BYTE_3 src1_sel:DWORD
                                        ; implicit-def: $vgpr0
; %bb.4495:                             ;   in Loop: Header=BB6_3218 Depth=4
	s_andn2_saveexec_b64 s[34:35], vcc
	s_cbranch_execz .LBB6_3216
; %bb.4496:                             ;   in Loop: Header=BB6_3218 Depth=4
	v_cmp_lt_i32_e32 vcc, -1, v0
	v_mov_b32_e32 v0, 0x7c
	v_cndmask_b32_e32 v1, -4, v0, vcc
	s_branch .LBB6_3216
.LBB6_4497:                             ;   in Loop: Header=BB6_274 Depth=3
	s_or_b64 exec, exec, s[30:31]
	buffer_load_dword v50, off, s[0:3], s33 offset:400 ; 4-byte Folded Reload
	buffer_load_dword v51, off, s[0:3], s33 offset:376 ; 4-byte Folded Reload
	;; [unrolled: 1-line block ×12, first 2 shown]
.LBB6_4498:                             ;   in Loop: Header=BB6_274 Depth=3
	s_or_b64 exec, exec, s[42:43]
	s_waitcnt vmcnt(0)
	v_lshlrev_b32_e32 v0, 11, v5
	v_cmp_ne_u32_e32 vcc, v8, v0
	s_and_b64 exec, exec, vcc
	s_cbranch_execz .LBB6_4542
; %bb.4499:                             ;   in Loop: Header=BB6_274 Depth=3
	v_add_u32_e32 v1, v2, v1
	v_and_b32_e32 v1, 0xffffffc0, v1
	v_sub_u32_e32 v1, v2, v1
	v_lshlrev_b32_e32 v2, 6, v4
	v_sub_u32_e32 v1, v1, v2
	v_add_u32_e32 v0, v0, v1
	v_sub_u32_e32 v4, v8, v0
	v_cmp_lt_i32_e32 vcc, 0, v4
	s_and_b64 exec, exec, vcc
	s_cbranch_execz .LBB6_4542
; %bb.4500:                             ;   in Loop: Header=BB6_274 Depth=3
	v_add_u32_e32 v7, v0, v3
	s_trap 2
	ds_read_b128 v[0:3], v0
	v_ashrrev_i32_e32 v8, 31, v7
	s_mov_b64 s[42:43], 0
	s_waitcnt lgkmcnt(0)
	v_add_co_u32_e32 v0, vcc, v0, v7
	ds_read_b64 v[5:6], v0
	v_addc_co_u32_e32 v1, vcc, v1, v8, vcc
	v_add_co_u32_e32 v2, vcc, v2, v7
	v_addc_co_u32_e32 v3, vcc, v3, v8, vcc
	s_waitcnt lgkmcnt(0)
	v_add_co_u32_e32 v5, vcc, v5, v7
	v_addc_co_u32_e32 v6, vcc, v6, v8, vcc
	s_branch .LBB6_4503
.LBB6_4501:                             ;   in Loop: Header=BB6_4503 Depth=4
	s_or_b64 exec, exec, s[30:31]
.LBB6_4502:                             ;   in Loop: Header=BB6_4503 Depth=4
	s_or_b64 exec, exec, s[28:29]
	buffer_load_dword v7, off, s[0:3], s33 offset:276 ; 4-byte Folded Reload
	s_waitcnt vmcnt(0)
	v_add_co_u32_e32 v0, vcc, v0, v7
	v_addc_co_u32_e32 v1, vcc, 0, v1, vcc
	v_add_co_u32_e32 v2, vcc, v2, v7
	v_addc_co_u32_e32 v3, vcc, 0, v3, vcc
	v_sub_u32_e32 v4, v4, v7
	v_cmp_gt_i32_e32 vcc, 1, v4
	flat_store_byte v[5:6], v8 glc slc
	s_or_b64 s[42:43], vcc, s[42:43]
	v_add_co_u32_e32 v5, vcc, v5, v7
	v_addc_co_u32_e32 v6, vcc, 0, v6, vcc
	s_andn2_b64 exec, exec, s[42:43]
	s_cbranch_execz .LBB6_4542
.LBB6_4503:                             ;   Parent Loop BB6_47 Depth=1
                                        ;     Parent Loop BB6_271 Depth=2
                                        ;       Parent Loop BB6_274 Depth=3
                                        ; =>      This Inner Loop Header: Depth=4
	flat_load_sbyte v8, v[0:1] glc slc
	flat_load_sbyte v7, v[2:3] glc slc
	v_mov_b32_e32 v10, 0
	v_mov_b32_e32 v9, 0
	s_waitcnt vmcnt(0) lgkmcnt(0)
	v_cmp_ne_u16_e32 vcc, 0, v8
	s_and_saveexec_b64 s[28:29], vcc
	s_cbranch_execz .LBB6_4511
; %bb.4504:                             ;   in Loop: Header=BB6_4503 Depth=4
	v_cmp_ne_u16_e32 vcc, s80, v8
	v_bfrev_b32_e32 v9, 1
	s_and_saveexec_b64 s[30:31], vcc
	s_cbranch_execz .LBB6_4510
; %bb.4505:                             ;   in Loop: Header=BB6_4503 Depth=4
	v_and_b32_e32 v9, 0x7c, v8
	v_and_b32_e32 v11, 3, v8
	v_cmp_ne_u32_e32 vcc, s81, v9
                                        ; implicit-def: $vgpr9
	s_and_saveexec_b64 s[34:35], vcc
	s_xor_b64 s[34:35], exec, s[34:35]
	s_cbranch_execz .LBB6_4507
; %bb.4506:                             ;   in Loop: Header=BB6_4503 Depth=4
	v_and_b32_e32 v12, 0xff, v8
	v_bfe_u32 v14, v12, 2, 5
	v_ffbh_u32_e32 v12, v11
	v_min_u32_e32 v15, 32, v12
	v_mov_b32_e32 v9, v34
	v_subrev_u32_e32 v12, 29, v15
	v_lshlrev_b64 v[12:13], v12, v[8:9]
	v_sub_u32_e32 v9, 30, v15
	v_cmp_eq_u32_e32 vcc, 0, v14
	v_and_b32_e32 v12, 3, v12
	v_cndmask_b32_e32 v9, v14, v9, vcc
	v_and_b32_sdwa v8, sext(v8), s82 dst_sel:DWORD dst_unused:UNUSED_PAD src0_sel:WORD_0 src1_sel:DWORD
	v_cndmask_b32_e32 v11, v11, v12, vcc
	v_lshl_add_u32 v8, v9, 23, v8
	v_lshl_or_b32 v8, v11, 21, v8
	v_add_u32_e32 v9, 0x38000000, v8
                                        ; implicit-def: $vgpr11
                                        ; implicit-def: $vgpr8
.LBB6_4507:                             ;   in Loop: Header=BB6_4503 Depth=4
	s_andn2_saveexec_b64 s[34:35], s[34:35]
; %bb.4508:                             ;   in Loop: Header=BB6_4503 Depth=4
	v_cmp_lt_i16_e32 vcc, -1, v8
	v_mov_b32_e32 v8, 0xff800000
	v_mov_b32_e32 v9, 0x7f800000
	v_cndmask_b32_e32 v8, v8, v9, vcc
	v_cmp_eq_u32_e32 vcc, 0, v11
	v_mov_b32_e32 v9, 0x7f800001
	v_cndmask_b32_e32 v9, v9, v8, vcc
; %bb.4509:                             ;   in Loop: Header=BB6_4503 Depth=4
	s_or_b64 exec, exec, s[34:35]
.LBB6_4510:                             ;   in Loop: Header=BB6_4503 Depth=4
	s_or_b64 exec, exec, s[30:31]
.LBB6_4511:                             ;   in Loop: Header=BB6_4503 Depth=4
	s_or_b64 exec, exec, s[28:29]
	v_cmp_ne_u16_e32 vcc, 0, v7
	s_and_saveexec_b64 s[28:29], vcc
	s_cbranch_execz .LBB6_4519
; %bb.4512:                             ;   in Loop: Header=BB6_4503 Depth=4
	v_cmp_ne_u16_e32 vcc, s80, v7
	v_bfrev_b32_e32 v10, 1
	s_and_saveexec_b64 s[30:31], vcc
	s_cbranch_execz .LBB6_4518
; %bb.4513:                             ;   in Loop: Header=BB6_4503 Depth=4
	v_and_b32_e32 v8, 0x7c, v7
	v_and_b32_e32 v11, 3, v7
	v_cmp_ne_u32_e32 vcc, s81, v8
                                        ; implicit-def: $vgpr10
	s_and_saveexec_b64 s[34:35], vcc
	s_xor_b64 s[34:35], exec, s[34:35]
	s_cbranch_execz .LBB6_4515
; %bb.4514:                             ;   in Loop: Header=BB6_4503 Depth=4
	v_ffbh_u32_e32 v13, v11
	v_and_b32_e32 v8, 0xff, v7
	v_min_u32_e32 v13, 32, v13
	v_bfe_u32 v10, v8, 2, 5
	v_mov_b32_e32 v8, v34
	v_subrev_u32_e32 v14, 29, v13
	v_and_b32_sdwa v12, sext(v7), s82 dst_sel:DWORD dst_unused:UNUSED_PAD src0_sel:WORD_0 src1_sel:DWORD
	v_lshlrev_b64 v[7:8], v14, v[7:8]
	v_sub_u32_e32 v8, 30, v13
	v_cmp_eq_u32_e32 vcc, 0, v10
	v_and_b32_e32 v7, 3, v7
	v_cndmask_b32_e32 v8, v10, v8, vcc
	v_cndmask_b32_e32 v7, v11, v7, vcc
	v_lshl_add_u32 v8, v8, 23, v12
	v_lshl_or_b32 v7, v7, 21, v8
	v_add_u32_e32 v10, 0x38000000, v7
                                        ; implicit-def: $vgpr7
                                        ; implicit-def: $vgpr11
.LBB6_4515:                             ;   in Loop: Header=BB6_4503 Depth=4
	s_andn2_saveexec_b64 s[34:35], s[34:35]
; %bb.4516:                             ;   in Loop: Header=BB6_4503 Depth=4
	v_cmp_lt_i16_e32 vcc, -1, v7
	v_mov_b32_e32 v7, 0xff800000
	v_mov_b32_e32 v8, 0x7f800000
	v_cndmask_b32_e32 v7, v7, v8, vcc
	v_cmp_eq_u32_e32 vcc, 0, v11
	v_mov_b32_e32 v8, 0x7f800001
	v_cndmask_b32_e32 v10, v8, v7, vcc
; %bb.4517:                             ;   in Loop: Header=BB6_4503 Depth=4
	s_or_b64 exec, exec, s[34:35]
.LBB6_4518:                             ;   in Loop: Header=BB6_4503 Depth=4
	s_or_b64 exec, exec, s[30:31]
.LBB6_4519:                             ;   in Loop: Header=BB6_4503 Depth=4
	s_or_b64 exec, exec, s[28:29]
	v_mul_f32_e32 v7, v9, v10
	v_and_b32_e32 v8, 0x7f800000, v7
	v_mov_b32_e32 v9, v34
	v_cmp_ne_u64_e32 vcc, s[76:77], v[8:9]
	v_and_b32_e32 v33, 0x7fffff, v7
                                        ; implicit-def: $vgpr8
	s_and_saveexec_b64 s[28:29], vcc
	s_xor_b64 s[30:31], exec, s[28:29]
	s_cbranch_execz .LBB6_4537
; %bb.4520:                             ;   in Loop: Header=BB6_4503 Depth=4
	v_and_b32_e32 v8, 0x7fffffff, v7
	v_mov_b32_e32 v9, v34
	v_cmp_gt_u64_e32 vcc, s[78:79], v[8:9]
	v_and_b32_sdwa v10, v7, s44 dst_sel:DWORD dst_unused:UNUSED_PAD src0_sel:BYTE_3 src1_sel:DWORD
                                        ; implicit-def: $vgpr8
	s_and_saveexec_b64 s[28:29], vcc
	s_xor_b64 s[34:35], exec, s[28:29]
	s_cbranch_execz .LBB6_4534
; %bb.4521:                             ;   in Loop: Header=BB6_4503 Depth=4
	v_cmp_ne_u32_e32 vcc, 0, v7
	v_mov_b32_e32 v8, 0
	s_and_saveexec_b64 s[36:37], vcc
	s_cbranch_execz .LBB6_4533
; %bb.4522:                             ;   in Loop: Header=BB6_4503 Depth=4
	v_bfe_u32 v11, v7, 23, 8
	v_cmp_gt_u32_e64 s[28:29], s45, v11
	v_sub_u32_e32 v7, 0x71, v11
	v_cmp_eq_u32_e32 vcc, 0, v11
	v_cndmask_b32_e64 v7, 0, v7, s[28:29]
	v_mov_b32_e32 v9, 0x70
	v_cndmask_b32_e32 v12, v7, v9, vcc
	v_add_u32_e32 v9, 21, v12
	v_or_b32_e32 v8, 0x800000, v33
	v_lshlrev_b64 v[13:14], v9, -1
	v_cndmask_b32_e32 v7, v8, v33, vcc
	v_mov_b32_e32 v8, v34
	v_add_u32_e32 v9, 20, v12
	v_bfi_b32 v13, v13, 0, v7
	v_lshlrev_b64 v[15:16], v9, 1
	v_lshrrev_b64 v[7:8], v12, v[7:8]
	v_bfi_b32 v14, v14, 0, 0
	v_cmp_eq_u64_e64 s[28:29], v[13:14], v[15:16]
	v_mov_b32_e32 v9, v8
	v_mov_b32_e32 v8, v7
	s_and_saveexec_b64 s[38:39], s[28:29]
; %bb.4523:                             ;   in Loop: Header=BB6_4503 Depth=4
	v_bfe_u32 v8, v7, 21, 1
	v_add_co_u32_e64 v8, s[28:29], v7, v8
	v_add_co_u32_e64 v8, s[28:29], -1, v8
; %bb.4524:                             ;   in Loop: Header=BB6_4503 Depth=4
	s_or_b64 exec, exec, s[38:39]
	v_add_u32_e32 v9, 0xffffff81, v11
	v_mov_b32_e32 v11, 0xffffff82
	v_cndmask_b32_e32 v9, v9, v11, vcc
	v_lshrrev_b32_e32 v11, 23, v7
	v_add3_u32 v12, v12, v9, v11
	v_add_u32_e32 v11, 14, v12
	v_and_b32_e32 v8, 0x1fffff, v8
	v_add_u32_e32 v33, v8, v7
	v_cmp_ne_u32_e32 vcc, 0, v11
                                        ; implicit-def: $vgpr7_vgpr8
                                        ; implicit-def: $vgpr9
	s_and_saveexec_b64 s[28:29], vcc
	s_xor_b64 s[28:29], exec, s[28:29]
; %bb.4525:                             ;   in Loop: Header=BB6_4503 Depth=4
	v_cmp_lt_u64_e32 vcc, s[88:89], v[33:34]
	v_add_u32_e32 v7, 15, v12
	v_cndmask_b32_e32 v9, v11, v7, vcc
	v_cndmask_b32_e64 v7, 0, 1, vcc
	v_lshrrev_b64 v[7:8], v7, v[33:34]
; %bb.4526:                             ;   in Loop: Header=BB6_4503 Depth=4
	s_andn2_saveexec_b64 s[28:29], s[28:29]
; %bb.4527:                             ;   in Loop: Header=BB6_4503 Depth=4
	v_mov_b32_e32 v7, v33
	v_mov_b32_e32 v8, v34
	v_bfe_u32 v9, v33, 23, 1
; %bb.4528:                             ;   in Loop: Header=BB6_4503 Depth=4
	s_or_b64 exec, exec, s[28:29]
	v_lshrrev_b64 v[7:8], 21, v[7:8]
	v_cmp_gt_i32_e32 vcc, 32, v9
	v_cndmask_b32_e32 v8, 0, v8, vcc
	v_cndmask_b32_e32 v7, 3, v7, vcc
	v_cmp_ne_u64_e32 vcc, 0, v[7:8]
	v_cmp_ne_u32_e64 s[28:29], 0, v9
	s_or_b64 s[28:29], s[28:29], vcc
                                        ; implicit-def: $vgpr8
	s_and_saveexec_b64 vcc, s[28:29]
	s_xor_b64 s[28:29], exec, vcc
; %bb.4529:                             ;   in Loop: Header=BB6_4503 Depth=4
	v_min_i32_e32 v8, 31, v9
	v_lshl_or_b32 v8, v8, 2, v10
	v_and_or_b32 v8, v7, 3, v8
                                        ; implicit-def: $vgpr10
; %bb.4530:                             ;   in Loop: Header=BB6_4503 Depth=4
	s_andn2_saveexec_b64 s[28:29], s[28:29]
; %bb.4531:                             ;   in Loop: Header=BB6_4503 Depth=4
	v_mov_b32_e32 v8, v10
; %bb.4532:                             ;   in Loop: Header=BB6_4503 Depth=4
	s_or_b64 exec, exec, s[28:29]
.LBB6_4533:                             ;   in Loop: Header=BB6_4503 Depth=4
	s_or_b64 exec, exec, s[36:37]
                                        ; implicit-def: $vgpr10
.LBB6_4534:                             ;   in Loop: Header=BB6_4503 Depth=4
	s_andn2_saveexec_b64 s[28:29], s[34:35]
; %bb.4535:                             ;   in Loop: Header=BB6_4503 Depth=4
	v_or_b32_e32 v8, 0x7b, v10
; %bb.4536:                             ;   in Loop: Header=BB6_4503 Depth=4
	s_or_b64 exec, exec, s[28:29]
                                        ; implicit-def: $vgpr7
.LBB6_4537:                             ;   in Loop: Header=BB6_4503 Depth=4
	s_andn2_saveexec_b64 s[28:29], s[30:31]
	s_cbranch_execz .LBB6_4502
; %bb.4538:                             ;   in Loop: Header=BB6_4503 Depth=4
	v_cmp_ne_u64_e32 vcc, 0, v[33:34]
                                        ; implicit-def: $vgpr8
	s_and_saveexec_b64 s[30:31], vcc
	s_xor_b64 vcc, exec, s[30:31]
; %bb.4539:                             ;   in Loop: Header=BB6_4503 Depth=4
	v_or_b32_sdwa v8, v7, s83 dst_sel:DWORD dst_unused:UNUSED_PAD src0_sel:BYTE_3 src1_sel:DWORD
                                        ; implicit-def: $vgpr7
; %bb.4540:                             ;   in Loop: Header=BB6_4503 Depth=4
	s_andn2_saveexec_b64 s[30:31], vcc
	s_cbranch_execz .LBB6_4501
; %bb.4541:                             ;   in Loop: Header=BB6_4503 Depth=4
	v_cmp_lt_i32_e32 vcc, -1, v7
	v_mov_b32_e32 v7, 0x7c
	v_cndmask_b32_e32 v8, -4, v7, vcc
	s_branch .LBB6_4501
.LBB6_4542:                             ;   in Loop: Header=BB6_274 Depth=3
	s_or_b64 exec, exec, s[40:41]
	v_cmp_lt_i32_e64 s[28:29], 0, v52
	s_and_saveexec_b64 s[40:41], s[10:11]
	s_cbranch_execz .LBB6_349
.LBB6_4543:                             ;   in Loop: Header=BB6_274 Depth=3
	s_and_saveexec_b64 s[42:43], s[58:59]
	s_xor_b64 s[42:43], exec, s[42:43]
	s_cbranch_execz .LBB6_4558
; %bb.4544:                             ;   in Loop: Header=BB6_274 Depth=3
	s_and_saveexec_b64 s[30:31], s[16:17]
	s_cbranch_execz .LBB6_4557
; %bb.4545:                             ;   in Loop: Header=BB6_274 Depth=3
	s_mov_b64 s[36:37], exec
	s_waitcnt vmcnt(0)
	v_mbcnt_lo_u32_b32 v0, s36, 0
	v_mbcnt_hi_u32_b32 v0, s37, v0
	v_cmp_eq_u32_e32 vcc, 0, v0
	s_waitcnt lgkmcnt(0)
	buffer_wbinvl1_vol
	s_and_saveexec_b64 s[34:35], vcc
	s_cbranch_execz .LBB6_4547
; %bb.4546:                             ;   in Loop: Header=BB6_274 Depth=3
	s_bcnt1_i32_b64 s47, s[36:37]
	v_mov_b32_e32 v0, s47
	v_mov_b32_e32 v1, v34
	ds_add_u64 v0, v[0:1]
	s_trap 2
.LBB6_4547:                             ;   in Loop: Header=BB6_274 Depth=3
	s_or_b64 exec, exec, s[34:35]
	s_trap 2
	ds_read_b64 v[0:1], v0
	s_waitcnt lgkmcnt(0)
	buffer_load_dword v2, off, s[0:3], s33 offset:76 ; 4-byte Folded Reload
	buffer_load_dword v3, off, s[0:3], s33 offset:80 ; 4-byte Folded Reload
	s_waitcnt vmcnt(1)
	v_add_co_u32_e32 v2, vcc, v2, v39
	s_waitcnt vmcnt(0)
	v_addc_co_u32_e32 v3, vcc, 0, v3, vcc
	buffer_store_dword v2, off, s[0:3], s33 offset:76 ; 4-byte Folded Spill
	s_nop 0
	buffer_store_dword v3, off, s[0:3], s33 offset:80 ; 4-byte Folded Spill
	v_cmp_lt_u64_e32 vcc, v[0:1], v[2:3]
	s_and_saveexec_b64 s[34:35], vcc
	s_cbranch_execz .LBB6_4556
; %bb.4548:                             ;   in Loop: Header=BB6_274 Depth=3
	s_mov_b32 s47, 0
	s_mov_b64 s[36:37], 0
                                        ; implicit-def: $sgpr38_sgpr39
                                        ; implicit-def: $sgpr48_sgpr49
	s_branch .LBB6_4550
.LBB6_4549:                             ;   in Loop: Header=BB6_4550 Depth=4
	s_or_b64 exec, exec, s[52:53]
	s_and_b64 vcc, exec, vcc
	s_or_b64 s[36:37], vcc, s[36:37]
	s_andn2_b64 vcc, s[38:39], exec
	s_and_b64 s[38:39], s[48:49], exec
	s_or_b64 s[38:39], vcc, s[38:39]
	s_andn2_b64 exec, exec, s[36:37]
	s_cbranch_execz .LBB6_4554
.LBB6_4550:                             ;   Parent Loop BB6_47 Depth=1
                                        ;     Parent Loop BB6_271 Depth=2
                                        ;       Parent Loop BB6_274 Depth=3
                                        ; =>      This Inner Loop Header: Depth=4
	s_add_i32 s47, s47, 1
	s_cmpk_lg_i32 s47, 0x2710
	s_cselect_b64 s[50:51], -1, 0
	s_and_b64 vcc, exec, s[50:51]
	s_cbranch_vccz .LBB6_4552
; %bb.4551:                             ;   in Loop: Header=BB6_4550 Depth=4
	s_mov_b64 vcc, -1
	s_or_b64 s[48:49], s[48:49], exec
	s_and_saveexec_b64 s[52:53], s[50:51]
	s_cbranch_execz .LBB6_4549
	s_branch .LBB6_4553
.LBB6_4552:                             ;   in Loop: Header=BB6_4550 Depth=4
	s_trap 2
	ds_read_b64 v[0:1], v0
	s_andn2_b64 s[50:51], s[50:51], exec
	s_mov_b32 s47, 0
	s_waitcnt vmcnt(0) lgkmcnt(0)
	flat_load_dword v0, v[0:1] glc
	s_waitcnt vmcnt(0) lgkmcnt(0)
	buffer_wbinvl1_vol
	v_cmp_eq_u32_e32 vcc, 0, v0
	s_and_b64 vcc, vcc, exec
	s_or_b64 s[50:51], s[50:51], vcc
	s_mov_b64 vcc, -1
	s_or_b64 s[48:49], s[48:49], exec
	s_and_saveexec_b64 s[52:53], s[50:51]
	s_cbranch_execz .LBB6_4549
.LBB6_4553:                             ;   in Loop: Header=BB6_4550 Depth=4
	s_sleep 1
	s_trap 2
	ds_read_b64 v[0:1], v0
	s_waitcnt lgkmcnt(0)
	buffer_load_dword v2, off, s[0:3], s33 offset:76 ; 4-byte Folded Reload
	buffer_load_dword v3, off, s[0:3], s33 offset:80 ; 4-byte Folded Reload
	s_andn2_b64 s[48:49], s[48:49], exec
	s_waitcnt vmcnt(0)
	v_cmp_ge_u64_e32 vcc, v[0:1], v[2:3]
	s_orn2_b64 vcc, vcc, exec
	s_branch .LBB6_4549
.LBB6_4554:                             ;   in Loop: Header=BB6_274 Depth=3
	s_or_b64 exec, exec, s[36:37]
	s_and_saveexec_b64 vcc, s[38:39]
	s_xor_b64 vcc, exec, vcc
	s_cbranch_execz .LBB6_4556
; %bb.4555:                             ;   in Loop: Header=BB6_274 Depth=3
	v_mov_b32_e32 v0, 1
	ds_write_b32 v0, v0
	s_trap 2
.LBB6_4556:                             ;   in Loop: Header=BB6_274 Depth=3
	s_or_b64 exec, exec, s[34:35]
	;;#ASMSTART
	s_wakeup
	;;#ASMEND
.LBB6_4557:                             ;   in Loop: Header=BB6_274 Depth=3
	s_or_b64 exec, exec, s[30:31]
.LBB6_4558:                             ;   in Loop: Header=BB6_274 Depth=3
	s_andn2_saveexec_b64 s[42:43], s[42:43]
	s_cbranch_execz .LBB6_4560
; %bb.4559:                             ;   in Loop: Header=BB6_274 Depth=3
	s_waitcnt vmcnt(0) lgkmcnt(0)
	buffer_wbinvl1_vol
	s_barrier
.LBB6_4560:                             ;   in Loop: Header=BB6_274 Depth=3
	s_or_b64 exec, exec, s[42:43]
	s_or_b64 exec, exec, s[40:41]
                                        ; implicit-def: $vgpr0
	s_and_saveexec_b64 s[40:41], s[24:25]
	s_xor_b64 s[40:41], exec, s[40:41]
	s_cbranch_execnz .LBB6_350
.LBB6_4561:                             ;   in Loop: Header=BB6_274 Depth=3
	s_andn2_saveexec_b64 s[28:29], s[40:41]
	s_cbranch_execz .LBB6_4580
.LBB6_4562:                             ;   in Loop: Header=BB6_274 Depth=3
	s_and_saveexec_b64 s[40:41], s[58:59]
	s_xor_b64 s[40:41], exec, s[40:41]
	s_cbranch_execz .LBB6_4577
; %bb.4563:                             ;   in Loop: Header=BB6_274 Depth=3
	s_and_saveexec_b64 s[42:43], s[16:17]
	s_cbranch_execz .LBB6_4576
; %bb.4564:                             ;   in Loop: Header=BB6_274 Depth=3
	s_mov_b64 s[34:35], exec
	s_waitcnt vmcnt(0)
	v_mbcnt_lo_u32_b32 v0, s34, 0
	v_mbcnt_hi_u32_b32 v0, s35, v0
	v_cmp_eq_u32_e32 vcc, 0, v0
	;;#ASMSTART
	s_waitcnt lgkmcnt(0) vmcnt(0)
	;;#ASMEND
	s_and_saveexec_b64 s[30:31], vcc
	s_cbranch_execz .LBB6_4566
; %bb.4565:                             ;   in Loop: Header=BB6_274 Depth=3
	s_bcnt1_i32_b64 s47, s[34:35]
	v_mov_b32_e32 v0, s47
	v_mov_b32_e32 v1, v34
	s_waitcnt lgkmcnt(0)
	ds_add_u64 v0, v[0:1]
	s_trap 2
.LBB6_4566:                             ;   in Loop: Header=BB6_274 Depth=3
	s_or_b64 exec, exec, s[30:31]
	s_trap 2
	ds_read_b64 v[0:1], v0
	s_waitcnt lgkmcnt(0)
	buffer_load_dword v2, off, s[0:3], s33 offset:76 ; 4-byte Folded Reload
	buffer_load_dword v3, off, s[0:3], s33 offset:80 ; 4-byte Folded Reload
	s_waitcnt vmcnt(1)
	v_add_co_u32_e32 v2, vcc, v2, v39
	s_waitcnt vmcnt(0)
	v_addc_co_u32_e32 v3, vcc, 0, v3, vcc
	buffer_store_dword v2, off, s[0:3], s33 offset:76 ; 4-byte Folded Spill
	s_nop 0
	buffer_store_dword v3, off, s[0:3], s33 offset:80 ; 4-byte Folded Spill
	v_cmp_lt_u64_e32 vcc, v[0:1], v[2:3]
	s_and_saveexec_b64 s[30:31], vcc
	s_cbranch_execz .LBB6_4575
; %bb.4567:                             ;   in Loop: Header=BB6_274 Depth=3
	s_mov_b32 s47, 0
	s_mov_b64 s[34:35], 0
                                        ; implicit-def: $sgpr36_sgpr37
                                        ; implicit-def: $sgpr38_sgpr39
	s_branch .LBB6_4569
.LBB6_4568:                             ;   in Loop: Header=BB6_4569 Depth=4
	s_or_b64 exec, exec, s[50:51]
	s_and_b64 vcc, exec, vcc
	s_or_b64 s[34:35], vcc, s[34:35]
	s_andn2_b64 vcc, s[36:37], exec
	s_and_b64 s[36:37], s[38:39], exec
	s_or_b64 s[36:37], vcc, s[36:37]
	s_andn2_b64 exec, exec, s[34:35]
	s_cbranch_execz .LBB6_4573
.LBB6_4569:                             ;   Parent Loop BB6_47 Depth=1
                                        ;     Parent Loop BB6_271 Depth=2
                                        ;       Parent Loop BB6_274 Depth=3
                                        ; =>      This Inner Loop Header: Depth=4
	s_add_i32 s47, s47, 1
	s_cmpk_lg_i32 s47, 0x2710
	s_cselect_b64 s[48:49], -1, 0
	s_and_b64 vcc, exec, s[48:49]
	s_cbranch_vccz .LBB6_4571
; %bb.4570:                             ;   in Loop: Header=BB6_4569 Depth=4
	s_mov_b64 vcc, -1
	s_or_b64 s[38:39], s[38:39], exec
	s_and_saveexec_b64 s[50:51], s[48:49]
	s_cbranch_execz .LBB6_4568
	s_branch .LBB6_4572
.LBB6_4571:                             ;   in Loop: Header=BB6_4569 Depth=4
	s_trap 2
	ds_read_b64 v[0:1], v0
	s_andn2_b64 s[48:49], s[48:49], exec
	s_mov_b32 s47, 0
	s_waitcnt vmcnt(0) lgkmcnt(0)
	flat_load_dword v0, v[0:1] glc
	s_waitcnt vmcnt(0) lgkmcnt(0)
	buffer_wbinvl1_vol
	v_cmp_eq_u32_e32 vcc, 0, v0
	s_and_b64 vcc, vcc, exec
	s_or_b64 s[48:49], s[48:49], vcc
	s_mov_b64 vcc, -1
	s_or_b64 s[38:39], s[38:39], exec
	s_and_saveexec_b64 s[50:51], s[48:49]
	s_cbranch_execz .LBB6_4568
.LBB6_4572:                             ;   in Loop: Header=BB6_4569 Depth=4
	s_sleep 1
	s_trap 2
	ds_read_b64 v[0:1], v0
	s_waitcnt lgkmcnt(0)
	buffer_load_dword v2, off, s[0:3], s33 offset:76 ; 4-byte Folded Reload
	buffer_load_dword v3, off, s[0:3], s33 offset:80 ; 4-byte Folded Reload
	s_andn2_b64 s[38:39], s[38:39], exec
	s_waitcnt vmcnt(0)
	v_cmp_ge_u64_e32 vcc, v[0:1], v[2:3]
	s_orn2_b64 vcc, vcc, exec
	s_branch .LBB6_4568
.LBB6_4573:                             ;   in Loop: Header=BB6_274 Depth=3
	s_or_b64 exec, exec, s[34:35]
	s_and_saveexec_b64 vcc, s[36:37]
	s_xor_b64 vcc, exec, vcc
	s_cbranch_execz .LBB6_4575
; %bb.4574:                             ;   in Loop: Header=BB6_274 Depth=3
	v_mov_b32_e32 v0, 1
	ds_write_b32 v0, v0
	s_trap 2
.LBB6_4575:                             ;   in Loop: Header=BB6_274 Depth=3
	s_or_b64 exec, exec, s[30:31]
	;;#ASMSTART
	s_wakeup
	;;#ASMEND
.LBB6_4576:                             ;   in Loop: Header=BB6_274 Depth=3
	s_or_b64 exec, exec, s[42:43]
.LBB6_4577:                             ;   in Loop: Header=BB6_274 Depth=3
	s_andn2_saveexec_b64 s[40:41], s[40:41]
	s_cbranch_execz .LBB6_4579
; %bb.4578:                             ;   in Loop: Header=BB6_274 Depth=3
	;;#ASMSTART
	s_waitcnt lgkmcnt(0) vmcnt(0)
	;;#ASMEND
	s_waitcnt vmcnt(0) lgkmcnt(0)
	s_barrier
.LBB6_4579:                             ;   in Loop: Header=BB6_274 Depth=3
	s_or_b64 exec, exec, s[40:41]
	buffer_load_dword v0, off, s[0:3], s33 offset:72 ; 4-byte Folded Reload
	s_waitcnt vmcnt(0)
	v_and_b32_e32 v0, 16, v0
.LBB6_4580:                             ;   in Loop: Header=BB6_274 Depth=3
	s_or_b64 exec, exec, s[28:29]
	s_waitcnt vmcnt(0)
	v_cmp_ne_u32_e32 vcc, 0, v0
	s_xor_b64 s[28:29], s[12:13], -1
	s_and_b64 s[40:41], vcc, s[28:29]
	s_and_saveexec_b64 s[28:29], s[40:41]
	s_cbranch_execz .LBB6_4582
; %bb.4581:                             ;   in Loop: Header=BB6_274 Depth=3
	buffer_load_dword v0, off, s[0:3], s33 offset:308 ; 4-byte Folded Reload
	buffer_load_dword v1, off, s[0:3], s33 offset:312 ; 4-byte Folded Reload
	v_mov_b32_e32 v2, 1
	s_waitcnt vmcnt(0)
	flat_store_dword v[0:1], v2
.LBB6_4582:                             ;   in Loop: Header=BB6_274 Depth=3
	s_or_b64 exec, exec, s[28:29]
	buffer_load_dword v0, off, s[0:3], s33 offset:72 ; 4-byte Folded Reload
	s_waitcnt vmcnt(0)
	v_and_b32_e32 v0, 48, v0
	v_cmp_ne_u32_e32 vcc, 0, v0
	s_and_saveexec_b64 s[28:29], vcc
	s_cbranch_execz .LBB6_273
; %bb.4583:                             ;   in Loop: Header=BB6_274 Depth=3
	buffer_load_dword v2, off, s[0:3], s33 offset:84 ; 4-byte Folded Reload
	buffer_load_dword v3, off, s[0:3], s33 offset:88 ; 4-byte Folded Reload
	;; [unrolled: 1-line block ×4, first 2 shown]
	s_waitcnt vmcnt(0)
	v_add_co_u32_e32 v2, vcc, 2, v2
	v_addc_co_u32_e32 v3, vcc, 0, v3, vcc
	buffer_store_dword v2, off, s[0:3], s33 offset:84 ; 4-byte Folded Spill
	s_nop 0
	buffer_store_dword v3, off, s[0:3], s33 offset:88 ; 4-byte Folded Spill
	flat_store_dwordx2 v[0:1], v[2:3]
	s_branch .LBB6_273
.LBB6_4584:                             ;   in Loop: Header=BB6_271 Depth=2
	s_or_b64 exec, exec, s[92:93]
.LBB6_4585:                             ;   in Loop: Header=BB6_271 Depth=2
	s_or_b64 exec, exec, s[90:91]
	v_cmp_gt_i32_e32 vcc, 2, v0
	s_and_saveexec_b64 s[40:41], vcc
	s_cbranch_execz .LBB6_270
; %bb.4586:                             ;   in Loop: Header=BB6_271 Depth=2
	v_cmp_eq_u32_e64 s[90:91], 0, v0
	s_mov_b64 s[42:43], 0
	s_branch .LBB6_4588
.LBB6_4587:                             ;   in Loop: Header=BB6_4588 Depth=3
	s_or_b64 exec, exec, s[28:29]
	v_add_u32_e32 v53, v51, v53
	s_mov_b64 s[90:91], 0
	s_andn2_b64 exec, exec, s[42:43]
	s_cbranch_execz .LBB6_269
.LBB6_4588:                             ;   Parent Loop BB6_47 Depth=1
                                        ;     Parent Loop BB6_271 Depth=2
                                        ; =>    This Loop Header: Depth=3
                                        ;         Child Loop BB6_4594 Depth 4
                                        ;         Child Loop BB6_4622 Depth 4
	;; [unrolled: 1-line block ×3, first 2 shown]
	v_sub_u32_e32 v0, v50, v53
	v_min_i32_e32 v51, v51, v0
	buffer_load_dword v0, off, s[0:3], s33 offset:72 ; 4-byte Folded Reload
	s_waitcnt vmcnt(0)
	v_and_b32_e32 v0, 12, v0
	v_cmp_ne_u32_e32 vcc, 0, v0
	s_and_saveexec_b64 s[92:93], vcc
	s_cbranch_execz .LBB6_4614
; %bb.4589:                             ;   in Loop: Header=BB6_4588 Depth=3
	buffer_load_dword v0, off, s[0:3], s33 offset:72 ; 4-byte Folded Reload
	s_waitcnt vmcnt(0)
	v_and_b32_e32 v4, 8, v0
	buffer_load_dword v0, off, s[0:3], s33 offset:56 ; 4-byte Folded Reload
	buffer_load_dword v1, off, s[0:3], s33 offset:60 ; 4-byte Folded Reload
	s_waitcnt vmcnt(0)
	v_add_co_u32_e32 v2, vcc, v0, v4
	v_addc_co_u32_e32 v3, vcc, 0, v1, vcc
	buffer_load_dword v0, off, s[0:3], s33 offset:84 ; 4-byte Folded Reload
	buffer_load_dword v1, off, s[0:3], s33 offset:88 ; 4-byte Folded Reload
	s_waitcnt vmcnt(0)
	v_add_co_u32_e32 v0, vcc, 2, v0
	v_addc_co_u32_e32 v1, vcc, 0, v1, vcc
	v_cmp_lt_u64_e32 vcc, v[2:3], v[0:1]
	s_and_saveexec_b64 s[94:95], vcc
	s_cbranch_execz .LBB6_4601
; %bb.4590:                             ;   in Loop: Header=BB6_4588 Depth=3
	buffer_load_dword v2, off, s[0:3], s33 offset:72 ; 4-byte Folded Reload
	s_mov_b32 s47, 0
	s_mov_b64 s[30:31], 0
                                        ; implicit-def: $sgpr34_sgpr35
                                        ; implicit-def: $sgpr36_sgpr37
                                        ; implicit-def: $sgpr38_sgpr39
	s_waitcnt vmcnt(0)
	v_and_b32_e32 v2, 64, v2
	v_cmp_eq_u32_e32 vcc, 0, v2
	s_branch .LBB6_4594
.LBB6_4591:                             ;   in Loop: Header=BB6_4594 Depth=4
	buffer_load_dword v5, off, s[0:3], s33 offset:56 ; 4-byte Folded Reload
	buffer_load_dword v6, off, s[0:3], s33 offset:60 ; 4-byte Folded Reload
	s_or_b64 s[52:53], s[52:53], exec
	s_waitcnt vmcnt(1)
	v_add_co_u32_e64 v5, s[28:29], v5, v4
	s_waitcnt vmcnt(0)
	v_addc_co_u32_e64 v6, s[28:29], 0, v6, s[28:29]
	v_cmp_ge_u64_e64 s[28:29], v[5:6], v[0:1]
	s_orn2_b64 s[50:51], s[28:29], exec
.LBB6_4592:                             ;   in Loop: Header=BB6_4594 Depth=4
	s_or_b64 exec, exec, s[64:65]
	s_andn2_b64 s[28:29], s[38:39], exec
	s_and_b64 s[38:39], s[52:53], exec
	s_or_b64 s[38:39], s[28:29], s[38:39]
	s_andn2_b64 s[28:29], s[36:37], exec
	s_and_b64 s[36:37], s[50:51], exec
	s_or_b64 s[36:37], s[28:29], s[36:37]
.LBB6_4593:                             ;   in Loop: Header=BB6_4594 Depth=4
	s_or_b64 exec, exec, s[48:49]
	s_and_b64 s[28:29], exec, s[36:37]
	s_or_b64 s[30:31], s[28:29], s[30:31]
	s_andn2_b64 s[28:29], s[34:35], exec
	s_and_b64 s[34:35], s[38:39], exec
	s_or_b64 s[34:35], s[28:29], s[34:35]
	s_andn2_b64 exec, exec, s[30:31]
	s_cbranch_execz .LBB6_4598
.LBB6_4594:                             ;   Parent Loop BB6_47 Depth=1
                                        ;     Parent Loop BB6_271 Depth=2
                                        ;       Parent Loop BB6_4588 Depth=3
                                        ; =>      This Inner Loop Header: Depth=4
	s_sleep 1
	buffer_load_dword v2, off, s[0:3], s33 offset:64 ; 4-byte Folded Reload
	buffer_load_dword v3, off, s[0:3], s33 offset:68 ; 4-byte Folded Reload
	s_or_b64 s[38:39], s[38:39], exec
	s_or_b64 s[36:37], s[36:37], exec
	s_waitcnt vmcnt(0)
	flat_load_dwordx2 v[2:3], v[2:3] glc
	s_waitcnt vmcnt(0) lgkmcnt(0)
	buffer_store_dword v2, off, s[0:3], s33 offset:56 ; 4-byte Folded Spill
	s_nop 0
	buffer_store_dword v3, off, s[0:3], s33 offset:60 ; 4-byte Folded Spill
                                        ; implicit-def: $vgpr2
	s_and_saveexec_b64 s[48:49], vcc
	s_cbranch_execz .LBB6_4593
; %bb.4595:                             ;   in Loop: Header=BB6_4594 Depth=4
	s_cmpk_lt_i32 s47, 0x270f
	s_cselect_b64 s[54:55], -1, 0
	s_cmpk_gt_i32 s47, 0x270e
	s_mov_b64 s[50:51], -1
	s_cbranch_scc0 .LBB6_4597
; %bb.4596:                             ;   in Loop: Header=BB6_4594 Depth=4
	s_trap 2
	ds_read_b64 v[2:3], v0
	s_andn2_b64 s[54:55], s[54:55], exec
	s_mov_b32 s47, 0
	s_mov_b64 s[52:53], 0
	s_waitcnt vmcnt(0) lgkmcnt(0)
	flat_load_dword v2, v[2:3] glc
	s_waitcnt vmcnt(0) lgkmcnt(0)
	buffer_wbinvl1_vol
	v_cmp_eq_u32_e64 s[28:29], 0, v2
	s_and_b64 s[28:29], s[28:29], exec
	s_or_b64 s[54:55], s[54:55], s[28:29]
	s_and_saveexec_b64 s[64:65], s[54:55]
	s_cbranch_execz .LBB6_4592
	s_branch .LBB6_4591
.LBB6_4597:                             ;   in Loop: Header=BB6_4594 Depth=4
	s_add_i32 s47, s47, 1
	s_mov_b64 s[52:53], -1
                                        ; implicit-def: $vgpr2
	s_and_saveexec_b64 s[64:65], s[54:55]
	s_cbranch_execz .LBB6_4592
	s_branch .LBB6_4591
.LBB6_4598:                             ;   in Loop: Header=BB6_4588 Depth=3
	s_or_b64 exec, exec, s[30:31]
	s_xor_b64 s[28:29], s[34:35], -1
	s_and_saveexec_b64 vcc, s[28:29]
	s_xor_b64 s[28:29], exec, vcc
	s_cbranch_execz .LBB6_4600
; %bb.4599:                             ;   in Loop: Header=BB6_4588 Depth=3
	ds_write_b32 v0, v2
	s_trap 2
	buffer_load_dword v2, off, s[0:3], s33 offset:72 ; 4-byte Folded Reload
	s_waitcnt vmcnt(0)
	v_or_b32_e32 v2, 64, v2
	buffer_store_dword v2, off, s[0:3], s33 offset:72 ; 4-byte Folded Spill
.LBB6_4600:                             ;   in Loop: Header=BB6_4588 Depth=3
	s_or_b64 exec, exec, s[28:29]
.LBB6_4601:                             ;   in Loop: Header=BB6_4588 Depth=3
	s_or_b64 exec, exec, s[94:95]
	;;#ASMSTART
	s_wakeup
	;;#ASMEND
	buffer_load_dword v2, off, s[0:3], s33 offset:72 ; 4-byte Folded Reload
	s_waitcnt vmcnt(0)
	v_and_b32_e32 v2, 0x108, v2
	v_cmp_ne_u32_e32 vcc, s71, v2
                                        ; implicit-def: $vgpr2_vgpr3
	s_and_saveexec_b64 s[28:29], vcc
	s_xor_b64 s[28:29], exec, s[28:29]
	s_cbranch_execz .LBB6_4603
; %bb.4602:                             ;   in Loop: Header=BB6_4588 Depth=3
	buffer_load_dword v2, off, s[0:3], s33 offset:84 ; 4-byte Folded Reload
	buffer_load_dword v3, off, s[0:3], s33 offset:88 ; 4-byte Folded Reload
	s_waitcnt vmcnt(0)
	v_mov_b32_e32 v3, v34
                                        ; implicit-def: $vgpr5_vgpr6
                                        ; kill: killed $vgpr5_vgpr6
	v_and_b32_e32 v2, 7, v2
.LBB6_4603:                             ;   in Loop: Header=BB6_4588 Depth=3
	s_andn2_saveexec_b64 s[28:29], s[28:29]
	s_cbranch_execz .LBB6_4605
; %bb.4604:                             ;   in Loop: Header=BB6_4588 Depth=3
	buffer_load_dword v2, off, s[0:3], s33 offset:84 ; 4-byte Folded Reload
	buffer_load_dword v3, off, s[0:3], s33 offset:88 ; 4-byte Folded Reload
	;; [unrolled: 1-line block ×6, first 2 shown]
	s_waitcnt vmcnt(0)
	v_mov_b32_e32 v3, v34
	v_ashrrev_i32_e32 v52, 31, v51
	v_and_b32_e32 v2, 7, v2
	v_mad_u64_u32 v[5:6], s[94:95], v2, 24, v[5:6]
	flat_store_dwordx2 v[5:6], v[51:52] offset:8
.LBB6_4605:                             ;   in Loop: Header=BB6_4588 Depth=3
	s_or_b64 exec, exec, s[28:29]
	buffer_load_dword v5, off, s[0:3], s33 offset:72 ; 4-byte Folded Reload
	s_mov_b64 s[28:29], -1
	s_waitcnt vmcnt(0)
	v_and_b32_e32 v5, 0x100, v5
	v_cmp_ne_u32_e32 vcc, 0, v5
                                        ; implicit-def: $vgpr5_vgpr6
	s_and_saveexec_b64 s[94:95], vcc
	s_cbranch_execz .LBB6_4609
; %bb.4606:                             ;   in Loop: Header=BB6_4588 Depth=3
	buffer_load_dword v5, off, s[0:3], s33 offset:292 ; 4-byte Folded Reload
	buffer_load_dword v6, off, s[0:3], s33 offset:296 ; 4-byte Folded Reload
	;; [unrolled: 1-line block ×4, first 2 shown]
	s_waitcnt vmcnt(0)
	v_mad_u64_u32 v[7:8], s[28:29], v2, 24, v[5:6]
	v_mov_b32_e32 v5, v8
	v_mad_u64_u32 v[5:6], s[28:29], v3, 24, v[5:6]
	v_mov_b32_e32 v8, v5
	flat_load_dword v5, v[7:8]
	s_waitcnt vmcnt(0) lgkmcnt(0)
	v_cmp_ne_u32_e32 vcc, 1, v5
	v_cmp_eq_u32_e64 s[28:29], 1, v5
                                        ; implicit-def: $vgpr5_vgpr6
	s_and_saveexec_b64 s[30:31], s[28:29]
	s_cbranch_execz .LBB6_4608
; %bb.4607:                             ;   in Loop: Header=BB6_4588 Depth=3
	flat_load_dword v5, v[7:8] offset:4 glc
	s_waitcnt vmcnt(0) lgkmcnt(0)
	v_ashrrev_i32_e32 v6, 31, v5
.LBB6_4608:                             ;   in Loop: Header=BB6_4588 Depth=3
	s_or_b64 exec, exec, s[30:31]
	s_orn2_b64 s[28:29], vcc, exec
.LBB6_4609:                             ;   in Loop: Header=BB6_4588 Depth=3
	s_or_b64 exec, exec, s[94:95]
	s_and_saveexec_b64 s[94:95], s[28:29]
	s_cbranch_execz .LBB6_4611
; %bb.4610:                             ;   in Loop: Header=BB6_4588 Depth=3
	buffer_load_dword v5, off, s[0:3], s33 offset:324 ; 4-byte Folded Reload
	buffer_load_dword v6, off, s[0:3], s33 offset:344 ; 4-byte Folded Reload
	s_waitcnt vmcnt(0)
	v_mul_lo_u32 v3, v3, v5
	v_mul_lo_u32 v7, v2, v6
	v_mad_u64_u32 v[5:6], s[28:29], v2, v5, 0
	v_add3_u32 v6, v6, v7, v3
.LBB6_4611:                             ;   in Loop: Header=BB6_4588 Depth=3
	s_or_b64 exec, exec, s[94:95]
	v_cmp_eq_u32_e32 vcc, 0, v4
	v_mov_b32_e32 v2, 0xc8
	v_mov_b32_e32 v3, 0x90
	v_cndmask_b32_e32 v4, v2, v3, vcc
	buffer_load_dword v2, off, s[0:3], s33 offset:284 ; 4-byte Folded Reload
	buffer_load_dword v3, off, s[0:3], s33 offset:288 ; 4-byte Folded Reload
	v_add_u32_e32 v4, v0, v4
	s_waitcnt vmcnt(0)
	v_add_co_u32_e32 v2, vcc, v2, v5
	v_addc_co_u32_e32 v3, vcc, v3, v6, vcc
	ds_write_b64 v4, v[2:3] offset:584
	buffer_load_dword v2, off, s[0:3], s33 offset:72 ; 4-byte Folded Reload
	s_waitcnt vmcnt(0)
	v_and_b32_e32 v2, 0x2000, v2
	v_cmp_ne_u32_e32 vcc, 0, v2
	s_and_saveexec_b64 s[28:29], vcc
	s_cbranch_execz .LBB6_4613
; %bb.4612:                             ;   in Loop: Header=BB6_4588 Depth=3
	ds_read_b64 v[2:3], v0 offset:872
	s_waitcnt lgkmcnt(0)
	v_add_co_u32_e32 v2, vcc, 1, v2
	v_addc_co_u32_e32 v3, vcc, 0, v3, vcc
	ds_write_b64 v0, v[2:3] offset:872
.LBB6_4613:                             ;   in Loop: Header=BB6_4588 Depth=3
	s_or_b64 exec, exec, s[28:29]
	buffer_store_dword v0, off, s[0:3], s33 offset:84 ; 4-byte Folded Spill
	s_nop 0
	buffer_store_dword v1, off, s[0:3], s33 offset:88 ; 4-byte Folded Spill
.LBB6_4614:                             ;   in Loop: Header=BB6_4588 Depth=3
	s_or_b64 exec, exec, s[92:93]
	s_xor_b64 s[28:29], s[90:91], -1
	s_and_b64 s[28:29], exec, s[28:29]
	s_or_b64 s[42:43], s[28:29], s[42:43]
	s_and_saveexec_b64 s[28:29], s[10:11]
	s_cbranch_execz .LBB6_4633
; %bb.4615:                             ;   in Loop: Header=BB6_4588 Depth=3
	s_and_saveexec_b64 s[90:91], s[58:59]
	s_xor_b64 s[90:91], exec, s[90:91]
	s_cbranch_execz .LBB6_4630
; %bb.4616:                             ;   in Loop: Header=BB6_4588 Depth=3
	s_and_saveexec_b64 s[92:93], s[16:17]
	s_cbranch_execz .LBB6_4629
; %bb.4617:                             ;   in Loop: Header=BB6_4588 Depth=3
	s_mov_b64 s[30:31], exec
	v_mbcnt_lo_u32_b32 v0, s30, 0
	v_mbcnt_hi_u32_b32 v0, s31, v0
	v_cmp_eq_u32_e32 vcc, 0, v0
	s_waitcnt vmcnt(0) lgkmcnt(0)
	buffer_wbinvl1_vol
	s_and_saveexec_b64 s[94:95], vcc
	s_cbranch_execz .LBB6_4619
; %bb.4618:                             ;   in Loop: Header=BB6_4588 Depth=3
	s_bcnt1_i32_b64 s47, s[30:31]
	v_mov_b32_e32 v0, s47
	v_mov_b32_e32 v1, v34
	ds_add_u64 v0, v[0:1]
	s_trap 2
.LBB6_4619:                             ;   in Loop: Header=BB6_4588 Depth=3
	s_or_b64 exec, exec, s[94:95]
	s_trap 2
	ds_read_b64 v[0:1], v0
	s_waitcnt lgkmcnt(0)
	buffer_load_dword v2, off, s[0:3], s33 offset:76 ; 4-byte Folded Reload
	buffer_load_dword v3, off, s[0:3], s33 offset:80 ; 4-byte Folded Reload
	s_waitcnt vmcnt(1)
	v_add_co_u32_e32 v2, vcc, v2, v39
	s_waitcnt vmcnt(0)
	v_addc_co_u32_e32 v3, vcc, 0, v3, vcc
	buffer_store_dword v2, off, s[0:3], s33 offset:76 ; 4-byte Folded Spill
	s_nop 0
	buffer_store_dword v3, off, s[0:3], s33 offset:80 ; 4-byte Folded Spill
	v_cmp_lt_u64_e32 vcc, v[0:1], v[2:3]
	s_and_saveexec_b64 s[94:95], vcc
	s_cbranch_execz .LBB6_4628
; %bb.4620:                             ;   in Loop: Header=BB6_4588 Depth=3
	s_mov_b32 s47, 0
	s_mov_b64 s[30:31], 0
                                        ; implicit-def: $sgpr34_sgpr35
                                        ; implicit-def: $sgpr36_sgpr37
	s_branch .LBB6_4622
.LBB6_4621:                             ;   in Loop: Header=BB6_4622 Depth=4
	s_or_b64 exec, exec, s[48:49]
	s_and_b64 vcc, exec, vcc
	s_or_b64 s[30:31], vcc, s[30:31]
	s_andn2_b64 vcc, s[34:35], exec
	s_and_b64 s[34:35], s[36:37], exec
	s_or_b64 s[34:35], vcc, s[34:35]
	s_andn2_b64 exec, exec, s[30:31]
	s_cbranch_execz .LBB6_4626
.LBB6_4622:                             ;   Parent Loop BB6_47 Depth=1
                                        ;     Parent Loop BB6_271 Depth=2
                                        ;       Parent Loop BB6_4588 Depth=3
                                        ; =>      This Inner Loop Header: Depth=4
	s_add_i32 s47, s47, 1
	s_cmpk_lg_i32 s47, 0x2710
	s_cselect_b64 s[38:39], -1, 0
	s_and_b64 vcc, exec, s[38:39]
	s_cbranch_vccz .LBB6_4624
; %bb.4623:                             ;   in Loop: Header=BB6_4622 Depth=4
	s_mov_b64 vcc, -1
	s_or_b64 s[36:37], s[36:37], exec
	s_and_saveexec_b64 s[48:49], s[38:39]
	s_cbranch_execz .LBB6_4621
	s_branch .LBB6_4625
.LBB6_4624:                             ;   in Loop: Header=BB6_4622 Depth=4
	s_trap 2
	ds_read_b64 v[0:1], v0
	s_andn2_b64 s[38:39], s[38:39], exec
	s_mov_b32 s47, 0
	s_waitcnt vmcnt(0) lgkmcnt(0)
	flat_load_dword v0, v[0:1] glc
	s_waitcnt vmcnt(0) lgkmcnt(0)
	buffer_wbinvl1_vol
	v_cmp_eq_u32_e32 vcc, 0, v0
	s_and_b64 vcc, vcc, exec
	s_or_b64 s[38:39], s[38:39], vcc
	s_mov_b64 vcc, -1
	s_or_b64 s[36:37], s[36:37], exec
	s_and_saveexec_b64 s[48:49], s[38:39]
	s_cbranch_execz .LBB6_4621
.LBB6_4625:                             ;   in Loop: Header=BB6_4622 Depth=4
	s_sleep 1
	s_trap 2
	ds_read_b64 v[0:1], v0
	s_waitcnt lgkmcnt(0)
	buffer_load_dword v2, off, s[0:3], s33 offset:76 ; 4-byte Folded Reload
	buffer_load_dword v3, off, s[0:3], s33 offset:80 ; 4-byte Folded Reload
	s_andn2_b64 s[36:37], s[36:37], exec
	s_waitcnt vmcnt(0)
	v_cmp_ge_u64_e32 vcc, v[0:1], v[2:3]
	s_orn2_b64 vcc, vcc, exec
	s_branch .LBB6_4621
.LBB6_4626:                             ;   in Loop: Header=BB6_4588 Depth=3
	s_or_b64 exec, exec, s[30:31]
	s_and_saveexec_b64 vcc, s[34:35]
	s_xor_b64 vcc, exec, vcc
	s_cbranch_execz .LBB6_4628
; %bb.4627:                             ;   in Loop: Header=BB6_4588 Depth=3
	v_mov_b32_e32 v0, 1
	ds_write_b32 v0, v0
	s_trap 2
.LBB6_4628:                             ;   in Loop: Header=BB6_4588 Depth=3
	s_or_b64 exec, exec, s[94:95]
	;;#ASMSTART
	s_wakeup
	;;#ASMEND
.LBB6_4629:                             ;   in Loop: Header=BB6_4588 Depth=3
	s_or_b64 exec, exec, s[92:93]
.LBB6_4630:                             ;   in Loop: Header=BB6_4588 Depth=3
	s_andn2_saveexec_b64 s[90:91], s[90:91]
	s_cbranch_execz .LBB6_4632
; %bb.4631:                             ;   in Loop: Header=BB6_4588 Depth=3
	s_waitcnt vmcnt(0) lgkmcnt(0)
	buffer_wbinvl1_vol
	s_barrier
.LBB6_4632:                             ;   in Loop: Header=BB6_4588 Depth=3
	s_or_b64 exec, exec, s[90:91]
.LBB6_4633:                             ;   in Loop: Header=BB6_4588 Depth=3
	s_or_b64 exec, exec, s[28:29]
                                        ; implicit-def: $vgpr0
	s_and_saveexec_b64 s[28:29], s[72:73]
	s_xor_b64 s[28:29], exec, s[28:29]
	s_cbranch_execz .LBB6_4645
; %bb.4634:                             ;   in Loop: Header=BB6_4588 Depth=3
	s_and_saveexec_b64 s[90:91], s[58:59]
	s_xor_b64 s[90:91], exec, s[90:91]
	s_cbranch_execz .LBB6_4650
; %bb.4635:                             ;   in Loop: Header=BB6_4588 Depth=3
	s_and_saveexec_b64 s[92:93], s[16:17]
	s_cbranch_execz .LBB6_4649
; %bb.4636:                             ;   in Loop: Header=BB6_4588 Depth=3
	s_mov_b64 s[30:31], exec
	v_mbcnt_lo_u32_b32 v0, s30, 0
	v_mbcnt_hi_u32_b32 v0, s31, v0
	v_cmp_eq_u32_e32 vcc, 0, v0
	;;#ASMSTART
	s_waitcnt lgkmcnt(0) vmcnt(0)
	;;#ASMEND
	s_and_saveexec_b64 s[94:95], vcc
	s_cbranch_execz .LBB6_4638
; %bb.4637:                             ;   in Loop: Header=BB6_4588 Depth=3
	s_bcnt1_i32_b64 s47, s[30:31]
	v_mov_b32_e32 v0, s47
	v_mov_b32_e32 v1, v34
	s_waitcnt lgkmcnt(0)
	ds_add_u64 v0, v[0:1]
	s_trap 2
.LBB6_4638:                             ;   in Loop: Header=BB6_4588 Depth=3
	s_or_b64 exec, exec, s[94:95]
	s_trap 2
	ds_read_b64 v[0:1], v0
	s_waitcnt lgkmcnt(0)
	buffer_load_dword v2, off, s[0:3], s33 offset:76 ; 4-byte Folded Reload
	buffer_load_dword v3, off, s[0:3], s33 offset:80 ; 4-byte Folded Reload
	s_waitcnt vmcnt(1)
	v_add_co_u32_e32 v2, vcc, v2, v39
	s_waitcnt vmcnt(0)
	v_addc_co_u32_e32 v3, vcc, 0, v3, vcc
	buffer_store_dword v2, off, s[0:3], s33 offset:76 ; 4-byte Folded Spill
	s_nop 0
	buffer_store_dword v3, off, s[0:3], s33 offset:80 ; 4-byte Folded Spill
	v_cmp_lt_u64_e32 vcc, v[0:1], v[2:3]
	s_and_saveexec_b64 s[94:95], vcc
	s_cbranch_execz .LBB6_4648
; %bb.4639:                             ;   in Loop: Header=BB6_4588 Depth=3
	s_mov_b32 s47, 0
	s_mov_b64 s[30:31], 0
                                        ; implicit-def: $sgpr34_sgpr35
                                        ; implicit-def: $sgpr36_sgpr37
	s_branch .LBB6_4641
.LBB6_4640:                             ;   in Loop: Header=BB6_4641 Depth=4
	s_or_b64 exec, exec, s[48:49]
	s_and_b64 vcc, exec, vcc
	s_or_b64 s[30:31], vcc, s[30:31]
	s_andn2_b64 vcc, s[34:35], exec
	s_and_b64 s[34:35], s[36:37], exec
	s_or_b64 s[34:35], vcc, s[34:35]
	s_andn2_b64 exec, exec, s[30:31]
	s_cbranch_execz .LBB6_4646
.LBB6_4641:                             ;   Parent Loop BB6_47 Depth=1
                                        ;     Parent Loop BB6_271 Depth=2
                                        ;       Parent Loop BB6_4588 Depth=3
                                        ; =>      This Inner Loop Header: Depth=4
	s_add_i32 s47, s47, 1
	s_cmpk_lg_i32 s47, 0x2710
	s_cselect_b64 s[38:39], -1, 0
	s_and_b64 vcc, exec, s[38:39]
	s_cbranch_vccz .LBB6_4643
; %bb.4642:                             ;   in Loop: Header=BB6_4641 Depth=4
	s_mov_b64 vcc, -1
	s_or_b64 s[36:37], s[36:37], exec
	s_and_saveexec_b64 s[48:49], s[38:39]
	s_cbranch_execz .LBB6_4640
	s_branch .LBB6_4644
.LBB6_4643:                             ;   in Loop: Header=BB6_4641 Depth=4
	s_trap 2
	ds_read_b64 v[0:1], v0
	s_andn2_b64 s[38:39], s[38:39], exec
	s_mov_b32 s47, 0
	s_waitcnt vmcnt(0) lgkmcnt(0)
	flat_load_dword v0, v[0:1] glc
	s_waitcnt vmcnt(0) lgkmcnt(0)
	buffer_wbinvl1_vol
	v_cmp_eq_u32_e32 vcc, 0, v0
	s_and_b64 vcc, vcc, exec
	s_or_b64 s[38:39], s[38:39], vcc
	s_mov_b64 vcc, -1
	s_or_b64 s[36:37], s[36:37], exec
	s_and_saveexec_b64 s[48:49], s[38:39]
	s_cbranch_execz .LBB6_4640
.LBB6_4644:                             ;   in Loop: Header=BB6_4641 Depth=4
	s_sleep 1
	s_trap 2
	ds_read_b64 v[0:1], v0
	s_waitcnt lgkmcnt(0)
	buffer_load_dword v2, off, s[0:3], s33 offset:76 ; 4-byte Folded Reload
	buffer_load_dword v3, off, s[0:3], s33 offset:80 ; 4-byte Folded Reload
	s_andn2_b64 s[36:37], s[36:37], exec
	s_waitcnt vmcnt(0)
	v_cmp_ge_u64_e32 vcc, v[0:1], v[2:3]
	s_orn2_b64 vcc, vcc, exec
	s_branch .LBB6_4640
.LBB6_4645:                             ;   in Loop: Header=BB6_4588 Depth=3
	s_andn2_saveexec_b64 s[28:29], s[28:29]
	s_cbranch_execnz .LBB6_4653
	s_branch .LBB6_4656
.LBB6_4646:                             ;   in Loop: Header=BB6_4588 Depth=3
	s_or_b64 exec, exec, s[30:31]
	s_and_saveexec_b64 vcc, s[34:35]
	s_xor_b64 vcc, exec, vcc
	s_cbranch_execz .LBB6_4648
; %bb.4647:                             ;   in Loop: Header=BB6_4588 Depth=3
	v_mov_b32_e32 v0, 1
	ds_write_b32 v0, v0
	s_trap 2
.LBB6_4648:                             ;   in Loop: Header=BB6_4588 Depth=3
	s_or_b64 exec, exec, s[94:95]
	;;#ASMSTART
	s_wakeup
	;;#ASMEND
.LBB6_4649:                             ;   in Loop: Header=BB6_4588 Depth=3
	s_or_b64 exec, exec, s[92:93]
.LBB6_4650:                             ;   in Loop: Header=BB6_4588 Depth=3
	s_andn2_saveexec_b64 s[90:91], s[90:91]
	s_cbranch_execz .LBB6_4652
; %bb.4651:                             ;   in Loop: Header=BB6_4588 Depth=3
	;;#ASMSTART
	s_waitcnt lgkmcnt(0) vmcnt(0)
	;;#ASMEND
	s_waitcnt vmcnt(0) lgkmcnt(0)
	s_barrier
.LBB6_4652:                             ;   in Loop: Header=BB6_4588 Depth=3
	s_or_b64 exec, exec, s[90:91]
	buffer_load_dword v0, off, s[0:3], s33 offset:72 ; 4-byte Folded Reload
	s_waitcnt vmcnt(0)
	v_and_b32_e32 v0, 16, v0
	s_andn2_saveexec_b64 s[28:29], s[28:29]
	s_cbranch_execz .LBB6_4656
.LBB6_4653:                             ;   in Loop: Header=BB6_4588 Depth=3
	s_trap 2
	buffer_load_dword v1, off, s[0:3], s33 offset:72 ; 4-byte Folded Reload
	ds_read_b32 v0, v0
	v_cmp_lt_i32_e32 vcc, 0, v51
	s_waitcnt lgkmcnt(0)
	v_readfirstlane_b32 s47, v0
	s_cmp_eq_u32 s47, 0
	s_cselect_b64 s[90:91], -1, 0
	s_and_b64 s[90:91], vcc, s[90:91]
	s_waitcnt vmcnt(0)
	v_and_b32_e32 v0, 16, v1
	v_and_b32_e32 v1, 16, v1
	v_cmp_ne_u32_e32 vcc, 0, v1
	s_and_b64 s[92:93], vcc, s[90:91]
	s_and_saveexec_b64 s[90:91], s[92:93]
	s_cbranch_execz .LBB6_4655
; %bb.4654:                             ;   in Loop: Header=BB6_4588 Depth=3
	v_mov_b32_e32 v0, 1
	buffer_wbinvl1_vol
.LBB6_4655:                             ;   in Loop: Header=BB6_4588 Depth=3
	s_or_b64 exec, exec, s[90:91]
.LBB6_4656:                             ;   in Loop: Header=BB6_4588 Depth=3
	s_or_b64 exec, exec, s[28:29]
	v_cmp_ne_u32_e32 vcc, 0, v0
	s_xor_b64 s[28:29], s[12:13], -1
	s_and_b64 s[90:91], vcc, s[28:29]
	s_and_saveexec_b64 s[28:29], s[90:91]
	s_cbranch_execz .LBB6_4658
; %bb.4657:                             ;   in Loop: Header=BB6_4588 Depth=3
	buffer_load_dword v0, off, s[0:3], s33 offset:308 ; 4-byte Folded Reload
	buffer_load_dword v1, off, s[0:3], s33 offset:312 ; 4-byte Folded Reload
	v_mov_b32_e32 v2, 1
	s_waitcnt vmcnt(0)
	flat_store_dword v[0:1], v2
.LBB6_4658:                             ;   in Loop: Header=BB6_4588 Depth=3
	s_or_b64 exec, exec, s[28:29]
	buffer_load_dword v0, off, s[0:3], s33 offset:72 ; 4-byte Folded Reload
	s_waitcnt vmcnt(0)
	v_and_b32_e32 v0, 48, v0
	v_cmp_ne_u32_e32 vcc, 0, v0
	s_and_saveexec_b64 s[28:29], vcc
	s_cbranch_execz .LBB6_4587
; %bb.4659:                             ;   in Loop: Header=BB6_4588 Depth=3
	buffer_load_dword v2, off, s[0:3], s33 offset:84 ; 4-byte Folded Reload
	buffer_load_dword v3, off, s[0:3], s33 offset:88 ; 4-byte Folded Reload
	;; [unrolled: 1-line block ×4, first 2 shown]
	s_waitcnt vmcnt(0)
	v_add_co_u32_e32 v2, vcc, 2, v2
	v_addc_co_u32_e32 v3, vcc, 0, v3, vcc
	buffer_store_dword v2, off, s[0:3], s33 offset:84 ; 4-byte Folded Spill
	s_nop 0
	buffer_store_dword v3, off, s[0:3], s33 offset:88 ; 4-byte Folded Spill
	flat_store_dwordx2 v[0:1], v[2:3]
	s_branch .LBB6_4587
.LBB6_4660:                             ;   in Loop: Header=BB6_47 Depth=1
	buffer_load_dword v4, off, s[0:3], s33 offset:472 ; 4-byte Folded Reload
	buffer_load_dword v5, off, s[0:3], s33 offset:476 ; 4-byte Folded Reload
	s_waitcnt vmcnt(0)
	v_mul_lo_u32 v3, v4, s67
	v_mul_lo_u32 v2, v5, s66
	v_mad_u64_u32 v[0:1], s[28:29], v4, s66, 0
	v_add3_u32 v1, v1, v3, v2
	buffer_load_dword v2, off, s[0:3], s33 offset:464 ; 4-byte Folded Reload
	buffer_load_dword v3, off, s[0:3], s33 offset:468 ; 4-byte Folded Reload
	s_waitcnt vmcnt(0)
	v_sub_co_u32_e32 v2, vcc, v2, v0
	v_subb_co_u32_e32 v3, vcc, v3, v1, vcc
	v_cmp_lt_i64_e32 vcc, v[4:5], v[2:3]
	v_cndmask_b32_e32 v3, v2, v4, vcc
	v_max_i32_e32 v58, 0, v3
	v_add_u32_e32 v4, 31, v58
	v_lshrrev_b32_e32 v4, 1, v4
	v_and_b32_e32 v4, 0x3ffffff0, v4
	v_cmp_lt_i32_e32 vcc, 0, v3
	v_mov_b32_e32 v2, 0
	v_max_i32_e32 v4, s96, v4
	s_and_b64 s[28:29], s[74:75], vcc
	v_mov_b32_e32 v3, 0
	buffer_store_dword v4, off, s[0:3], s33 offset:408 ; 4-byte Folded Spill
	s_nop 0
	buffer_store_dword v5, off, s[0:3], s33 offset:412 ; 4-byte Folded Spill
	buffer_store_dword v3, off, s[0:3], s33 offset:416 ; 4-byte Folded Spill
	s_and_saveexec_b64 s[90:91], s[28:29]
	s_cbranch_execnz .LBB6_4661
; %bb.13773:                            ;   in Loop: Header=BB6_47 Depth=1
	s_getpc_b64 s[98:99]
.Lpost_getpc20:
	s_add_u32 s98, s98, (.LBB6_13176-.Lpost_getpc20)&4294967295
	s_addc_u32 s99, s99, (.LBB6_13176-.Lpost_getpc20)>>32
	s_setpc_b64 s[98:99]
.LBB6_4661:                             ;   in Loop: Header=BB6_47 Depth=1
	buffer_load_dword v2, off, s[0:3], s33 offset:368 ; 4-byte Folded Reload
	s_mov_b32 s84, 1
	s_mov_b64 s[94:95], -1
	s_mov_b64 s[92:93], 0
	buffer_store_dword v58, off, s[0:3], s33 offset:440 ; 4-byte Folded Spill
	s_waitcnt vmcnt(0)
	v_add_co_u32_e32 v0, vcc, v0, v2
	buffer_store_dword v0, off, s[0:3], s33 offset:492 ; 4-byte Folded Spill
	buffer_load_dword v0, off, s[0:3], s33 offset:372 ; 4-byte Folded Reload
	s_waitcnt vmcnt(0)
	v_addc_co_u32_e32 v0, vcc, v1, v0, vcc
	buffer_store_dword v0, off, s[0:3], s33 offset:496 ; 4-byte Folded Spill
	v_mov_b32_e32 v0, 0
	buffer_store_dword v0, off, s[0:3], s33 offset:416 ; 4-byte Folded Spill
	s_branch .LBB6_4663
.LBB6_4662:                             ;   in Loop: Header=BB6_4663 Depth=2
	s_or_b64 exec, exec, s[28:29]
	buffer_load_dword v0, off, s[0:3], s33 offset:408 ; 4-byte Folded Reload
	buffer_load_dword v1, off, s[0:3], s33 offset:412 ; 4-byte Folded Reload
	;; [unrolled: 1-line block ×3, first 2 shown]
	s_xor_b64 s[28:29], s[94:95], -1
	s_mov_b64 s[94:95], 0
	v_mov_b32_e32 v2, s84
	s_mov_b32 s84, 2
	s_waitcnt vmcnt(0)
	v_add_u32_e32 v1, v0, v1
	v_cmp_ge_i32_e32 vcc, v1, v58
	s_or_b64 s[28:29], s[28:29], vcc
	s_and_b64 s[28:29], exec, s[28:29]
	s_or_b64 s[92:93], s[28:29], s[92:93]
	buffer_store_dword v1, off, s[0:3], s33 offset:416 ; 4-byte Folded Spill
	s_andn2_b64 exec, exec, s[92:93]
	s_cbranch_execnz .LBB6_4663
; %bb.13775:                            ;   in Loop: Header=BB6_47 Depth=1
	s_getpc_b64 s[98:99]
.Lpost_getpc21:
	s_add_u32 s98, s98, (.LBB6_13251-.Lpost_getpc21)&4294967295
	s_addc_u32 s99, s99, (.LBB6_13251-.Lpost_getpc21)>>32
	s_setpc_b64 s[98:99]
.LBB6_4663:                             ;   Parent Loop BB6_47 Depth=1
                                        ; =>  This Loop Header: Depth=2
                                        ;       Child Loop BB6_4671 Depth 3
                                        ;       Child Loop BB6_4699 Depth 3
	;; [unrolled: 1-line block ×9, first 2 shown]
                                        ;         Child Loop BB6_7580 Depth 4
                                        ;       Child Loop BB6_7611 Depth 3
                                        ;       Child Loop BB6_8894 Depth 3
                                        ;         Child Loop BB6_8935 Depth 4
                                        ;       Child Loop BB6_13142 Depth 3
                                        ;       Child Loop BB6_13161 Depth 3
	s_and_saveexec_b64 s[28:29], s[4:5]
	s_cbranch_execz .LBB6_4665
; %bb.4664:                             ;   in Loop: Header=BB6_4663 Depth=2
	s_trap 2
	buffer_load_dword v6, off, s[0:3], s33 offset:492 ; 4-byte Folded Reload
	buffer_load_dword v7, off, s[0:3], s33 offset:496 ; 4-byte Folded Reload
	;; [unrolled: 1-line block ×3, first 2 shown]
	ds_read2_b64 v[0:3], v0 offset1:1
	s_waitcnt vmcnt(0) lgkmcnt(0)
	v_add_co_u32_e32 v0, vcc, v0, v6
	v_addc_co_u32_e32 v1, vcc, v1, v7, vcc
	v_ashrrev_i32_e32 v4, 31, v5
	v_add_co_u32_e32 v0, vcc, v0, v5
	v_addc_co_u32_e32 v1, vcc, v1, v4, vcc
	ds_write_b64 v0, v[0:1]
	v_add_co_u32_e32 v0, vcc, v2, v6
	v_addc_co_u32_e32 v1, vcc, v3, v7, vcc
	v_add_co_u32_e32 v0, vcc, v0, v5
	v_addc_co_u32_e32 v1, vcc, v1, v4, vcc
	ds_write_b64 v0, v[0:1]
	ds_read_b64 v[0:1], v0
	s_waitcnt lgkmcnt(0)
	v_add_co_u32_e32 v2, vcc, v0, v6
	v_addc_co_u32_e32 v3, vcc, v1, v7, vcc
	v_add_co_u32_e32 v2, vcc, v2, v5
	v_addc_co_u32_e32 v3, vcc, v3, v4, vcc
	v_cmp_ne_u64_e32 vcc, 0, v[0:1]
	v_cndmask_b32_e32 v1, 0, v3, vcc
	v_cndmask_b32_e32 v0, 0, v2, vcc
	ds_write_b64 v0, v[0:1]
.LBB6_4665:                             ;   in Loop: Header=BB6_4663 Depth=2
	s_or_b64 exec, exec, s[28:29]
	buffer_load_dword v0, off, s[0:3], s33 offset:416 ; 4-byte Folded Reload
	buffer_load_dword v1, off, s[0:3], s33 offset:408 ; 4-byte Folded Reload
	;; [unrolled: 1-line block ×3, first 2 shown]
	s_waitcnt vmcnt(0)
	v_sub_u32_e32 v0, v58, v0
	v_min_i32_e32 v1, v1, v0
	buffer_store_dword v1, off, s[0:3], s33 offset:408 ; 4-byte Folded Spill
	s_nop 0
	buffer_store_dword v2, off, s[0:3], s33 offset:412 ; 4-byte Folded Spill
	buffer_load_dword v0, off, s[0:3], s33 offset:72 ; 4-byte Folded Reload
	s_waitcnt vmcnt(0)
	v_and_b32_e32 v0, 12, v0
	v_cmp_ne_u32_e32 vcc, 0, v0
	s_and_saveexec_b64 s[40:41], vcc
	s_cbranch_execz .LBB6_4691
; %bb.4666:                             ;   in Loop: Header=BB6_4663 Depth=2
	buffer_load_dword v0, off, s[0:3], s33 offset:72 ; 4-byte Folded Reload
	s_waitcnt vmcnt(0)
	v_and_b32_e32 v8, 8, v0
	buffer_load_dword v0, off, s[0:3], s33 offset:56 ; 4-byte Folded Reload
	buffer_load_dword v1, off, s[0:3], s33 offset:60 ; 4-byte Folded Reload
	s_waitcnt vmcnt(0)
	v_add_co_u32_e32 v2, vcc, v0, v8
	v_addc_co_u32_e32 v3, vcc, 0, v1, vcc
	buffer_load_dword v0, off, s[0:3], s33 offset:84 ; 4-byte Folded Reload
	buffer_load_dword v1, off, s[0:3], s33 offset:88 ; 4-byte Folded Reload
	s_waitcnt vmcnt(0)
	v_add_co_u32_e32 v0, vcc, 2, v0
	v_addc_co_u32_e32 v1, vcc, 0, v1, vcc
	v_cmp_lt_u64_e32 vcc, v[2:3], v[0:1]
	s_and_saveexec_b64 s[42:43], vcc
	s_cbranch_execz .LBB6_4678
; %bb.4667:                             ;   in Loop: Header=BB6_4663 Depth=2
	buffer_load_dword v2, off, s[0:3], s33 offset:72 ; 4-byte Folded Reload
	s_mov_b32 s87, 0
	s_mov_b64 s[30:31], 0
                                        ; implicit-def: $sgpr34_sgpr35
                                        ; implicit-def: $sgpr36_sgpr37
                                        ; implicit-def: $sgpr38_sgpr39
	s_waitcnt vmcnt(0)
	v_and_b32_e32 v2, 64, v2
	v_cmp_eq_u32_e32 vcc, 0, v2
	s_branch .LBB6_4671
.LBB6_4668:                             ;   in Loop: Header=BB6_4671 Depth=3
	buffer_load_dword v3, off, s[0:3], s33 offset:56 ; 4-byte Folded Reload
	buffer_load_dword v4, off, s[0:3], s33 offset:60 ; 4-byte Folded Reload
	s_or_b64 s[52:53], s[52:53], exec
	s_waitcnt vmcnt(1)
	v_add_co_u32_e64 v3, s[28:29], v3, v8
	s_waitcnt vmcnt(0)
	v_addc_co_u32_e64 v4, s[28:29], 0, v4, s[28:29]
	v_cmp_ge_u64_e64 s[28:29], v[3:4], v[0:1]
	s_orn2_b64 s[50:51], s[28:29], exec
.LBB6_4669:                             ;   in Loop: Header=BB6_4671 Depth=3
	s_or_b64 exec, exec, s[64:65]
	s_andn2_b64 s[28:29], s[38:39], exec
	s_and_b64 s[38:39], s[52:53], exec
	s_or_b64 s[38:39], s[28:29], s[38:39]
	s_andn2_b64 s[28:29], s[36:37], exec
	s_and_b64 s[36:37], s[50:51], exec
	s_or_b64 s[36:37], s[28:29], s[36:37]
.LBB6_4670:                             ;   in Loop: Header=BB6_4671 Depth=3
	s_or_b64 exec, exec, s[48:49]
	s_and_b64 s[28:29], exec, s[36:37]
	s_or_b64 s[30:31], s[28:29], s[30:31]
	s_andn2_b64 s[28:29], s[34:35], exec
	s_and_b64 s[34:35], s[38:39], exec
	s_or_b64 s[34:35], s[28:29], s[34:35]
	s_andn2_b64 exec, exec, s[30:31]
	s_cbranch_execz .LBB6_4675
.LBB6_4671:                             ;   Parent Loop BB6_47 Depth=1
                                        ;     Parent Loop BB6_4663 Depth=2
                                        ; =>    This Inner Loop Header: Depth=3
	s_sleep 1
	buffer_load_dword v2, off, s[0:3], s33 offset:64 ; 4-byte Folded Reload
	buffer_load_dword v3, off, s[0:3], s33 offset:68 ; 4-byte Folded Reload
	s_or_b64 s[38:39], s[38:39], exec
	s_or_b64 s[36:37], s[36:37], exec
	s_waitcnt vmcnt(0)
	flat_load_dwordx2 v[2:3], v[2:3] glc
	s_waitcnt vmcnt(0) lgkmcnt(0)
	buffer_store_dword v2, off, s[0:3], s33 offset:56 ; 4-byte Folded Spill
	s_nop 0
	buffer_store_dword v3, off, s[0:3], s33 offset:60 ; 4-byte Folded Spill
                                        ; implicit-def: $vgpr2
	s_and_saveexec_b64 s[48:49], vcc
	s_cbranch_execz .LBB6_4670
; %bb.4672:                             ;   in Loop: Header=BB6_4671 Depth=3
	s_cmpk_lt_i32 s87, 0x270f
	s_cselect_b64 s[54:55], -1, 0
	s_cmpk_gt_i32 s87, 0x270e
	s_mov_b64 s[50:51], -1
	s_cbranch_scc0 .LBB6_4674
; %bb.4673:                             ;   in Loop: Header=BB6_4671 Depth=3
	s_trap 2
	ds_read_b64 v[2:3], v0
	s_andn2_b64 s[54:55], s[54:55], exec
	s_mov_b32 s87, 0
	s_mov_b64 s[52:53], 0
	s_waitcnt vmcnt(0) lgkmcnt(0)
	flat_load_dword v2, v[2:3] glc
	s_waitcnt vmcnt(0) lgkmcnt(0)
	buffer_wbinvl1_vol
	v_cmp_eq_u32_e64 s[28:29], 0, v2
	s_and_b64 s[28:29], s[28:29], exec
	s_or_b64 s[54:55], s[54:55], s[28:29]
	s_and_saveexec_b64 s[64:65], s[54:55]
	s_cbranch_execz .LBB6_4669
	s_branch .LBB6_4668
.LBB6_4674:                             ;   in Loop: Header=BB6_4671 Depth=3
	s_add_i32 s87, s87, 1
	s_mov_b64 s[52:53], -1
                                        ; implicit-def: $vgpr2
	s_and_saveexec_b64 s[64:65], s[54:55]
	s_cbranch_execz .LBB6_4669
	s_branch .LBB6_4668
.LBB6_4675:                             ;   in Loop: Header=BB6_4663 Depth=2
	s_or_b64 exec, exec, s[30:31]
	s_xor_b64 s[28:29], s[34:35], -1
	s_and_saveexec_b64 vcc, s[28:29]
	s_xor_b64 s[28:29], exec, vcc
	s_cbranch_execz .LBB6_4677
; %bb.4676:                             ;   in Loop: Header=BB6_4663 Depth=2
	ds_write_b32 v0, v2
	s_trap 2
	buffer_load_dword v2, off, s[0:3], s33 offset:72 ; 4-byte Folded Reload
	s_waitcnt vmcnt(0)
	v_or_b32_e32 v2, 64, v2
	buffer_store_dword v2, off, s[0:3], s33 offset:72 ; 4-byte Folded Spill
.LBB6_4677:                             ;   in Loop: Header=BB6_4663 Depth=2
	s_or_b64 exec, exec, s[28:29]
.LBB6_4678:                             ;   in Loop: Header=BB6_4663 Depth=2
	s_or_b64 exec, exec, s[42:43]
	;;#ASMSTART
	s_wakeup
	;;#ASMEND
	buffer_load_dword v2, off, s[0:3], s33 offset:72 ; 4-byte Folded Reload
	s_waitcnt vmcnt(0)
	v_and_b32_e32 v2, 0x108, v2
	v_cmp_ne_u32_e32 vcc, s71, v2
                                        ; implicit-def: $vgpr2_vgpr3
	s_and_saveexec_b64 s[28:29], vcc
	s_xor_b64 s[28:29], exec, s[28:29]
	s_cbranch_execz .LBB6_4680
; %bb.4679:                             ;   in Loop: Header=BB6_4663 Depth=2
	buffer_load_dword v2, off, s[0:3], s33 offset:84 ; 4-byte Folded Reload
	buffer_load_dword v3, off, s[0:3], s33 offset:88 ; 4-byte Folded Reload
	s_waitcnt vmcnt(0)
	v_mov_b32_e32 v3, v34
                                        ; implicit-def: $vgpr4_vgpr5
                                        ; kill: killed $vgpr4_vgpr5
	v_and_b32_e32 v2, 7, v2
.LBB6_4680:                             ;   in Loop: Header=BB6_4663 Depth=2
	s_andn2_saveexec_b64 s[28:29], s[28:29]
	s_cbranch_execz .LBB6_4682
; %bb.4681:                             ;   in Loop: Header=BB6_4663 Depth=2
	buffer_load_dword v2, off, s[0:3], s33 offset:84 ; 4-byte Folded Reload
	buffer_load_dword v3, off, s[0:3], s33 offset:88 ; 4-byte Folded Reload
	;; [unrolled: 1-line block ×8, first 2 shown]
	s_waitcnt vmcnt(0)
	v_and_b32_e32 v2, 7, v2
	v_mad_u64_u32 v[4:5], s[42:43], v2, 24, v[3:4]
	v_mov_b32_e32 v9, v6
	v_mov_b32_e32 v3, v34
	v_ashrrev_i32_e32 v10, 31, v9
	buffer_store_dword v6, off, s[0:3], s33 offset:408 ; 4-byte Folded Spill
	s_nop 0
	buffer_store_dword v7, off, s[0:3], s33 offset:412 ; 4-byte Folded Spill
	flat_store_dwordx2 v[4:5], v[9:10] offset:8
.LBB6_4682:                             ;   in Loop: Header=BB6_4663 Depth=2
	s_or_b64 exec, exec, s[28:29]
	buffer_load_dword v4, off, s[0:3], s33 offset:72 ; 4-byte Folded Reload
	s_mov_b64 s[28:29], -1
	s_waitcnt vmcnt(0)
	v_and_b32_e32 v4, 0x100, v4
	v_cmp_ne_u32_e32 vcc, 0, v4
                                        ; implicit-def: $vgpr4_vgpr5
	s_and_saveexec_b64 s[42:43], vcc
	s_cbranch_execz .LBB6_4686
; %bb.4683:                             ;   in Loop: Header=BB6_4663 Depth=2
	buffer_load_dword v4, off, s[0:3], s33 offset:292 ; 4-byte Folded Reload
	buffer_load_dword v5, off, s[0:3], s33 offset:296 ; 4-byte Folded Reload
	;; [unrolled: 1-line block ×4, first 2 shown]
	s_waitcnt vmcnt(0)
	v_mad_u64_u32 v[6:7], s[28:29], v2, 24, v[4:5]
	v_mov_b32_e32 v4, v7
	v_mad_u64_u32 v[4:5], s[28:29], v3, 24, v[4:5]
	v_mov_b32_e32 v7, v4
	flat_load_dword v4, v[6:7]
	s_waitcnt vmcnt(0) lgkmcnt(0)
	v_cmp_ne_u32_e32 vcc, 1, v4
	v_cmp_eq_u32_e64 s[28:29], 1, v4
                                        ; implicit-def: $vgpr4_vgpr5
	s_and_saveexec_b64 s[30:31], s[28:29]
	s_cbranch_execz .LBB6_4685
; %bb.4684:                             ;   in Loop: Header=BB6_4663 Depth=2
	flat_load_dword v4, v[6:7] offset:4 glc
	s_waitcnt vmcnt(0) lgkmcnt(0)
	v_ashrrev_i32_e32 v5, 31, v4
.LBB6_4685:                             ;   in Loop: Header=BB6_4663 Depth=2
	s_or_b64 exec, exec, s[30:31]
	s_orn2_b64 s[28:29], vcc, exec
.LBB6_4686:                             ;   in Loop: Header=BB6_4663 Depth=2
	s_or_b64 exec, exec, s[42:43]
	s_and_saveexec_b64 s[42:43], s[28:29]
	s_cbranch_execz .LBB6_4688
; %bb.4687:                             ;   in Loop: Header=BB6_4663 Depth=2
	buffer_load_dword v4, off, s[0:3], s33 offset:324 ; 4-byte Folded Reload
	buffer_load_dword v5, off, s[0:3], s33 offset:344 ; 4-byte Folded Reload
	s_waitcnt vmcnt(0)
	v_mul_lo_u32 v3, v3, v4
	v_mul_lo_u32 v6, v2, v5
	v_mad_u64_u32 v[4:5], s[28:29], v2, v4, 0
	v_add3_u32 v5, v5, v6, v3
.LBB6_4688:                             ;   in Loop: Header=BB6_4663 Depth=2
	s_or_b64 exec, exec, s[42:43]
	v_cmp_eq_u32_e32 vcc, 0, v8
	v_mov_b32_e32 v2, 0x90
	v_mov_b32_e32 v3, 0xd0
	v_cndmask_b32_e32 v6, v3, v2, vcc
	buffer_load_dword v2, off, s[0:3], s33 offset:284 ; 4-byte Folded Reload
	buffer_load_dword v3, off, s[0:3], s33 offset:288 ; 4-byte Folded Reload
	s_waitcnt vmcnt(0)
	v_add_co_u32_e32 v2, vcc, v2, v4
	v_addc_co_u32_e32 v3, vcc, v3, v5, vcc
	v_add_u32_e32 v4, v0, v6
	ds_write_b64 v4, v[2:3] offset:584
	buffer_load_dword v2, off, s[0:3], s33 offset:72 ; 4-byte Folded Reload
	s_waitcnt vmcnt(0)
	v_and_b32_e32 v2, 0x2000, v2
	v_cmp_ne_u32_e32 vcc, 0, v2
	s_and_saveexec_b64 s[28:29], vcc
	s_cbranch_execz .LBB6_4690
; %bb.4689:                             ;   in Loop: Header=BB6_4663 Depth=2
	ds_read_b64 v[2:3], v0 offset:872
	s_waitcnt lgkmcnt(0)
	v_add_co_u32_e32 v2, vcc, 1, v2
	v_addc_co_u32_e32 v3, vcc, 0, v3, vcc
	ds_write_b64 v0, v[2:3] offset:872
.LBB6_4690:                             ;   in Loop: Header=BB6_4663 Depth=2
	s_or_b64 exec, exec, s[28:29]
	buffer_store_dword v0, off, s[0:3], s33 offset:84 ; 4-byte Folded Spill
	s_nop 0
	buffer_store_dword v1, off, s[0:3], s33 offset:88 ; 4-byte Folded Spill
.LBB6_4691:                             ;   in Loop: Header=BB6_4663 Depth=2
	s_or_b64 exec, exec, s[40:41]
	s_and_saveexec_b64 s[28:29], s[10:11]
	s_cbranch_execz .LBB6_4710
; %bb.4692:                             ;   in Loop: Header=BB6_4663 Depth=2
	s_and_saveexec_b64 s[40:41], s[58:59]
	s_xor_b64 s[40:41], exec, s[40:41]
	s_cbranch_execz .LBB6_4707
; %bb.4693:                             ;   in Loop: Header=BB6_4663 Depth=2
	s_and_saveexec_b64 s[42:43], s[16:17]
	s_cbranch_execz .LBB6_4706
; %bb.4694:                             ;   in Loop: Header=BB6_4663 Depth=2
	s_mov_b64 s[34:35], exec
	v_mbcnt_lo_u32_b32 v0, s34, 0
	v_mbcnt_hi_u32_b32 v0, s35, v0
	v_cmp_eq_u32_e32 vcc, 0, v0
	s_waitcnt vmcnt(0) lgkmcnt(0)
	buffer_wbinvl1_vol
	s_and_saveexec_b64 s[30:31], vcc
	s_cbranch_execz .LBB6_4696
; %bb.4695:                             ;   in Loop: Header=BB6_4663 Depth=2
	s_bcnt1_i32_b64 s47, s[34:35]
	v_mov_b32_e32 v0, s47
	v_mov_b32_e32 v1, v34
	ds_add_u64 v0, v[0:1]
	s_trap 2
.LBB6_4696:                             ;   in Loop: Header=BB6_4663 Depth=2
	s_or_b64 exec, exec, s[30:31]
	s_trap 2
	ds_read_b64 v[0:1], v0
	s_waitcnt lgkmcnt(0)
	buffer_load_dword v2, off, s[0:3], s33 offset:76 ; 4-byte Folded Reload
	buffer_load_dword v3, off, s[0:3], s33 offset:80 ; 4-byte Folded Reload
	s_waitcnt vmcnt(1)
	v_add_co_u32_e32 v2, vcc, v2, v39
	s_waitcnt vmcnt(0)
	v_addc_co_u32_e32 v3, vcc, 0, v3, vcc
	buffer_store_dword v2, off, s[0:3], s33 offset:76 ; 4-byte Folded Spill
	s_nop 0
	buffer_store_dword v3, off, s[0:3], s33 offset:80 ; 4-byte Folded Spill
	v_cmp_lt_u64_e32 vcc, v[0:1], v[2:3]
	s_and_saveexec_b64 s[30:31], vcc
	s_cbranch_execz .LBB6_4705
; %bb.4697:                             ;   in Loop: Header=BB6_4663 Depth=2
	s_mov_b32 s47, 0
	s_mov_b64 s[34:35], 0
                                        ; implicit-def: $sgpr36_sgpr37
                                        ; implicit-def: $sgpr38_sgpr39
	s_branch .LBB6_4699
.LBB6_4698:                             ;   in Loop: Header=BB6_4699 Depth=3
	s_or_b64 exec, exec, s[50:51]
	s_and_b64 vcc, exec, vcc
	s_or_b64 s[34:35], vcc, s[34:35]
	s_andn2_b64 vcc, s[36:37], exec
	s_and_b64 s[36:37], s[38:39], exec
	s_or_b64 s[36:37], vcc, s[36:37]
	s_andn2_b64 exec, exec, s[34:35]
	s_cbranch_execz .LBB6_4703
.LBB6_4699:                             ;   Parent Loop BB6_47 Depth=1
                                        ;     Parent Loop BB6_4663 Depth=2
                                        ; =>    This Inner Loop Header: Depth=3
	s_add_i32 s47, s47, 1
	s_cmpk_lg_i32 s47, 0x2710
	s_cselect_b64 s[48:49], -1, 0
	s_and_b64 vcc, exec, s[48:49]
	s_cbranch_vccz .LBB6_4701
; %bb.4700:                             ;   in Loop: Header=BB6_4699 Depth=3
	s_mov_b64 vcc, -1
	s_or_b64 s[38:39], s[38:39], exec
	s_and_saveexec_b64 s[50:51], s[48:49]
	s_cbranch_execz .LBB6_4698
	s_branch .LBB6_4702
.LBB6_4701:                             ;   in Loop: Header=BB6_4699 Depth=3
	s_trap 2
	ds_read_b64 v[0:1], v0
	s_andn2_b64 s[48:49], s[48:49], exec
	s_mov_b32 s47, 0
	s_waitcnt vmcnt(0) lgkmcnt(0)
	flat_load_dword v0, v[0:1] glc
	s_waitcnt vmcnt(0) lgkmcnt(0)
	buffer_wbinvl1_vol
	v_cmp_eq_u32_e32 vcc, 0, v0
	s_and_b64 vcc, vcc, exec
	s_or_b64 s[48:49], s[48:49], vcc
	s_mov_b64 vcc, -1
	s_or_b64 s[38:39], s[38:39], exec
	s_and_saveexec_b64 s[50:51], s[48:49]
	s_cbranch_execz .LBB6_4698
.LBB6_4702:                             ;   in Loop: Header=BB6_4699 Depth=3
	s_sleep 1
	s_trap 2
	ds_read_b64 v[0:1], v0
	s_waitcnt lgkmcnt(0)
	buffer_load_dword v2, off, s[0:3], s33 offset:76 ; 4-byte Folded Reload
	buffer_load_dword v3, off, s[0:3], s33 offset:80 ; 4-byte Folded Reload
	s_andn2_b64 s[38:39], s[38:39], exec
	s_waitcnt vmcnt(0)
	v_cmp_ge_u64_e32 vcc, v[0:1], v[2:3]
	s_orn2_b64 vcc, vcc, exec
	s_branch .LBB6_4698
.LBB6_4703:                             ;   in Loop: Header=BB6_4663 Depth=2
	s_or_b64 exec, exec, s[34:35]
	s_and_saveexec_b64 vcc, s[36:37]
	s_xor_b64 vcc, exec, vcc
	s_cbranch_execz .LBB6_4705
; %bb.4704:                             ;   in Loop: Header=BB6_4663 Depth=2
	v_mov_b32_e32 v0, 1
	ds_write_b32 v0, v0
	s_trap 2
.LBB6_4705:                             ;   in Loop: Header=BB6_4663 Depth=2
	s_or_b64 exec, exec, s[30:31]
	;;#ASMSTART
	s_wakeup
	;;#ASMEND
.LBB6_4706:                             ;   in Loop: Header=BB6_4663 Depth=2
	s_or_b64 exec, exec, s[42:43]
.LBB6_4707:                             ;   in Loop: Header=BB6_4663 Depth=2
	s_andn2_saveexec_b64 s[40:41], s[40:41]
	s_cbranch_execz .LBB6_4709
; %bb.4708:                             ;   in Loop: Header=BB6_4663 Depth=2
	s_waitcnt vmcnt(0) lgkmcnt(0)
	buffer_wbinvl1_vol
	s_barrier
.LBB6_4709:                             ;   in Loop: Header=BB6_4663 Depth=2
	s_or_b64 exec, exec, s[40:41]
.LBB6_4710:                             ;   in Loop: Header=BB6_4663 Depth=2
	s_or_b64 exec, exec, s[28:29]
	s_trap 2
	buffer_load_dword v1, off, s[0:3], s33 offset:72 ; 4-byte Folded Reload
	ds_read_b32 v0, v0
	s_xor_b64 s[28:29], s[6:7], -1
	s_waitcnt vmcnt(0)
	v_and_b32_e32 v1, 0x4000, v1
	v_cmp_ne_u32_e32 vcc, 0, v1
	s_and_b64 s[40:41], s[28:29], vcc
	s_and_saveexec_b64 s[28:29], s[40:41]
	s_cbranch_execz .LBB6_4729
; %bb.4711:                             ;   in Loop: Header=BB6_4663 Depth=2
	s_and_saveexec_b64 s[40:41], s[58:59]
	s_xor_b64 s[40:41], exec, s[40:41]
	s_cbranch_execz .LBB6_4726
; %bb.4712:                             ;   in Loop: Header=BB6_4663 Depth=2
	s_and_saveexec_b64 s[42:43], s[16:17]
	s_cbranch_execz .LBB6_4725
; %bb.4713:                             ;   in Loop: Header=BB6_4663 Depth=2
	s_mov_b64 s[34:35], exec
	v_mbcnt_lo_u32_b32 v1, s34, 0
	v_mbcnt_hi_u32_b32 v1, s35, v1
	v_cmp_eq_u32_e32 vcc, 0, v1
	s_waitcnt lgkmcnt(0)
	buffer_wbinvl1_vol
	s_and_saveexec_b64 s[30:31], vcc
	s_cbranch_execz .LBB6_4715
; %bb.4714:                             ;   in Loop: Header=BB6_4663 Depth=2
	s_bcnt1_i32_b64 s47, s[34:35]
	v_mov_b32_e32 v1, s47
	v_mov_b32_e32 v2, v34
	ds_add_u64 v0, v[1:2]
	s_trap 2
.LBB6_4715:                             ;   in Loop: Header=BB6_4663 Depth=2
	s_or_b64 exec, exec, s[30:31]
	s_trap 2
	ds_read_b64 v[1:2], v0
	s_waitcnt lgkmcnt(0)
	buffer_load_dword v3, off, s[0:3], s33 offset:76 ; 4-byte Folded Reload
	buffer_load_dword v4, off, s[0:3], s33 offset:80 ; 4-byte Folded Reload
	s_waitcnt vmcnt(1)
	v_add_co_u32_e32 v3, vcc, v3, v39
	s_waitcnt vmcnt(0)
	v_addc_co_u32_e32 v4, vcc, 0, v4, vcc
	buffer_store_dword v3, off, s[0:3], s33 offset:76 ; 4-byte Folded Spill
	s_nop 0
	buffer_store_dword v4, off, s[0:3], s33 offset:80 ; 4-byte Folded Spill
	v_cmp_lt_u64_e32 vcc, v[1:2], v[3:4]
	s_and_saveexec_b64 s[30:31], vcc
	s_cbranch_execz .LBB6_4724
; %bb.4716:                             ;   in Loop: Header=BB6_4663 Depth=2
	s_mov_b32 s47, 0
	s_mov_b64 s[34:35], 0
                                        ; implicit-def: $sgpr36_sgpr37
                                        ; implicit-def: $sgpr38_sgpr39
	s_branch .LBB6_4718
.LBB6_4717:                             ;   in Loop: Header=BB6_4718 Depth=3
	s_or_b64 exec, exec, s[50:51]
	s_and_b64 vcc, exec, vcc
	s_or_b64 s[34:35], vcc, s[34:35]
	s_andn2_b64 vcc, s[36:37], exec
	s_and_b64 s[36:37], s[38:39], exec
	s_or_b64 s[36:37], vcc, s[36:37]
	s_andn2_b64 exec, exec, s[34:35]
	s_cbranch_execz .LBB6_4722
.LBB6_4718:                             ;   Parent Loop BB6_47 Depth=1
                                        ;     Parent Loop BB6_4663 Depth=2
                                        ; =>    This Inner Loop Header: Depth=3
	s_add_i32 s47, s47, 1
	s_cmpk_lg_i32 s47, 0x2710
	s_cselect_b64 s[48:49], -1, 0
	s_and_b64 vcc, exec, s[48:49]
	s_cbranch_vccz .LBB6_4720
; %bb.4719:                             ;   in Loop: Header=BB6_4718 Depth=3
	s_mov_b64 vcc, -1
	s_or_b64 s[38:39], s[38:39], exec
	s_and_saveexec_b64 s[50:51], s[48:49]
	s_cbranch_execz .LBB6_4717
	s_branch .LBB6_4721
.LBB6_4720:                             ;   in Loop: Header=BB6_4718 Depth=3
	s_trap 2
	ds_read_b64 v[1:2], v0
	s_andn2_b64 s[48:49], s[48:49], exec
	s_mov_b32 s47, 0
	s_waitcnt vmcnt(0) lgkmcnt(0)
	flat_load_dword v1, v[1:2] glc
	s_waitcnt vmcnt(0) lgkmcnt(0)
	buffer_wbinvl1_vol
	v_cmp_eq_u32_e32 vcc, 0, v1
	s_and_b64 vcc, vcc, exec
	s_or_b64 s[48:49], s[48:49], vcc
	s_mov_b64 vcc, -1
	s_or_b64 s[38:39], s[38:39], exec
	s_and_saveexec_b64 s[50:51], s[48:49]
	s_cbranch_execz .LBB6_4717
.LBB6_4721:                             ;   in Loop: Header=BB6_4718 Depth=3
	s_sleep 1
	s_trap 2
	ds_read_b64 v[1:2], v0
	s_waitcnt lgkmcnt(0)
	buffer_load_dword v3, off, s[0:3], s33 offset:76 ; 4-byte Folded Reload
	buffer_load_dword v4, off, s[0:3], s33 offset:80 ; 4-byte Folded Reload
	s_andn2_b64 s[38:39], s[38:39], exec
	s_waitcnt vmcnt(0)
	v_cmp_ge_u64_e32 vcc, v[1:2], v[3:4]
	s_orn2_b64 vcc, vcc, exec
	s_branch .LBB6_4717
.LBB6_4722:                             ;   in Loop: Header=BB6_4663 Depth=2
	s_or_b64 exec, exec, s[34:35]
	s_and_saveexec_b64 vcc, s[36:37]
	s_xor_b64 vcc, exec, vcc
	s_cbranch_execz .LBB6_4724
; %bb.4723:                             ;   in Loop: Header=BB6_4663 Depth=2
	v_mov_b32_e32 v1, 1
	ds_write_b32 v0, v1
	s_trap 2
.LBB6_4724:                             ;   in Loop: Header=BB6_4663 Depth=2
	s_or_b64 exec, exec, s[30:31]
	;;#ASMSTART
	s_wakeup
	;;#ASMEND
.LBB6_4725:                             ;   in Loop: Header=BB6_4663 Depth=2
	s_or_b64 exec, exec, s[42:43]
.LBB6_4726:                             ;   in Loop: Header=BB6_4663 Depth=2
	s_andn2_saveexec_b64 s[40:41], s[40:41]
	s_cbranch_execz .LBB6_4728
; %bb.4727:                             ;   in Loop: Header=BB6_4663 Depth=2
	s_waitcnt vmcnt(0) lgkmcnt(0)
	buffer_wbinvl1_vol
	s_barrier
.LBB6_4728:                             ;   in Loop: Header=BB6_4663 Depth=2
	s_or_b64 exec, exec, s[40:41]
.LBB6_4729:                             ;   in Loop: Header=BB6_4663 Depth=2
	s_or_b64 exec, exec, s[28:29]
	s_trap 2
	s_waitcnt lgkmcnt(0)
	ds_read_b64 v[3:4], v0
	s_waitcnt lgkmcnt(0)
	v_cmp_eq_u64_e32 vcc, 0, v[3:4]
	s_cbranch_vccnz .LBB6_4738
; %bb.4730:                             ;   in Loop: Header=BB6_4663 Depth=2
	s_trap 2
	ds_read_b64 v[1:2], v0
	s_waitcnt lgkmcnt(0)
	v_cmp_eq_u64_e32 vcc, 0, v[1:2]
	s_cbranch_vccnz .LBB6_4738
; %bb.4731:                             ;   in Loop: Header=BB6_4663 Depth=2
	buffer_store_dword v1, off, s[0:3], s33 offset:444 ; 4-byte Folded Spill
	s_nop 0
	buffer_store_dword v2, off, s[0:3], s33 offset:448 ; 4-byte Folded Spill
	s_trap 2
	ds_read_b64 v[52:53], v0
	v_cmp_eq_u32_e64 s[28:29], 0, v0
	buffer_load_dword v0, off, s[0:3], s33 offset:408 ; 4-byte Folded Reload
	buffer_load_dword v1, off, s[0:3], s33 offset:412 ; 4-byte Folded Reload
	s_waitcnt lgkmcnt(0)
	v_cmp_ne_u64_e32 vcc, 0, v[52:53]
	s_and_b64 vcc, exec, vcc
	s_waitcnt vmcnt(1)
	v_cndmask_b32_e64 v0, 0, v0, s[28:29]
	buffer_store_dword v0, off, s[0:3], s33 offset:432 ; 4-byte Folded Spill
	buffer_store_dword v3, off, s[0:3], s33 offset:452 ; 4-byte Folded Spill
	s_nop 0
	buffer_store_dword v4, off, s[0:3], s33 offset:456 ; 4-byte Folded Spill
	s_cbranch_vccz .LBB6_4743
; %bb.4732:                             ;   in Loop: Header=BB6_4663 Depth=2
	s_mov_b64 s[40:41], -1
	s_and_saveexec_b64 s[28:29], s[22:23]
	s_cbranch_execz .LBB6_4734
; %bb.4733:                             ;   in Loop: Header=BB6_4663 Depth=2
	ds_read_b32 v0, v0 offset:720
	s_waitcnt lgkmcnt(0)
	v_and_b32_e32 v0, 15, v0
	v_cmp_eq_u32_e32 vcc, 0, v0
	s_orn2_b64 s[40:41], vcc, exec
.LBB6_4734:                             ;   in Loop: Header=BB6_4663 Depth=2
	s_or_b64 exec, exec, s[28:29]
	s_and_saveexec_b64 s[28:29], s[22:23]
	s_cbranch_execz .LBB6_4736
; %bb.4735:                             ;   in Loop: Header=BB6_4663 Depth=2
	ds_read_b32 v0, v0 offset:784
	s_waitcnt lgkmcnt(0)
	v_and_b32_e32 v0, 15, v0
	v_cmp_eq_u32_e32 vcc, 0, v0
	s_and_b64 s[42:43], s[40:41], vcc
	s_andn2_b64 s[40:41], s[40:41], exec
	s_and_b64 s[42:43], s[42:43], exec
	s_or_b64 s[40:41], s[40:41], s[42:43]
.LBB6_4736:                             ;   in Loop: Header=BB6_4663 Depth=2
	s_or_b64 exec, exec, s[28:29]
	buffer_load_dword v6, off, s[0:3], s33 offset:432 ; 4-byte Folded Reload
	buffer_load_dword v8, off, s[0:3], s33 offset:348 ; 4-byte Folded Reload
	;; [unrolled: 1-line block ×3, first 2 shown]
	s_xor_b64 s[40:41], s[40:41], -1
	v_cndmask_b32_e64 v0, 0, 1, s[40:41]
	s_mov_b64 s[28:29], -1
	v_mov_b32_e32 v5, 0
	v_cmp_ne_u32_e32 vcc, 0, v0
	s_cbranch_vccz .LBB6_4744
; %bb.4737:                             ;   in Loop: Header=BB6_4663 Depth=2
	s_and_saveexec_b64 s[42:43], s[28:29]
	s_cbranch_execz .LBB6_8937
	s_branch .LBB6_7607
.LBB6_4738:                             ;   in Loop: Header=BB6_4663 Depth=2
	s_mov_b64 s[28:29], 0
	s_and_saveexec_b64 s[40:41], s[10:11]
	s_cbranch_execz .LBB6_4739
; %bb.13777:                            ;   in Loop: Header=BB6_4663 Depth=2
	s_getpc_b64 s[98:99]
.Lpost_getpc22:
	s_add_u32 s98, s98, (.LBB6_13135-.Lpost_getpc22)&4294967295
	s_addc_u32 s99, s99, (.LBB6_13135-.Lpost_getpc22)>>32
	s_setpc_b64 s[98:99]
.LBB6_4739:                             ;   in Loop: Header=BB6_4663 Depth=2
	s_or_b64 exec, exec, s[40:41]
                                        ; implicit-def: $vgpr0
	s_and_saveexec_b64 s[40:41], s[24:25]
	s_xor_b64 s[40:41], exec, s[40:41]
	s_cbranch_execnz .LBB6_4740
; %bb.13779:                            ;   in Loop: Header=BB6_4663 Depth=2
	s_getpc_b64 s[98:99]
.Lpost_getpc23:
	s_add_u32 s98, s98, (.LBB6_13153-.Lpost_getpc23)&4294967295
	s_addc_u32 s99, s99, (.LBB6_13153-.Lpost_getpc23)>>32
	s_setpc_b64 s[98:99]
.LBB6_4740:                             ;   in Loop: Header=BB6_4663 Depth=2
	buffer_load_dword v1, off, s[0:3], s33 offset:72 ; 4-byte Folded Reload
	s_waitcnt vmcnt(0)
	v_and_b32_e32 v0, 16, v1
	v_and_b32_e32 v1, 16, v1
	v_cmp_ne_u32_e32 vcc, 0, v1
	s_and_b64 s[42:43], vcc, s[28:29]
	s_and_saveexec_b64 s[28:29], s[42:43]
	s_cbranch_execz .LBB6_4742
; %bb.4741:                             ;   in Loop: Header=BB6_4663 Depth=2
	v_mov_b32_e32 v0, 1
	s_waitcnt lgkmcnt(0)
	buffer_wbinvl1_vol
.LBB6_4742:                             ;   in Loop: Header=BB6_4663 Depth=2
	s_or_b64 exec, exec, s[28:29]
	s_andn2_saveexec_b64 s[28:29], s[40:41]
	s_cbranch_execnz .LBB6_13761
; %bb.13781:                            ;   in Loop: Header=BB6_4663 Depth=2
	s_getpc_b64 s[98:99]
.Lpost_getpc24:
	s_add_u32 s98, s98, (.LBB6_13172-.Lpost_getpc24)&4294967295
	s_addc_u32 s99, s99, (.LBB6_13172-.Lpost_getpc24)>>32
	s_setpc_b64 s[98:99]
.LBB6_13761:                            ;   in Loop: Header=BB6_4663 Depth=2
	s_getpc_b64 s[98:99]
.Lpost_getpc14:
	s_add_u32 s98, s98, (.LBB6_13154-.Lpost_getpc14)&4294967295
	s_addc_u32 s99, s99, (.LBB6_13154-.Lpost_getpc14)>>32
	s_setpc_b64 s[98:99]
.LBB6_4743:                             ;   in Loop: Header=BB6_4663 Depth=2
	s_cbranch_execnz .LBB6_8938
; %bb.13763:                            ;   in Loop: Header=BB6_4663 Depth=2
	s_getpc_b64 s[98:99]
.Lpost_getpc15:
	s_add_u32 s98, s98, (.LBB6_13134-.Lpost_getpc15)&4294967295
	s_addc_u32 s99, s99, (.LBB6_13134-.Lpost_getpc15)>>32
	s_setpc_b64 s[98:99]
.LBB6_4744:                             ;   in Loop: Header=BB6_4663 Depth=2
	buffer_load_dword v1, off, s[0:3], s33 offset:432 ; 4-byte Folded Reload
	s_waitcnt vmcnt(0)
	v_ashrrev_i32_e32 v0, 31, v1
	v_lshrrev_b32_e32 v0, 20, v0
	v_add_u32_e32 v0, v1, v0
	v_ashrrev_i32_e32 v1, 12, v0
	buffer_load_dword v0, off, s[0:3], s33 offset:320 ; 4-byte Folded Reload
	s_waitcnt vmcnt(0)
	v_sub_u32_e32 v7, v1, v0
	v_cmp_lt_i32_e32 vcc, 0, v7
	s_and_saveexec_b64 s[40:41], vcc
	s_cbranch_execz .LBB6_7052
; %bb.4745:                             ;   in Loop: Header=BB6_4663 Depth=2
	buffer_store_dword v1, off, s[0:3], s33 offset:400 ; 4-byte Folded Spill
	s_trap 2
	ds_read_b64 v[1:2], v0
	buffer_load_dword v0, off, s[0:3], s33 offset:424 ; 4-byte Folded Reload
	v_mov_b32_e32 v59, v53
	v_mov_b32_e32 v58, v52
	s_mov_b64 s[42:43], 0
	s_waitcnt vmcnt(0)
	v_add_co_u32_e32 v60, vcc, v3, v0
	buffer_load_dword v3, off, s[0:3], s33 offset:428 ; 4-byte Folded Reload
	s_nop 0
	buffer_store_dword v58, off, s[0:3], s33 offset:392 ; 4-byte Folded Spill
	s_nop 0
	buffer_store_dword v59, off, s[0:3], s33 offset:396 ; 4-byte Folded Spill
	buffer_load_dword v24, off, s[0:3], s33 offset:444 ; 4-byte Folded Reload
	buffer_load_dword v25, off, s[0:3], s33 offset:448 ; 4-byte Folded Reload
	s_waitcnt vmcnt(4)
	v_addc_co_u32_e32 v61, vcc, v4, v3, vcc
	s_waitcnt lgkmcnt(0)
	v_add_co_u32_e32 v1, vcc, v1, v0
	v_addc_co_u32_e32 v2, vcc, v2, v3, vcc
	s_branch .LBB6_4748
.LBB6_4746:                             ;   in Loop: Header=BB6_4748 Depth=3
	s_or_b64 exec, exec, s[30:31]
.LBB6_4747:                             ;   in Loop: Header=BB6_4748 Depth=3
	s_or_b64 exec, exec, s[28:29]
	v_lshl_or_b32 v3, v42, 8, v41
	v_lshl_or_b32 v4, v29, 8, v28
	v_lshlrev_b32_e32 v5, 16, v36
	v_lshlrev_b32_e32 v10, 24, v16
	v_lshlrev_b32_e32 v11, 16, v55
	v_lshlrev_b32_e32 v14, 24, v40
	v_or3_b32 v15, v3, v5, v10
	v_or3_b32 v14, v4, v11, v14
	v_lshl_or_b32 v3, v20, 8, v17
	v_lshlrev_b32_e32 v4, 16, v21
	v_lshlrev_b32_e32 v5, 24, v37
	v_or3_b32 v16, v3, v4, v5
	v_lshl_or_b32 v3, v49, 8, v48
	v_lshlrev_b32_e32 v4, 24, v18
	v_lshlrev_b32_e32 v5, 16, v43
	v_or3_b32 v17, v3, v5, v4
	buffer_load_dword v3, off, s[0:3], s33 offset:240 ; 4-byte Folded Reload
	buffer_load_dword v4, off, s[0:3], s33 offset:248 ; 4-byte Folded Reload
	v_lshlrev_b32_e32 v0, 24, v0
	v_lshl_or_b32 v6, v50, 8, v6
	s_waitcnt vmcnt(0)
	v_lshl_or_b32 v3, v4, 8, v3
	buffer_load_dword v4, off, s[0:3], s33 offset:208 ; 4-byte Folded Reload
	buffer_load_dword v5, off, s[0:3], s33 offset:216 ; 4-byte Folded Reload
	;; [unrolled: 1-line block ×5, first 2 shown]
	s_waitcnt vmcnt(3)
	v_lshl_or_b32 v4, v5, 8, v4
	buffer_load_dword v5, off, s[0:3], s33 offset:256 ; 4-byte Folded Reload
	s_waitcnt vmcnt(3)
	v_lshlrev_b32_e32 v11, 16, v11
	s_waitcnt vmcnt(2)
	v_lshlrev_b32_e32 v10, 24, v10
	;; [unrolled: 2-line block ×3, first 2 shown]
	v_or3_b32 v40, v4, v11, v18
	s_waitcnt vmcnt(0)
	v_lshlrev_b32_e32 v5, 16, v5
	v_or3_b32 v41, v3, v5, v10
	buffer_load_dword v3, off, s[0:3], s33 offset:376 ; 4-byte Folded Reload
	buffer_load_dword v4, off, s[0:3], s33 offset:384 ; 4-byte Folded Reload
	v_lshlrev_b32_e32 v5, 24, v54
	s_waitcnt vmcnt(0)
	v_lshl_or_b32 v3, v4, 8, v3
	v_lshlrev_b32_e32 v4, 16, v53
	v_or3_b32 v42, v3, v4, v5
	v_lshlrev_b32_e32 v3, 24, v27
	v_lshlrev_b32_e32 v4, 16, v26
	v_lshl_or_b32 v5, v31, 8, v30
	v_or3_b32 v43, v5, v4, v3
	buffer_load_dword v3, off, s[0:3], s33 offset:112 ; 4-byte Folded Reload
	buffer_load_dword v4, off, s[0:3], s33 offset:120 ; 4-byte Folded Reload
	;; [unrolled: 1-line block ×3, first 2 shown]
	s_waitcnt vmcnt(1)
	v_lshl_or_b32 v3, v4, 8, v3
	buffer_load_dword v4, off, s[0:3], s33 offset:128 ; 4-byte Folded Reload
	s_waitcnt vmcnt(1)
	v_lshlrev_b32_e32 v5, 24, v5
	s_waitcnt vmcnt(0)
	v_lshlrev_b32_e32 v4, 16, v4
	v_or3_b32 v27, v3, v4, v5
	buffer_load_dword v4, off, s[0:3], s33 offset:92 ; 4-byte Folded Reload
	buffer_load_dword v5, off, s[0:3], s33 offset:104 ; 4-byte Folded Reload
	v_lshl_or_b32 v3, v57, 8, v56
	s_waitcnt vmcnt(1)
	v_lshlrev_b32_e32 v4, 16, v4
	s_waitcnt vmcnt(0)
	v_lshlrev_b32_e32 v5, 24, v5
	v_or3_b32 v26, v3, v4, v5
	buffer_load_dword v3, off, s[0:3], s33 offset:144 ; 4-byte Folded Reload
	buffer_load_dword v4, off, s[0:3], s33 offset:152 ; 4-byte Folded Reload
	;; [unrolled: 1-line block ×3, first 2 shown]
	s_waitcnt vmcnt(1)
	v_lshl_or_b32 v3, v4, 8, v3
	buffer_load_dword v4, off, s[0:3], s33 offset:160 ; 4-byte Folded Reload
	s_waitcnt vmcnt(1)
	v_lshlrev_b32_e32 v5, 24, v5
	s_waitcnt vmcnt(0)
	v_lshlrev_b32_e32 v4, 16, v4
	v_or3_b32 v28, v3, v4, v5
	buffer_load_dword v3, off, s[0:3], s33 offset:200 ; 4-byte Folded Reload
	buffer_load_dword v4, off, s[0:3], s33 offset:192 ; 4-byte Folded Reload
	buffer_load_dword v5, off, s[0:3], s33 offset:176 ; 4-byte Folded Reload
	buffer_load_dword v10, off, s[0:3], s33 offset:184 ; 4-byte Folded Reload
	s_waitcnt vmcnt(3)
	v_lshlrev_b32_e32 v3, 24, v3
	s_waitcnt vmcnt(2)
	v_lshlrev_b32_e32 v4, 16, v4
	s_waitcnt vmcnt(0)
	v_lshl_or_b32 v5, v10, 8, v5
	v_or3_b32 v29, v5, v4, v3
	buffer_load_dword v3, off, s[0:3], s33 offset:424 ; 4-byte Folded Reload
	buffer_load_dword v4, off, s[0:3], s33 offset:428 ; 4-byte Folded Reload
	v_lshlrev_b32_e32 v5, 24, v8
	v_lshlrev_b32_e32 v8, 24, v44
	s_waitcnt vmcnt(1)
	v_add_co_u32_e32 v10, vcc, v3, v24
	s_waitcnt vmcnt(0)
	v_addc_co_u32_e32 v11, vcc, v4, v25, vcc
	v_add_co_u32_e32 v20, vcc, v3, v58
	v_addc_co_u32_e32 v21, vcc, v4, v59, vcc
	v_lshl_or_b32 v3, v46, 8, v45
	v_lshlrev_b32_e32 v4, 16, v38
	v_or3_b32 v4, v3, v4, v5
	v_lshl_or_b32 v3, v22, 8, v19
	v_lshlrev_b32_e32 v5, 16, v23
	v_or3_b32 v3, v3, v5, v8
	v_lshl_or_b32 v5, v12, 8, v9
	v_lshlrev_b32_e32 v8, 16, v13
	v_lshlrev_b32_e32 v9, 24, v39
	v_or3_b32 v5, v5, v8, v9
	v_lshlrev_b32_e32 v8, 16, v51
	v_or3_b32 v6, v6, v8, v0
	global_store_dwordx4 v[10:11], v[26:29], off glc slc
	global_store_dwordx4 v[10:11], v[40:43], off offset:1024 glc slc
	global_store_dwordx4 v[10:11], v[14:17], off offset:2048 glc slc
	;; [unrolled: 1-line block ×3, first 2 shown]
	global_store_dwordx4 v[20:21], v[26:29], off glc slc
	global_store_dwordx4 v[20:21], v[40:43], off offset:1024 glc slc
	global_store_dwordx4 v[20:21], v[14:17], off offset:2048 glc slc
	global_store_dwordx4 v[20:21], v[3:6], off offset:3072 glc slc
	buffer_load_dword v0, off, s[0:3], s33 offset:280 ; 4-byte Folded Reload
	buffer_load_dword v39, off, s[0:3], s33 offset:100 ; 4-byte Folded Reload
	s_waitcnt vmcnt(1)
	v_add_co_u32_e32 v60, vcc, v60, v0
	v_addc_co_u32_e32 v61, vcc, 0, v61, vcc
	v_add_co_u32_e32 v1, vcc, v1, v0
	v_addc_co_u32_e32 v2, vcc, 0, v2, vcc
	v_add_co_u32_e32 v24, vcc, v24, v0
	s_waitcnt vmcnt(0)
	v_sub_u32_e32 v7, v7, v39
	v_addc_co_u32_e32 v25, vcc, 0, v25, vcc
	v_cmp_gt_i32_e32 vcc, 1, v7
	s_or_b64 s[42:43], vcc, s[42:43]
	v_add_co_u32_e32 v58, vcc, v58, v0
	v_addc_co_u32_e32 v59, vcc, 0, v59, vcc
	s_andn2_b64 exec, exec, s[42:43]
	s_cbranch_execz .LBB6_7051
.LBB6_4748:                             ;   Parent Loop BB6_47 Depth=1
                                        ;     Parent Loop BB6_4663 Depth=2
                                        ; =>    This Inner Loop Header: Depth=3
	global_load_dwordx4 v[48:51], v[60:61], off glc slc
	global_load_dwordx4 v[26:29], v[60:61], off offset:1024 glc slc
	global_load_dwordx4 v[20:23], v[60:61], off offset:2048 glc slc
	global_load_dwordx4 v[12:15], v[60:61], off offset:3072 glc slc
	global_load_dwordx4 v[36:39], v[1:2], off glc slc
	global_load_dwordx4 v[3:6], v[1:2], off offset:1024 glc slc
	global_load_dwordx4 v[16:19], v[1:2], off offset:2048 glc slc
	;; [unrolled: 1-line block ×3, first 2 shown]
	v_mov_b32_e32 v0, 0
	v_mov_b32_e32 v30, 0
	s_waitcnt vmcnt(7)
	v_cmp_ne_u16_sdwa vcc, v48, v34 src0_sel:BYTE_0 src1_sel:DWORD
	s_and_saveexec_b64 s[28:29], vcc
	s_cbranch_execz .LBB6_4756
; %bb.4749:                             ;   in Loop: Header=BB6_4748 Depth=3
	v_cmp_ne_u16_sdwa vcc, sext(v48), s80 src0_sel:BYTE_0 src1_sel:DWORD
	v_bfrev_b32_e32 v30, 1
	s_and_saveexec_b64 s[30:31], vcc
	s_cbranch_execz .LBB6_4755
; %bb.4750:                             ;   in Loop: Header=BB6_4748 Depth=3
	v_and_b32_e32 v30, 0x7c, v48
	v_and_b32_e32 v31, 3, v48
	v_cmp_ne_u32_e32 vcc, s81, v30
                                        ; implicit-def: $vgpr30
	s_and_saveexec_b64 s[34:35], vcc
	s_xor_b64 s[34:35], exec, s[34:35]
	s_cbranch_execz .LBB6_4752
; %bb.4751:                             ;   in Loop: Header=BB6_4748 Depth=3
	v_ffbh_u32_e32 v32, v31
	v_min_u32_e32 v35, 32, v32
	v_subrev_u32_e32 v32, 29, v35
	v_lshlrev_b64 v[32:33], v32, v[48:49]
	v_bfe_u32 v30, v48, 2, 5
	v_and_b32_e32 v32, 3, v32
	v_cmp_eq_u32_e32 vcc, 0, v30
	v_sub_u32_e32 v33, 30, v35
	v_cndmask_b32_e32 v31, v31, v32, vcc
	v_lshlrev_b32_e32 v32, 24, v48
	v_cndmask_b32_e32 v30, v30, v33, vcc
	v_and_b32_e32 v32, 0x80000000, v32
	v_lshl_add_u32 v30, v30, 23, v32
	v_lshl_or_b32 v30, v31, 21, v30
	v_add_u32_e32 v30, 0x38000000, v30
                                        ; implicit-def: $vgpr31
.LBB6_4752:                             ;   in Loop: Header=BB6_4748 Depth=3
	s_andn2_saveexec_b64 s[34:35], s[34:35]
; %bb.4753:                             ;   in Loop: Header=BB6_4748 Depth=3
	v_mov_b32_e32 v30, -1
	v_cmp_gt_i16_sdwa vcc, sext(v48), v30 src0_sel:BYTE_0 src1_sel:DWORD
	v_mov_b32_e32 v30, 0xff800000
	v_mov_b32_e32 v32, 0x7f800000
	v_cndmask_b32_e32 v30, v30, v32, vcc
	v_cmp_eq_u32_e32 vcc, 0, v31
	v_mov_b32_e32 v31, 0x7f800001
	v_cndmask_b32_e32 v30, v31, v30, vcc
; %bb.4754:                             ;   in Loop: Header=BB6_4748 Depth=3
	s_or_b64 exec, exec, s[34:35]
.LBB6_4755:                             ;   in Loop: Header=BB6_4748 Depth=3
	s_or_b64 exec, exec, s[30:31]
.LBB6_4756:                             ;   in Loop: Header=BB6_4748 Depth=3
	s_or_b64 exec, exec, s[28:29]
	s_waitcnt vmcnt(3)
	v_cmp_ne_u16_sdwa vcc, v36, v34 src0_sel:BYTE_0 src1_sel:DWORD
	s_and_saveexec_b64 s[28:29], vcc
	s_cbranch_execz .LBB6_4764
; %bb.4757:                             ;   in Loop: Header=BB6_4748 Depth=3
	v_cmp_ne_u16_sdwa vcc, sext(v36), s80 src0_sel:BYTE_0 src1_sel:DWORD
	v_bfrev_b32_e32 v0, 1
	s_and_saveexec_b64 s[30:31], vcc
	s_cbranch_execz .LBB6_4763
; %bb.4758:                             ;   in Loop: Header=BB6_4748 Depth=3
	v_and_b32_e32 v0, 0x7c, v36
	v_and_b32_e32 v31, 3, v36
	v_cmp_ne_u32_e32 vcc, s81, v0
                                        ; implicit-def: $vgpr0
	s_and_saveexec_b64 s[34:35], vcc
	s_xor_b64 s[34:35], exec, s[34:35]
	s_cbranch_execz .LBB6_4760
; %bb.4759:                             ;   in Loop: Header=BB6_4748 Depth=3
	v_ffbh_u32_e32 v32, v31
	v_min_u32_e32 v35, 32, v32
	v_subrev_u32_e32 v32, 29, v35
	v_lshlrev_b64 v[32:33], v32, v[36:37]
	v_bfe_u32 v0, v36, 2, 5
	v_and_b32_e32 v32, 3, v32
	v_cmp_eq_u32_e32 vcc, 0, v0
	v_sub_u32_e32 v33, 30, v35
	v_cndmask_b32_e32 v31, v31, v32, vcc
	v_lshlrev_b32_e32 v32, 24, v36
	v_cndmask_b32_e32 v0, v0, v33, vcc
	v_and_b32_e32 v32, 0x80000000, v32
	v_lshl_add_u32 v0, v0, 23, v32
	v_lshl_or_b32 v0, v31, 21, v0
	v_add_u32_e32 v0, 0x38000000, v0
                                        ; implicit-def: $vgpr31
.LBB6_4760:                             ;   in Loop: Header=BB6_4748 Depth=3
	s_andn2_saveexec_b64 s[34:35], s[34:35]
; %bb.4761:                             ;   in Loop: Header=BB6_4748 Depth=3
	v_mov_b32_e32 v0, -1
	v_cmp_gt_i16_sdwa vcc, sext(v36), v0 src0_sel:BYTE_0 src1_sel:DWORD
	v_mov_b32_e32 v0, 0xff800000
	v_mov_b32_e32 v32, 0x7f800000
	v_cndmask_b32_e32 v0, v0, v32, vcc
	v_cmp_eq_u32_e32 vcc, 0, v31
	v_mov_b32_e32 v31, 0x7f800001
	v_cndmask_b32_e32 v0, v31, v0, vcc
; %bb.4762:                             ;   in Loop: Header=BB6_4748 Depth=3
	s_or_b64 exec, exec, s[34:35]
.LBB6_4763:                             ;   in Loop: Header=BB6_4748 Depth=3
	s_or_b64 exec, exec, s[30:31]
.LBB6_4764:                             ;   in Loop: Header=BB6_4748 Depth=3
	s_or_b64 exec, exec, s[28:29]
	v_mul_f32_e32 v32, v30, v0
	v_and_b32_e32 v52, 0x7f800000, v32
	v_mov_b32_e32 v53, v34
	v_cmp_ne_u64_e32 vcc, s[76:77], v[52:53]
	v_and_b32_e32 v30, 0x7fffff, v32
	v_mov_b32_e32 v31, v34
                                        ; implicit-def: $vgpr56
	s_and_saveexec_b64 s[28:29], vcc
	s_xor_b64 s[30:31], exec, s[28:29]
	s_cbranch_execz .LBB6_4778
; %bb.4765:                             ;   in Loop: Header=BB6_4748 Depth=3
	v_and_b32_e32 v52, 0x7fffffff, v32
	v_mov_b32_e32 v53, v34
	v_cmp_gt_u64_e32 vcc, s[78:79], v[52:53]
	v_and_b32_sdwa v0, v32, s44 dst_sel:DWORD dst_unused:UNUSED_PAD src0_sel:BYTE_3 src1_sel:DWORD
                                        ; implicit-def: $vgpr56
	s_and_saveexec_b64 s[28:29], vcc
	s_xor_b64 s[34:35], exec, s[28:29]
	s_cbranch_execz .LBB6_4775
; %bb.4766:                             ;   in Loop: Header=BB6_4748 Depth=3
	v_mov_b32_e32 v56, 0
	v_cmp_ne_u32_e32 vcc, 0, v32
	s_and_saveexec_b64 s[36:37], vcc
	s_cbranch_execz .LBB6_4774
; %bb.4767:                             ;   in Loop: Header=BB6_4748 Depth=3
	v_bfe_u32 v33, v32, 23, 8
	v_cmp_gt_u32_e64 s[28:29], s45, v33
	v_sub_u32_e32 v32, 0x71, v33
	v_cmp_eq_u32_e32 vcc, 0, v33
	v_cndmask_b32_e64 v32, 0, v32, s[28:29]
	v_mov_b32_e32 v35, 0x70
	v_cndmask_b32_e32 v35, v32, v35, vcc
	v_or_b32_e32 v52, 0x800000, v30
	v_add_u32_e32 v32, 21, v35
	v_cndmask_b32_e32 v30, v52, v30, vcc
	v_lshlrev_b64 v[52:53], v32, -1
	v_add_u32_e32 v32, 20, v35
	v_bfi_b32 v52, v52, 0, v30
	v_lshlrev_b64 v[54:55], v32, 1
	v_lshrrev_b64 v[30:31], v35, v[30:31]
	v_bfi_b32 v53, v53, 0, 0
	v_cmp_eq_u64_e64 s[28:29], v[52:53], v[54:55]
	v_mov_b32_e32 v32, v31
	v_mov_b32_e32 v31, v30
	s_and_saveexec_b64 s[38:39], s[28:29]
; %bb.4768:                             ;   in Loop: Header=BB6_4748 Depth=3
	v_bfe_u32 v31, v30, 21, 1
	v_add_co_u32_e64 v31, s[28:29], v30, v31
	v_add_co_u32_e64 v31, s[28:29], -1, v31
; %bb.4769:                             ;   in Loop: Header=BB6_4748 Depth=3
	s_or_b64 exec, exec, s[38:39]
	v_add_u32_e32 v32, 0xffffff81, v33
	v_mov_b32_e32 v33, 0xffffff82
	v_cndmask_b32_e32 v32, v32, v33, vcc
	v_lshrrev_b32_e32 v33, 23, v30
	v_add3_u32 v35, v35, v32, v33
	v_add_u32_e32 v33, 14, v35
	v_and_b32_e32 v31, 0x1fffff, v31
	v_add_u32_e32 v30, v31, v30
	v_mov_b32_e32 v31, v34
	v_cmp_ne_u32_e32 vcc, 0, v33
                                        ; implicit-def: $vgpr32
	s_and_saveexec_b64 s[28:29], vcc
	s_xor_b64 s[28:29], exec, s[28:29]
; %bb.4770:                             ;   in Loop: Header=BB6_4748 Depth=3
	v_cmp_lt_u64_e32 vcc, s[88:89], v[30:31]
	v_add_u32_e32 v32, 15, v35
	v_cndmask_b32_e32 v32, v33, v32, vcc
	v_cndmask_b32_e64 v33, 0, 1, vcc
	v_lshrrev_b64 v[30:31], v33, v[30:31]
; %bb.4771:                             ;   in Loop: Header=BB6_4748 Depth=3
	s_andn2_saveexec_b64 s[28:29], s[28:29]
; %bb.4772:                             ;   in Loop: Header=BB6_4748 Depth=3
	v_bfe_u32 v32, v30, 23, 1
; %bb.4773:                             ;   in Loop: Header=BB6_4748 Depth=3
	s_or_b64 exec, exec, s[28:29]
	v_lshrrev_b64 v[30:31], 21, v[30:31]
	v_cmp_gt_i32_e32 vcc, 32, v32
	v_cndmask_b32_e32 v31, 0, v31, vcc
	v_cndmask_b32_e32 v30, 3, v30, vcc
	v_cmp_eq_u64_e64 s[28:29], 0, v[30:31]
	v_min_i32_e32 v31, 31, v32
	v_lshlrev_b32_e32 v31, 2, v31
	v_cmp_eq_u32_e32 vcc, 0, v32
	v_and_b32_e32 v31, 0xfc, v31
	v_and_or_b32 v30, v30, 3, v31
	s_and_b64 s[28:29], vcc, s[28:29]
	v_cndmask_b32_e64 v30, v30, 0, s[28:29]
	v_or_b32_e32 v56, v30, v0
.LBB6_4774:                             ;   in Loop: Header=BB6_4748 Depth=3
	s_or_b64 exec, exec, s[36:37]
                                        ; implicit-def: $vgpr0
.LBB6_4775:                             ;   in Loop: Header=BB6_4748 Depth=3
	s_andn2_saveexec_b64 s[28:29], s[34:35]
; %bb.4776:                             ;   in Loop: Header=BB6_4748 Depth=3
	v_or_b32_e32 v56, 0x7b, v0
; %bb.4777:                             ;   in Loop: Header=BB6_4748 Depth=3
	s_or_b64 exec, exec, s[28:29]
                                        ; implicit-def: $vgpr32
                                        ; implicit-def: $vgpr30_vgpr31
.LBB6_4778:                             ;   in Loop: Header=BB6_4748 Depth=3
	s_andn2_saveexec_b64 s[28:29], s[30:31]
	s_cbranch_execz .LBB6_4784
; %bb.4779:                             ;   in Loop: Header=BB6_4748 Depth=3
	v_cmp_ne_u64_e32 vcc, 0, v[30:31]
                                        ; implicit-def: $vgpr56
	s_and_saveexec_b64 s[30:31], vcc
	s_xor_b64 vcc, exec, s[30:31]
; %bb.4780:                             ;   in Loop: Header=BB6_4748 Depth=3
	v_or_b32_sdwa v56, v32, s83 dst_sel:DWORD dst_unused:UNUSED_PAD src0_sel:BYTE_3 src1_sel:DWORD
                                        ; implicit-def: $vgpr32
; %bb.4781:                             ;   in Loop: Header=BB6_4748 Depth=3
	s_andn2_saveexec_b64 s[30:31], vcc
; %bb.4782:                             ;   in Loop: Header=BB6_4748 Depth=3
	v_cmp_lt_i32_e32 vcc, -1, v32
	v_bfrev_b32_e32 v0, 0.5
	v_mov_b32_e32 v30, 0x7c
	v_cndmask_b32_e32 v56, v0, v30, vcc
; %bb.4783:                             ;   in Loop: Header=BB6_4748 Depth=3
	s_or_b64 exec, exec, s[30:31]
.LBB6_4784:                             ;   in Loop: Header=BB6_4748 Depth=3
	s_or_b64 exec, exec, s[28:29]
	v_lshrrev_b16_e32 v30, 8, v48
	v_cmp_ne_u16_e32 vcc, 0, v30
	v_mov_b32_e32 v0, 0
	v_mov_b32_e32 v32, 0
	s_and_saveexec_b64 s[28:29], vcc
	s_cbranch_execz .LBB6_4792
; %bb.4785:                             ;   in Loop: Header=BB6_4748 Depth=3
	v_cmp_ne_u16_e32 vcc, s44, v30
	v_bfrev_b32_e32 v32, 1
	s_and_saveexec_b64 s[30:31], vcc
	s_cbranch_execz .LBB6_4791
; %bb.4786:                             ;   in Loop: Header=BB6_4748 Depth=3
	v_and_b32_e32 v31, 0x7c, v30
	v_and_b32_e32 v33, 3, v30
	v_cmp_ne_u32_e32 vcc, s81, v31
                                        ; implicit-def: $vgpr32
	s_and_saveexec_b64 s[34:35], vcc
	s_xor_b64 s[34:35], exec, s[34:35]
	s_cbranch_execz .LBB6_4788
; %bb.4787:                             ;   in Loop: Header=BB6_4748 Depth=3
	v_ffbh_u32_e32 v35, v33
	v_min_u32_e32 v35, 32, v35
	v_mov_b32_e32 v31, v34
	v_subrev_u32_e32 v52, 29, v35
	v_bfe_u32 v32, v30, 2, 5
	v_lshlrev_b64 v[30:31], v52, v[30:31]
	v_sub_u32_e32 v31, 30, v35
	v_cmp_eq_u32_e32 vcc, 0, v32
	v_cndmask_b32_e32 v31, v32, v31, vcc
	v_lshlrev_b32_e32 v32, 16, v48
	v_and_b32_e32 v30, 3, v30
	v_and_b32_e32 v32, 0x80000000, v32
	v_cndmask_b32_e32 v30, v33, v30, vcc
	v_lshl_add_u32 v31, v31, 23, v32
	v_lshl_or_b32 v30, v30, 21, v31
	v_add_u32_e32 v32, 0x38000000, v30
                                        ; implicit-def: $vgpr33
.LBB6_4788:                             ;   in Loop: Header=BB6_4748 Depth=3
	s_andn2_saveexec_b64 s[34:35], s[34:35]
; %bb.4789:                             ;   in Loop: Header=BB6_4748 Depth=3
	v_cmp_lt_i16_e32 vcc, -1, v48
	v_mov_b32_e32 v30, 0xff800000
	v_mov_b32_e32 v31, 0x7f800000
	v_cndmask_b32_e32 v30, v30, v31, vcc
	v_cmp_eq_u32_e32 vcc, 0, v33
	v_mov_b32_e32 v31, 0x7f800001
	v_cndmask_b32_e32 v32, v31, v30, vcc
; %bb.4790:                             ;   in Loop: Header=BB6_4748 Depth=3
	s_or_b64 exec, exec, s[34:35]
.LBB6_4791:                             ;   in Loop: Header=BB6_4748 Depth=3
	s_or_b64 exec, exec, s[30:31]
.LBB6_4792:                             ;   in Loop: Header=BB6_4748 Depth=3
	s_or_b64 exec, exec, s[28:29]
	v_lshrrev_b16_e32 v30, 8, v36
	v_cmp_ne_u16_e32 vcc, 0, v30
	s_and_saveexec_b64 s[28:29], vcc
	s_cbranch_execz .LBB6_4800
; %bb.4793:                             ;   in Loop: Header=BB6_4748 Depth=3
	v_cmp_ne_u16_e32 vcc, s44, v30
	v_bfrev_b32_e32 v0, 1
	s_and_saveexec_b64 s[30:31], vcc
	s_cbranch_execz .LBB6_4799
; %bb.4794:                             ;   in Loop: Header=BB6_4748 Depth=3
	v_and_b32_e32 v0, 0x7c, v30
	v_and_b32_e32 v33, 3, v30
	v_cmp_ne_u32_e32 vcc, s81, v0
                                        ; implicit-def: $vgpr0
	s_and_saveexec_b64 s[34:35], vcc
	s_xor_b64 s[34:35], exec, s[34:35]
	s_cbranch_execz .LBB6_4796
; %bb.4795:                             ;   in Loop: Header=BB6_4748 Depth=3
	v_ffbh_u32_e32 v35, v33
	v_min_u32_e32 v35, 32, v35
	v_mov_b32_e32 v31, v34
	v_subrev_u32_e32 v52, 29, v35
	v_bfe_u32 v0, v30, 2, 5
	v_lshlrev_b64 v[30:31], v52, v[30:31]
	v_sub_u32_e32 v31, 30, v35
	v_cmp_eq_u32_e32 vcc, 0, v0
	v_cndmask_b32_e32 v0, v0, v31, vcc
	v_lshlrev_b32_e32 v31, 16, v36
	v_and_b32_e32 v30, 3, v30
	v_and_b32_e32 v31, 0x80000000, v31
	v_cndmask_b32_e32 v30, v33, v30, vcc
	v_lshl_add_u32 v0, v0, 23, v31
	v_lshl_or_b32 v0, v30, 21, v0
	v_add_u32_e32 v0, 0x38000000, v0
                                        ; implicit-def: $vgpr33
.LBB6_4796:                             ;   in Loop: Header=BB6_4748 Depth=3
	s_andn2_saveexec_b64 s[34:35], s[34:35]
; %bb.4797:                             ;   in Loop: Header=BB6_4748 Depth=3
	v_cmp_lt_i16_e32 vcc, -1, v36
	v_mov_b32_e32 v0, 0xff800000
	v_mov_b32_e32 v30, 0x7f800000
	v_cndmask_b32_e32 v0, v0, v30, vcc
	v_cmp_eq_u32_e32 vcc, 0, v33
	v_mov_b32_e32 v30, 0x7f800001
	v_cndmask_b32_e32 v0, v30, v0, vcc
; %bb.4798:                             ;   in Loop: Header=BB6_4748 Depth=3
	s_or_b64 exec, exec, s[34:35]
.LBB6_4799:                             ;   in Loop: Header=BB6_4748 Depth=3
	s_or_b64 exec, exec, s[30:31]
.LBB6_4800:                             ;   in Loop: Header=BB6_4748 Depth=3
	s_or_b64 exec, exec, s[28:29]
	v_mul_f32_e32 v32, v32, v0
	v_and_b32_e32 v52, 0x7f800000, v32
	v_mov_b32_e32 v53, v34
	v_cmp_ne_u64_e32 vcc, s[76:77], v[52:53]
	v_and_b32_e32 v30, 0x7fffff, v32
	v_mov_b32_e32 v31, v34
                                        ; implicit-def: $vgpr57
	s_and_saveexec_b64 s[28:29], vcc
	s_xor_b64 s[30:31], exec, s[28:29]
	s_cbranch_execz .LBB6_4814
; %bb.4801:                             ;   in Loop: Header=BB6_4748 Depth=3
	v_and_b32_e32 v52, 0x7fffffff, v32
	v_mov_b32_e32 v53, v34
	v_cmp_gt_u64_e32 vcc, s[78:79], v[52:53]
	v_and_b32_sdwa v0, v32, s44 dst_sel:DWORD dst_unused:UNUSED_PAD src0_sel:BYTE_3 src1_sel:DWORD
                                        ; implicit-def: $vgpr57
	s_and_saveexec_b64 s[28:29], vcc
	s_xor_b64 s[34:35], exec, s[28:29]
	s_cbranch_execz .LBB6_4811
; %bb.4802:                             ;   in Loop: Header=BB6_4748 Depth=3
	v_mov_b32_e32 v57, 0
	v_cmp_ne_u32_e32 vcc, 0, v32
	s_and_saveexec_b64 s[36:37], vcc
	s_cbranch_execz .LBB6_4810
; %bb.4803:                             ;   in Loop: Header=BB6_4748 Depth=3
	v_bfe_u32 v33, v32, 23, 8
	v_cmp_gt_u32_e64 s[28:29], s45, v33
	v_sub_u32_e32 v32, 0x71, v33
	v_cmp_eq_u32_e32 vcc, 0, v33
	v_cndmask_b32_e64 v32, 0, v32, s[28:29]
	v_mov_b32_e32 v35, 0x70
	v_cndmask_b32_e32 v35, v32, v35, vcc
	v_or_b32_e32 v52, 0x800000, v30
	v_add_u32_e32 v32, 21, v35
	v_cndmask_b32_e32 v30, v52, v30, vcc
	v_lshlrev_b64 v[52:53], v32, -1
	v_add_u32_e32 v32, 20, v35
	v_bfi_b32 v52, v52, 0, v30
	v_lshlrev_b64 v[54:55], v32, 1
	v_lshrrev_b64 v[30:31], v35, v[30:31]
	v_bfi_b32 v53, v53, 0, 0
	v_cmp_eq_u64_e64 s[28:29], v[52:53], v[54:55]
	v_mov_b32_e32 v32, v31
	v_mov_b32_e32 v31, v30
	s_and_saveexec_b64 s[38:39], s[28:29]
; %bb.4804:                             ;   in Loop: Header=BB6_4748 Depth=3
	v_bfe_u32 v31, v30, 21, 1
	v_add_co_u32_e64 v31, s[28:29], v30, v31
	v_add_co_u32_e64 v31, s[28:29], -1, v31
; %bb.4805:                             ;   in Loop: Header=BB6_4748 Depth=3
	s_or_b64 exec, exec, s[38:39]
	v_add_u32_e32 v32, 0xffffff81, v33
	v_mov_b32_e32 v33, 0xffffff82
	v_cndmask_b32_e32 v32, v32, v33, vcc
	v_lshrrev_b32_e32 v33, 23, v30
	v_add3_u32 v35, v35, v32, v33
	v_add_u32_e32 v33, 14, v35
	v_and_b32_e32 v31, 0x1fffff, v31
	v_add_u32_e32 v30, v31, v30
	v_mov_b32_e32 v31, v34
	v_cmp_ne_u32_e32 vcc, 0, v33
                                        ; implicit-def: $vgpr32
	s_and_saveexec_b64 s[28:29], vcc
	s_xor_b64 s[28:29], exec, s[28:29]
; %bb.4806:                             ;   in Loop: Header=BB6_4748 Depth=3
	v_cmp_lt_u64_e32 vcc, s[88:89], v[30:31]
	v_add_u32_e32 v32, 15, v35
	v_cndmask_b32_e32 v32, v33, v32, vcc
	v_cndmask_b32_e64 v33, 0, 1, vcc
	v_lshrrev_b64 v[30:31], v33, v[30:31]
; %bb.4807:                             ;   in Loop: Header=BB6_4748 Depth=3
	s_andn2_saveexec_b64 s[28:29], s[28:29]
; %bb.4808:                             ;   in Loop: Header=BB6_4748 Depth=3
	v_bfe_u32 v32, v30, 23, 1
; %bb.4809:                             ;   in Loop: Header=BB6_4748 Depth=3
	s_or_b64 exec, exec, s[28:29]
	v_lshrrev_b64 v[30:31], 21, v[30:31]
	v_cmp_gt_i32_e32 vcc, 32, v32
	v_cndmask_b32_e32 v31, 0, v31, vcc
	v_cndmask_b32_e32 v30, 3, v30, vcc
	v_cmp_eq_u64_e64 s[28:29], 0, v[30:31]
	v_min_i32_e32 v31, 31, v32
	v_lshlrev_b32_e32 v31, 2, v31
	v_cmp_eq_u32_e32 vcc, 0, v32
	v_and_b32_e32 v31, 0xfc, v31
	v_and_or_b32 v30, v30, 3, v31
	s_and_b64 s[28:29], vcc, s[28:29]
	v_cndmask_b32_e64 v30, v30, 0, s[28:29]
	v_or_b32_e32 v57, v30, v0
.LBB6_4810:                             ;   in Loop: Header=BB6_4748 Depth=3
	s_or_b64 exec, exec, s[36:37]
                                        ; implicit-def: $vgpr0
.LBB6_4811:                             ;   in Loop: Header=BB6_4748 Depth=3
	s_andn2_saveexec_b64 s[28:29], s[34:35]
; %bb.4812:                             ;   in Loop: Header=BB6_4748 Depth=3
	v_or_b32_e32 v57, 0x7b, v0
; %bb.4813:                             ;   in Loop: Header=BB6_4748 Depth=3
	s_or_b64 exec, exec, s[28:29]
                                        ; implicit-def: $vgpr32
                                        ; implicit-def: $vgpr30_vgpr31
.LBB6_4814:                             ;   in Loop: Header=BB6_4748 Depth=3
	s_andn2_saveexec_b64 s[28:29], s[30:31]
	s_cbranch_execz .LBB6_4820
; %bb.4815:                             ;   in Loop: Header=BB6_4748 Depth=3
	v_cmp_ne_u64_e32 vcc, 0, v[30:31]
                                        ; implicit-def: $vgpr57
	s_and_saveexec_b64 s[30:31], vcc
	s_xor_b64 vcc, exec, s[30:31]
; %bb.4816:                             ;   in Loop: Header=BB6_4748 Depth=3
	v_or_b32_sdwa v57, v32, s83 dst_sel:DWORD dst_unused:UNUSED_PAD src0_sel:BYTE_3 src1_sel:DWORD
                                        ; implicit-def: $vgpr32
; %bb.4817:                             ;   in Loop: Header=BB6_4748 Depth=3
	s_andn2_saveexec_b64 s[30:31], vcc
; %bb.4818:                             ;   in Loop: Header=BB6_4748 Depth=3
	v_cmp_lt_i32_e32 vcc, -1, v32
	v_bfrev_b32_e32 v0, 0.5
	v_mov_b32_e32 v30, 0x7c
	v_cndmask_b32_e32 v57, v0, v30, vcc
; %bb.4819:                             ;   in Loop: Header=BB6_4748 Depth=3
	s_or_b64 exec, exec, s[30:31]
.LBB6_4820:                             ;   in Loop: Header=BB6_4748 Depth=3
	s_or_b64 exec, exec, s[28:29]
	v_lshrrev_b32_e32 v0, 16, v48
	v_cmp_ne_u16_sdwa vcc, v0, v34 src0_sel:BYTE_0 src1_sel:DWORD
	v_mov_b32_e32 v30, 0
	v_mov_b32_e32 v31, 0
	s_and_saveexec_b64 s[28:29], vcc
	s_cbranch_execz .LBB6_4828
; %bb.4821:                             ;   in Loop: Header=BB6_4748 Depth=3
	v_cmp_ne_u16_sdwa vcc, v0, s44 src0_sel:BYTE_0 src1_sel:DWORD
	v_bfrev_b32_e32 v31, 1
	s_and_saveexec_b64 s[30:31], vcc
	s_cbranch_execz .LBB6_4827
; %bb.4822:                             ;   in Loop: Header=BB6_4748 Depth=3
	v_and_b32_e32 v31, 0x7c0000, v48
	v_bfe_u32 v32, v48, 16, 2
	v_cmp_ne_u32_e32 vcc, s9, v31
                                        ; implicit-def: $vgpr31
	s_and_saveexec_b64 s[34:35], vcc
	s_xor_b64 s[34:35], exec, s[34:35]
	s_cbranch_execz .LBB6_4824
; %bb.4823:                             ;   in Loop: Header=BB6_4748 Depth=3
	v_ffbh_u32_e32 v33, v32
	v_min_u32_e32 v33, 32, v33
	v_subrev_u32_e32 v35, 29, v33
	v_lshlrev_b64 v[52:53], v35, v[0:1]
	v_bfe_u32 v31, v48, 18, 5
	v_sub_u32_e32 v0, 30, v33
	v_and_b32_e32 v33, 3, v52
	v_cmp_eq_u32_e32 vcc, 0, v31
	v_cndmask_b32_e32 v0, v31, v0, vcc
	v_cndmask_b32_e32 v31, v32, v33, vcc
	v_lshlrev_b32_e32 v32, 8, v48
	v_and_b32_e32 v32, 0x80000000, v32
	v_lshl_add_u32 v0, v0, 23, v32
	v_lshl_or_b32 v0, v31, 21, v0
	v_add_u32_e32 v31, 0x38000000, v0
                                        ; implicit-def: $vgpr32
                                        ; implicit-def: $vgpr0
.LBB6_4824:                             ;   in Loop: Header=BB6_4748 Depth=3
	s_andn2_saveexec_b64 s[34:35], s[34:35]
; %bb.4825:                             ;   in Loop: Header=BB6_4748 Depth=3
	v_mov_b32_e32 v31, -1
	v_cmp_gt_i16_sdwa vcc, sext(v0), v31 src0_sel:BYTE_0 src1_sel:DWORD
	v_mov_b32_e32 v0, 0xff800000
	v_mov_b32_e32 v31, 0x7f800000
	v_cndmask_b32_e32 v0, v0, v31, vcc
	v_cmp_eq_u32_e32 vcc, 0, v32
	v_mov_b32_e32 v31, 0x7f800001
	v_cndmask_b32_e32 v31, v31, v0, vcc
; %bb.4826:                             ;   in Loop: Header=BB6_4748 Depth=3
	s_or_b64 exec, exec, s[34:35]
.LBB6_4827:                             ;   in Loop: Header=BB6_4748 Depth=3
	s_or_b64 exec, exec, s[30:31]
.LBB6_4828:                             ;   in Loop: Header=BB6_4748 Depth=3
	s_or_b64 exec, exec, s[28:29]
	v_lshrrev_b32_e32 v0, 16, v36
	v_cmp_ne_u16_sdwa vcc, v0, v34 src0_sel:BYTE_0 src1_sel:DWORD
	s_and_saveexec_b64 s[28:29], vcc
	s_cbranch_execz .LBB6_4836
; %bb.4829:                             ;   in Loop: Header=BB6_4748 Depth=3
	v_cmp_ne_u16_sdwa vcc, v0, s44 src0_sel:BYTE_0 src1_sel:DWORD
	v_bfrev_b32_e32 v30, 1
	s_and_saveexec_b64 s[30:31], vcc
	s_cbranch_execz .LBB6_4835
; %bb.4830:                             ;   in Loop: Header=BB6_4748 Depth=3
	v_and_b32_e32 v30, 0x7c0000, v36
	v_bfe_u32 v32, v36, 16, 2
	v_cmp_ne_u32_e32 vcc, s9, v30
                                        ; implicit-def: $vgpr30
	s_and_saveexec_b64 s[34:35], vcc
	s_xor_b64 s[34:35], exec, s[34:35]
	s_cbranch_execz .LBB6_4832
; %bb.4831:                             ;   in Loop: Header=BB6_4748 Depth=3
	v_ffbh_u32_e32 v33, v32
	v_min_u32_e32 v33, 32, v33
	v_subrev_u32_e32 v35, 29, v33
	v_lshlrev_b64 v[52:53], v35, v[0:1]
	v_bfe_u32 v30, v36, 18, 5
	v_sub_u32_e32 v0, 30, v33
	v_and_b32_e32 v33, 3, v52
	v_cmp_eq_u32_e32 vcc, 0, v30
	v_cndmask_b32_e32 v0, v30, v0, vcc
	v_cndmask_b32_e32 v30, v32, v33, vcc
	v_lshlrev_b32_e32 v32, 8, v36
	v_and_b32_e32 v32, 0x80000000, v32
	v_lshl_add_u32 v0, v0, 23, v32
	v_lshl_or_b32 v0, v30, 21, v0
	v_add_u32_e32 v30, 0x38000000, v0
                                        ; implicit-def: $vgpr32
                                        ; implicit-def: $vgpr0
.LBB6_4832:                             ;   in Loop: Header=BB6_4748 Depth=3
	s_andn2_saveexec_b64 s[34:35], s[34:35]
; %bb.4833:                             ;   in Loop: Header=BB6_4748 Depth=3
	v_mov_b32_e32 v30, -1
	v_cmp_gt_i16_sdwa vcc, sext(v0), v30 src0_sel:BYTE_0 src1_sel:DWORD
	v_mov_b32_e32 v0, 0xff800000
	v_mov_b32_e32 v30, 0x7f800000
	v_cndmask_b32_e32 v0, v0, v30, vcc
	v_cmp_eq_u32_e32 vcc, 0, v32
	v_mov_b32_e32 v30, 0x7f800001
	v_cndmask_b32_e32 v30, v30, v0, vcc
; %bb.4834:                             ;   in Loop: Header=BB6_4748 Depth=3
	s_or_b64 exec, exec, s[34:35]
.LBB6_4835:                             ;   in Loop: Header=BB6_4748 Depth=3
	s_or_b64 exec, exec, s[30:31]
.LBB6_4836:                             ;   in Loop: Header=BB6_4748 Depth=3
	s_or_b64 exec, exec, s[28:29]
	v_mul_f32_e32 v32, v31, v30
	v_and_b32_e32 v52, 0x7f800000, v32
	v_mov_b32_e32 v53, v34
	v_cmp_ne_u64_e32 vcc, s[76:77], v[52:53]
	v_and_b32_e32 v30, 0x7fffff, v32
	v_mov_b32_e32 v31, v34
                                        ; implicit-def: $vgpr0
                                        ; kill: killed $vgpr0
	s_and_saveexec_b64 s[28:29], vcc
	s_xor_b64 s[30:31], exec, s[28:29]
	s_cbranch_execz .LBB6_4850
; %bb.4837:                             ;   in Loop: Header=BB6_4748 Depth=3
	v_and_b32_e32 v52, 0x7fffffff, v32
	v_mov_b32_e32 v53, v34
	v_cmp_gt_u64_e32 vcc, s[78:79], v[52:53]
	v_and_b32_sdwa v0, v32, s44 dst_sel:DWORD dst_unused:UNUSED_PAD src0_sel:BYTE_3 src1_sel:DWORD
                                        ; implicit-def: $vgpr33
                                        ; kill: killed $vgpr33
	s_and_saveexec_b64 s[28:29], vcc
	s_xor_b64 s[34:35], exec, s[28:29]
	s_cbranch_execz .LBB6_4847
; %bb.4838:                             ;   in Loop: Header=BB6_4748 Depth=3
	v_mov_b32_e32 v33, 0
	v_cmp_ne_u32_e32 vcc, 0, v32
	buffer_store_dword v33, off, s[0:3], s33 offset:92 ; 4-byte Folded Spill
	s_and_saveexec_b64 s[36:37], vcc
	s_cbranch_execz .LBB6_4846
; %bb.4839:                             ;   in Loop: Header=BB6_4748 Depth=3
	v_bfe_u32 v33, v32, 23, 8
	v_cmp_gt_u32_e64 s[28:29], s45, v33
	v_sub_u32_e32 v32, 0x71, v33
	v_cmp_eq_u32_e32 vcc, 0, v33
	v_cndmask_b32_e64 v32, 0, v32, s[28:29]
	v_mov_b32_e32 v35, 0x70
	v_cndmask_b32_e32 v35, v32, v35, vcc
	v_or_b32_e32 v52, 0x800000, v30
	v_add_u32_e32 v32, 21, v35
	v_cndmask_b32_e32 v30, v52, v30, vcc
	v_lshlrev_b64 v[52:53], v32, -1
	v_add_u32_e32 v32, 20, v35
	v_bfi_b32 v52, v52, 0, v30
	v_lshlrev_b64 v[54:55], v32, 1
	v_lshrrev_b64 v[30:31], v35, v[30:31]
	v_bfi_b32 v53, v53, 0, 0
	v_cmp_eq_u64_e64 s[28:29], v[52:53], v[54:55]
	v_mov_b32_e32 v32, v31
	v_mov_b32_e32 v31, v30
	s_and_saveexec_b64 s[38:39], s[28:29]
; %bb.4840:                             ;   in Loop: Header=BB6_4748 Depth=3
	v_bfe_u32 v31, v30, 21, 1
	v_add_co_u32_e64 v31, s[28:29], v30, v31
	v_add_co_u32_e64 v31, s[28:29], -1, v31
; %bb.4841:                             ;   in Loop: Header=BB6_4748 Depth=3
	s_or_b64 exec, exec, s[38:39]
	v_add_u32_e32 v32, 0xffffff81, v33
	v_mov_b32_e32 v33, 0xffffff82
	v_cndmask_b32_e32 v32, v32, v33, vcc
	v_lshrrev_b32_e32 v33, 23, v30
	v_add3_u32 v35, v35, v32, v33
	v_add_u32_e32 v33, 14, v35
	v_and_b32_e32 v31, 0x1fffff, v31
	v_add_u32_e32 v30, v31, v30
	v_mov_b32_e32 v31, v34
	v_cmp_ne_u32_e32 vcc, 0, v33
                                        ; implicit-def: $vgpr32
	s_and_saveexec_b64 s[28:29], vcc
	s_xor_b64 s[28:29], exec, s[28:29]
; %bb.4842:                             ;   in Loop: Header=BB6_4748 Depth=3
	v_cmp_lt_u64_e32 vcc, s[88:89], v[30:31]
	v_add_u32_e32 v32, 15, v35
	v_cndmask_b32_e32 v32, v33, v32, vcc
	v_cndmask_b32_e64 v33, 0, 1, vcc
	v_lshrrev_b64 v[30:31], v33, v[30:31]
; %bb.4843:                             ;   in Loop: Header=BB6_4748 Depth=3
	s_andn2_saveexec_b64 s[28:29], s[28:29]
; %bb.4844:                             ;   in Loop: Header=BB6_4748 Depth=3
	v_bfe_u32 v32, v30, 23, 1
; %bb.4845:                             ;   in Loop: Header=BB6_4748 Depth=3
	s_or_b64 exec, exec, s[28:29]
	v_lshrrev_b64 v[30:31], 21, v[30:31]
	v_cmp_gt_i32_e32 vcc, 32, v32
	v_cndmask_b32_e32 v31, 0, v31, vcc
	v_cndmask_b32_e32 v30, 3, v30, vcc
	v_cmp_eq_u64_e64 s[28:29], 0, v[30:31]
	v_min_i32_e32 v31, 31, v32
	v_lshlrev_b32_e32 v31, 2, v31
	v_cmp_eq_u32_e32 vcc, 0, v32
	v_and_b32_e32 v31, 0xfc, v31
	v_and_or_b32 v30, v30, 3, v31
	s_and_b64 s[28:29], vcc, s[28:29]
	v_cndmask_b32_e64 v30, v30, 0, s[28:29]
	v_or_b32_e32 v0, v30, v0
	buffer_store_dword v0, off, s[0:3], s33 offset:92 ; 4-byte Folded Spill
.LBB6_4846:                             ;   in Loop: Header=BB6_4748 Depth=3
	s_or_b64 exec, exec, s[36:37]
                                        ; implicit-def: $vgpr0
.LBB6_4847:                             ;   in Loop: Header=BB6_4748 Depth=3
	s_andn2_saveexec_b64 s[28:29], s[34:35]
	s_cbranch_execz .LBB6_4849
; %bb.4848:                             ;   in Loop: Header=BB6_4748 Depth=3
	v_or_b32_e32 v0, 0x7b, v0
	buffer_store_dword v0, off, s[0:3], s33 offset:92 ; 4-byte Folded Spill
.LBB6_4849:                             ;   in Loop: Header=BB6_4748 Depth=3
	s_or_b64 exec, exec, s[28:29]
                                        ; implicit-def: $vgpr32
                                        ; implicit-def: $vgpr30_vgpr31
.LBB6_4850:                             ;   in Loop: Header=BB6_4748 Depth=3
	s_andn2_saveexec_b64 s[28:29], s[30:31]
	s_cbranch_execz .LBB6_4856
; %bb.4851:                             ;   in Loop: Header=BB6_4748 Depth=3
	v_cmp_ne_u64_e32 vcc, 0, v[30:31]
                                        ; implicit-def: $vgpr0
                                        ; kill: killed $vgpr0
	s_and_saveexec_b64 s[30:31], vcc
	s_xor_b64 vcc, exec, s[30:31]
	s_cbranch_execz .LBB6_4853
; %bb.4852:                             ;   in Loop: Header=BB6_4748 Depth=3
	v_or_b32_sdwa v0, v32, s83 dst_sel:DWORD dst_unused:UNUSED_PAD src0_sel:BYTE_3 src1_sel:DWORD
	buffer_store_dword v0, off, s[0:3], s33 offset:92 ; 4-byte Folded Spill
                                        ; implicit-def: $vgpr32
.LBB6_4853:                             ;   in Loop: Header=BB6_4748 Depth=3
	s_andn2_saveexec_b64 s[30:31], vcc
	s_cbranch_execz .LBB6_4855
; %bb.4854:                             ;   in Loop: Header=BB6_4748 Depth=3
	v_cmp_lt_i32_e32 vcc, -1, v32
	v_bfrev_b32_e32 v0, 0.5
	v_mov_b32_e32 v30, 0x7c
	v_cndmask_b32_e32 v0, v0, v30, vcc
	buffer_store_dword v0, off, s[0:3], s33 offset:92 ; 4-byte Folded Spill
.LBB6_4855:                             ;   in Loop: Header=BB6_4748 Depth=3
	s_or_b64 exec, exec, s[30:31]
.LBB6_4856:                             ;   in Loop: Header=BB6_4748 Depth=3
	s_or_b64 exec, exec, s[28:29]
	v_cmp_lt_u32_e32 vcc, s57, v48
	v_mov_b32_e32 v30, 0
	v_mov_b32_e32 v31, 0
	s_and_saveexec_b64 s[28:29], vcc
	s_cbranch_execz .LBB6_4864
; %bb.4857:                             ;   in Loop: Header=BB6_4748 Depth=3
	v_lshrrev_b32_e32 v0, 24, v48
	v_cmp_ne_u32_e32 vcc, s44, v0
	v_bfrev_b32_e32 v31, 1
	s_and_saveexec_b64 s[30:31], vcc
	s_cbranch_execz .LBB6_4863
; %bb.4858:                             ;   in Loop: Header=BB6_4748 Depth=3
	v_and_b32_e32 v31, 0x7c000000, v48
	v_bfe_u32 v32, v48, 24, 2
	v_cmp_ne_u32_e32 vcc, s8, v31
                                        ; implicit-def: $vgpr31
	s_and_saveexec_b64 s[34:35], vcc
	s_xor_b64 s[34:35], exec, s[34:35]
	s_cbranch_execz .LBB6_4860
; %bb.4859:                             ;   in Loop: Header=BB6_4748 Depth=3
	v_ffbh_u32_e32 v33, v32
	v_min_u32_e32 v33, 32, v33
	v_subrev_u32_e32 v35, 29, v33
	v_lshlrev_b64 v[52:53], v35, v[0:1]
	v_bfe_u32 v31, v48, 26, 5
	v_sub_u32_e32 v0, 30, v33
	v_and_b32_e32 v33, 3, v52
	v_cmp_eq_u32_e32 vcc, 0, v31
	v_cndmask_b32_e32 v0, v31, v0, vcc
	v_cndmask_b32_e32 v31, v32, v33, vcc
	v_and_b32_e32 v32, 0x80000000, v48
	v_lshl_add_u32 v0, v0, 23, v32
	v_lshl_or_b32 v0, v31, 21, v0
	v_add_u32_e32 v31, 0x38000000, v0
                                        ; implicit-def: $vgpr32
.LBB6_4860:                             ;   in Loop: Header=BB6_4748 Depth=3
	s_andn2_saveexec_b64 s[34:35], s[34:35]
; %bb.4861:                             ;   in Loop: Header=BB6_4748 Depth=3
	v_cmp_lt_i32_e32 vcc, -1, v48
	v_mov_b32_e32 v0, 0xff800000
	v_mov_b32_e32 v31, 0x7f800000
	v_cndmask_b32_e32 v0, v0, v31, vcc
	v_cmp_eq_u32_e32 vcc, 0, v32
	v_mov_b32_e32 v31, 0x7f800001
	v_cndmask_b32_e32 v31, v31, v0, vcc
; %bb.4862:                             ;   in Loop: Header=BB6_4748 Depth=3
	s_or_b64 exec, exec, s[34:35]
.LBB6_4863:                             ;   in Loop: Header=BB6_4748 Depth=3
	s_or_b64 exec, exec, s[30:31]
.LBB6_4864:                             ;   in Loop: Header=BB6_4748 Depth=3
	s_or_b64 exec, exec, s[28:29]
	v_cmp_lt_u32_e32 vcc, s57, v36
	s_and_saveexec_b64 s[28:29], vcc
	s_cbranch_execz .LBB6_4872
; %bb.4865:                             ;   in Loop: Header=BB6_4748 Depth=3
	v_lshrrev_b32_e32 v0, 24, v36
	v_cmp_ne_u32_e32 vcc, s44, v0
	v_bfrev_b32_e32 v30, 1
	s_and_saveexec_b64 s[30:31], vcc
	s_cbranch_execz .LBB6_4871
; %bb.4866:                             ;   in Loop: Header=BB6_4748 Depth=3
	v_and_b32_e32 v30, 0x7c000000, v36
	v_bfe_u32 v32, v36, 24, 2
	v_cmp_ne_u32_e32 vcc, s8, v30
                                        ; implicit-def: $vgpr30
	s_and_saveexec_b64 s[34:35], vcc
	s_xor_b64 s[34:35], exec, s[34:35]
	s_cbranch_execz .LBB6_4868
; %bb.4867:                             ;   in Loop: Header=BB6_4748 Depth=3
	v_ffbh_u32_e32 v33, v32
	v_min_u32_e32 v33, 32, v33
	v_subrev_u32_e32 v35, 29, v33
	v_lshlrev_b64 v[52:53], v35, v[0:1]
	v_bfe_u32 v30, v36, 26, 5
	v_sub_u32_e32 v0, 30, v33
	v_and_b32_e32 v33, 3, v52
	v_cmp_eq_u32_e32 vcc, 0, v30
	v_cndmask_b32_e32 v0, v30, v0, vcc
	v_cndmask_b32_e32 v30, v32, v33, vcc
	v_and_b32_e32 v32, 0x80000000, v36
	v_lshl_add_u32 v0, v0, 23, v32
	v_lshl_or_b32 v0, v30, 21, v0
	v_add_u32_e32 v30, 0x38000000, v0
                                        ; implicit-def: $vgpr32
.LBB6_4868:                             ;   in Loop: Header=BB6_4748 Depth=3
	s_andn2_saveexec_b64 s[34:35], s[34:35]
; %bb.4869:                             ;   in Loop: Header=BB6_4748 Depth=3
	v_cmp_lt_i32_e32 vcc, -1, v36
	v_mov_b32_e32 v0, 0xff800000
	v_mov_b32_e32 v30, 0x7f800000
	v_cndmask_b32_e32 v0, v0, v30, vcc
	v_cmp_eq_u32_e32 vcc, 0, v32
	v_mov_b32_e32 v30, 0x7f800001
	v_cndmask_b32_e32 v30, v30, v0, vcc
; %bb.4870:                             ;   in Loop: Header=BB6_4748 Depth=3
	s_or_b64 exec, exec, s[34:35]
.LBB6_4871:                             ;   in Loop: Header=BB6_4748 Depth=3
	s_or_b64 exec, exec, s[30:31]
.LBB6_4872:                             ;   in Loop: Header=BB6_4748 Depth=3
	s_or_b64 exec, exec, s[28:29]
	v_mul_f32_e32 v32, v31, v30
	v_and_b32_e32 v52, 0x7f800000, v32
	v_mov_b32_e32 v53, v34
	v_cmp_ne_u64_e32 vcc, s[76:77], v[52:53]
	v_and_b32_e32 v30, 0x7fffff, v32
	v_mov_b32_e32 v31, v34
                                        ; implicit-def: $vgpr0
                                        ; kill: killed $vgpr0
	s_and_saveexec_b64 s[28:29], vcc
	s_xor_b64 s[30:31], exec, s[28:29]
	s_cbranch_execz .LBB6_4886
; %bb.4873:                             ;   in Loop: Header=BB6_4748 Depth=3
	v_and_b32_e32 v52, 0x7fffffff, v32
	v_mov_b32_e32 v53, v34
	v_cmp_gt_u64_e32 vcc, s[78:79], v[52:53]
	v_and_b32_sdwa v0, v32, s44 dst_sel:DWORD dst_unused:UNUSED_PAD src0_sel:BYTE_3 src1_sel:DWORD
                                        ; implicit-def: $vgpr33
                                        ; kill: killed $vgpr33
	s_and_saveexec_b64 s[28:29], vcc
	s_xor_b64 s[34:35], exec, s[28:29]
	s_cbranch_execz .LBB6_4883
; %bb.4874:                             ;   in Loop: Header=BB6_4748 Depth=3
	v_mov_b32_e32 v33, 0
	v_cmp_ne_u32_e32 vcc, 0, v32
	buffer_store_dword v33, off, s[0:3], s33 offset:104 ; 4-byte Folded Spill
	s_and_saveexec_b64 s[36:37], vcc
	s_cbranch_execz .LBB6_4882
; %bb.4875:                             ;   in Loop: Header=BB6_4748 Depth=3
	v_bfe_u32 v33, v32, 23, 8
	v_cmp_gt_u32_e64 s[28:29], s45, v33
	v_sub_u32_e32 v32, 0x71, v33
	v_cmp_eq_u32_e32 vcc, 0, v33
	v_cndmask_b32_e64 v32, 0, v32, s[28:29]
	v_mov_b32_e32 v35, 0x70
	v_cndmask_b32_e32 v35, v32, v35, vcc
	v_or_b32_e32 v52, 0x800000, v30
	v_add_u32_e32 v32, 21, v35
	v_cndmask_b32_e32 v30, v52, v30, vcc
	v_lshlrev_b64 v[52:53], v32, -1
	v_add_u32_e32 v32, 20, v35
	v_bfi_b32 v52, v52, 0, v30
	v_lshlrev_b64 v[54:55], v32, 1
	v_lshrrev_b64 v[30:31], v35, v[30:31]
	v_bfi_b32 v53, v53, 0, 0
	v_cmp_eq_u64_e64 s[28:29], v[52:53], v[54:55]
	v_mov_b32_e32 v32, v31
	v_mov_b32_e32 v31, v30
	s_and_saveexec_b64 s[38:39], s[28:29]
; %bb.4876:                             ;   in Loop: Header=BB6_4748 Depth=3
	v_bfe_u32 v31, v30, 21, 1
	v_add_co_u32_e64 v31, s[28:29], v30, v31
	v_add_co_u32_e64 v31, s[28:29], -1, v31
; %bb.4877:                             ;   in Loop: Header=BB6_4748 Depth=3
	s_or_b64 exec, exec, s[38:39]
	v_add_u32_e32 v32, 0xffffff81, v33
	v_mov_b32_e32 v33, 0xffffff82
	v_cndmask_b32_e32 v32, v32, v33, vcc
	v_lshrrev_b32_e32 v33, 23, v30
	v_add3_u32 v35, v35, v32, v33
	v_add_u32_e32 v33, 14, v35
	v_and_b32_e32 v31, 0x1fffff, v31
	v_add_u32_e32 v30, v31, v30
	v_mov_b32_e32 v31, v34
	v_cmp_ne_u32_e32 vcc, 0, v33
                                        ; implicit-def: $vgpr32
	s_and_saveexec_b64 s[28:29], vcc
	s_xor_b64 s[28:29], exec, s[28:29]
; %bb.4878:                             ;   in Loop: Header=BB6_4748 Depth=3
	v_cmp_lt_u64_e32 vcc, s[88:89], v[30:31]
	v_add_u32_e32 v32, 15, v35
	v_cndmask_b32_e32 v32, v33, v32, vcc
	v_cndmask_b32_e64 v33, 0, 1, vcc
	v_lshrrev_b64 v[30:31], v33, v[30:31]
; %bb.4879:                             ;   in Loop: Header=BB6_4748 Depth=3
	s_andn2_saveexec_b64 s[28:29], s[28:29]
; %bb.4880:                             ;   in Loop: Header=BB6_4748 Depth=3
	v_bfe_u32 v32, v30, 23, 1
; %bb.4881:                             ;   in Loop: Header=BB6_4748 Depth=3
	s_or_b64 exec, exec, s[28:29]
	v_lshrrev_b64 v[30:31], 21, v[30:31]
	v_cmp_gt_i32_e32 vcc, 32, v32
	v_cndmask_b32_e32 v31, 0, v31, vcc
	v_cndmask_b32_e32 v30, 3, v30, vcc
	v_cmp_eq_u64_e64 s[28:29], 0, v[30:31]
	v_min_i32_e32 v31, 31, v32
	v_lshlrev_b32_e32 v31, 2, v31
	v_cmp_eq_u32_e32 vcc, 0, v32
	v_and_b32_e32 v31, 0xfc, v31
	v_and_or_b32 v30, v30, 3, v31
	s_and_b64 s[28:29], vcc, s[28:29]
	v_cndmask_b32_e64 v30, v30, 0, s[28:29]
	v_or_b32_e32 v0, v30, v0
	buffer_store_dword v0, off, s[0:3], s33 offset:104 ; 4-byte Folded Spill
.LBB6_4882:                             ;   in Loop: Header=BB6_4748 Depth=3
	s_or_b64 exec, exec, s[36:37]
                                        ; implicit-def: $vgpr0
.LBB6_4883:                             ;   in Loop: Header=BB6_4748 Depth=3
	s_andn2_saveexec_b64 s[28:29], s[34:35]
	s_cbranch_execz .LBB6_4885
; %bb.4884:                             ;   in Loop: Header=BB6_4748 Depth=3
	v_or_b32_e32 v0, 0x7b, v0
	buffer_store_dword v0, off, s[0:3], s33 offset:104 ; 4-byte Folded Spill
.LBB6_4885:                             ;   in Loop: Header=BB6_4748 Depth=3
	s_or_b64 exec, exec, s[28:29]
                                        ; implicit-def: $vgpr32
                                        ; implicit-def: $vgpr30_vgpr31
.LBB6_4886:                             ;   in Loop: Header=BB6_4748 Depth=3
	s_andn2_saveexec_b64 s[28:29], s[30:31]
	s_cbranch_execz .LBB6_4892
; %bb.4887:                             ;   in Loop: Header=BB6_4748 Depth=3
	v_cmp_ne_u64_e32 vcc, 0, v[30:31]
                                        ; implicit-def: $vgpr0
                                        ; kill: killed $vgpr0
	s_and_saveexec_b64 s[30:31], vcc
	s_xor_b64 vcc, exec, s[30:31]
	s_cbranch_execz .LBB6_4889
; %bb.4888:                             ;   in Loop: Header=BB6_4748 Depth=3
	v_or_b32_sdwa v0, v32, s83 dst_sel:DWORD dst_unused:UNUSED_PAD src0_sel:BYTE_3 src1_sel:DWORD
	buffer_store_dword v0, off, s[0:3], s33 offset:104 ; 4-byte Folded Spill
                                        ; implicit-def: $vgpr32
.LBB6_4889:                             ;   in Loop: Header=BB6_4748 Depth=3
	s_andn2_saveexec_b64 s[30:31], vcc
	s_cbranch_execz .LBB6_4891
; %bb.4890:                             ;   in Loop: Header=BB6_4748 Depth=3
	v_cmp_lt_i32_e32 vcc, -1, v32
	v_bfrev_b32_e32 v0, 0.5
	v_mov_b32_e32 v30, 0x7c
	v_cndmask_b32_e32 v0, v0, v30, vcc
	buffer_store_dword v0, off, s[0:3], s33 offset:104 ; 4-byte Folded Spill
.LBB6_4891:                             ;   in Loop: Header=BB6_4748 Depth=3
	s_or_b64 exec, exec, s[30:31]
.LBB6_4892:                             ;   in Loop: Header=BB6_4748 Depth=3
	s_or_b64 exec, exec, s[28:29]
	v_mov_b32_e32 v30, v49
	v_mov_b32_e32 v31, v34
	v_cmp_ne_u16_sdwa vcc, v49, v34 src0_sel:BYTE_0 src1_sel:DWORD
	v_mov_b32_e32 v32, 0
	v_mov_b32_e32 v0, 0
	s_and_saveexec_b64 s[28:29], vcc
	s_cbranch_execz .LBB6_4900
; %bb.4893:                             ;   in Loop: Header=BB6_4748 Depth=3
	v_cmp_ne_u16_sdwa vcc, v49, s44 src0_sel:BYTE_0 src1_sel:DWORD
	v_bfrev_b32_e32 v0, 1
	s_and_saveexec_b64 s[30:31], vcc
	s_cbranch_execz .LBB6_4899
; %bb.4894:                             ;   in Loop: Header=BB6_4748 Depth=3
	v_and_b32_e32 v0, 0x7c, v49
	v_and_b32_e32 v33, 3, v49
	v_cmp_ne_u32_e32 vcc, s81, v0
                                        ; implicit-def: $vgpr0
	s_and_saveexec_b64 s[34:35], vcc
	s_xor_b64 s[34:35], exec, s[34:35]
	s_cbranch_execz .LBB6_4896
; %bb.4895:                             ;   in Loop: Header=BB6_4748 Depth=3
	v_ffbh_u32_e32 v35, v33
	v_min_u32_e32 v35, 32, v35
	v_subrev_u32_e32 v52, 29, v35
	v_lshlrev_b64 v[52:53], v52, v[30:31]
	v_bfe_u32 v0, v49, 2, 5
	v_sub_u32_e32 v31, 30, v35
	v_and_b32_e32 v35, 3, v52
	v_cmp_eq_u32_e32 vcc, 0, v0
	v_cndmask_b32_e32 v0, v0, v31, vcc
	v_cndmask_b32_e32 v31, v33, v35, vcc
	v_lshlrev_b32_e32 v33, 24, v49
	v_and_b32_e32 v33, 0x80000000, v33
	v_lshl_add_u32 v0, v0, 23, v33
	v_lshl_or_b32 v0, v31, 21, v0
	v_add_u32_e32 v0, 0x38000000, v0
                                        ; implicit-def: $vgpr33
.LBB6_4896:                             ;   in Loop: Header=BB6_4748 Depth=3
	s_andn2_saveexec_b64 s[34:35], s[34:35]
; %bb.4897:                             ;   in Loop: Header=BB6_4748 Depth=3
	v_mov_b32_e32 v0, -1
	v_cmp_gt_i16_sdwa vcc, sext(v49), v0 src0_sel:BYTE_0 src1_sel:DWORD
	v_mov_b32_e32 v0, 0xff800000
	v_mov_b32_e32 v31, 0x7f800000
	v_cndmask_b32_e32 v0, v0, v31, vcc
	v_cmp_eq_u32_e32 vcc, 0, v33
	v_mov_b32_e32 v31, 0x7f800001
	v_cndmask_b32_e32 v0, v31, v0, vcc
; %bb.4898:                             ;   in Loop: Header=BB6_4748 Depth=3
	s_or_b64 exec, exec, s[34:35]
.LBB6_4899:                             ;   in Loop: Header=BB6_4748 Depth=3
	s_or_b64 exec, exec, s[30:31]
.LBB6_4900:                             ;   in Loop: Header=BB6_4748 Depth=3
	s_or_b64 exec, exec, s[28:29]
	v_cmp_ne_u16_sdwa vcc, v37, v34 src0_sel:BYTE_0 src1_sel:DWORD
	s_and_saveexec_b64 s[28:29], vcc
	s_cbranch_execz .LBB6_4908
; %bb.4901:                             ;   in Loop: Header=BB6_4748 Depth=3
	v_cmp_ne_u16_sdwa vcc, v37, s44 src0_sel:BYTE_0 src1_sel:DWORD
	v_bfrev_b32_e32 v32, 1
	s_and_saveexec_b64 s[30:31], vcc
	s_cbranch_execz .LBB6_4907
; %bb.4902:                             ;   in Loop: Header=BB6_4748 Depth=3
	v_and_b32_e32 v32, 0x7c, v37
	v_and_b32_e32 v31, 3, v37
	v_cmp_ne_u32_e32 vcc, s81, v32
                                        ; implicit-def: $vgpr32
	s_and_saveexec_b64 s[34:35], vcc
	s_xor_b64 s[34:35], exec, s[34:35]
	s_cbranch_execz .LBB6_4904
; %bb.4903:                             ;   in Loop: Header=BB6_4748 Depth=3
	v_ffbh_u32_e32 v52, v31
	v_min_u32_e32 v52, 32, v52
	v_mov_b32_e32 v32, v37
	v_mov_b32_e32 v33, v34
	v_subrev_u32_e32 v53, 29, v52
	v_lshlrev_b64 v[32:33], v53, v[32:33]
	v_bfe_u32 v35, v37, 2, 5
	v_and_b32_e32 v32, 3, v32
	v_cmp_eq_u32_e32 vcc, 0, v35
	v_sub_u32_e32 v33, 30, v52
	v_cndmask_b32_e32 v31, v31, v32, vcc
	v_lshlrev_b32_e32 v32, 24, v37
	v_cndmask_b32_e32 v33, v35, v33, vcc
	v_and_b32_e32 v32, 0x80000000, v32
	v_lshl_add_u32 v32, v33, 23, v32
	v_lshl_or_b32 v31, v31, 21, v32
	v_add_u32_e32 v32, 0x38000000, v31
                                        ; implicit-def: $vgpr31
.LBB6_4904:                             ;   in Loop: Header=BB6_4748 Depth=3
	s_andn2_saveexec_b64 s[34:35], s[34:35]
; %bb.4905:                             ;   in Loop: Header=BB6_4748 Depth=3
	v_mov_b32_e32 v32, -1
	v_cmp_gt_i16_sdwa vcc, sext(v37), v32 src0_sel:BYTE_0 src1_sel:DWORD
	v_mov_b32_e32 v32, 0xff800000
	v_mov_b32_e32 v33, 0x7f800000
	v_cndmask_b32_e32 v32, v32, v33, vcc
	v_cmp_eq_u32_e32 vcc, 0, v31
	v_mov_b32_e32 v31, 0x7f800001
	v_cndmask_b32_e32 v32, v31, v32, vcc
; %bb.4906:                             ;   in Loop: Header=BB6_4748 Depth=3
	s_or_b64 exec, exec, s[34:35]
.LBB6_4907:                             ;   in Loop: Header=BB6_4748 Depth=3
	s_or_b64 exec, exec, s[30:31]
.LBB6_4908:                             ;   in Loop: Header=BB6_4748 Depth=3
	s_or_b64 exec, exec, s[28:29]
	v_mul_f32_e32 v33, v0, v32
	v_and_b32_e32 v52, 0x7f800000, v33
	v_mov_b32_e32 v53, v34
	v_cmp_ne_u64_e32 vcc, s[76:77], v[52:53]
	v_and_b32_e32 v31, 0x7fffff, v33
	v_mov_b32_e32 v32, v34
                                        ; implicit-def: $vgpr0
                                        ; kill: killed $vgpr0
	s_and_saveexec_b64 s[28:29], vcc
	s_xor_b64 s[30:31], exec, s[28:29]
	s_cbranch_execz .LBB6_4922
; %bb.4909:                             ;   in Loop: Header=BB6_4748 Depth=3
	v_and_b32_e32 v52, 0x7fffffff, v33
	v_mov_b32_e32 v53, v34
	v_cmp_gt_u64_e32 vcc, s[78:79], v[52:53]
	v_and_b32_sdwa v0, v33, s44 dst_sel:DWORD dst_unused:UNUSED_PAD src0_sel:BYTE_3 src1_sel:DWORD
                                        ; implicit-def: $vgpr35
                                        ; kill: killed $vgpr35
	s_and_saveexec_b64 s[28:29], vcc
	s_xor_b64 s[34:35], exec, s[28:29]
	s_cbranch_execz .LBB6_4919
; %bb.4910:                             ;   in Loop: Header=BB6_4748 Depth=3
	v_mov_b32_e32 v35, 0
	v_cmp_ne_u32_e32 vcc, 0, v33
	buffer_store_dword v35, off, s[0:3], s33 offset:112 ; 4-byte Folded Spill
	s_and_saveexec_b64 s[36:37], vcc
	s_cbranch_execz .LBB6_4918
; %bb.4911:                             ;   in Loop: Header=BB6_4748 Depth=3
	v_bfe_u32 v35, v33, 23, 8
	v_cmp_gt_u32_e64 s[28:29], s45, v35
	v_sub_u32_e32 v33, 0x71, v35
	v_cmp_eq_u32_e32 vcc, 0, v35
	v_cndmask_b32_e64 v33, 0, v33, s[28:29]
	v_mov_b32_e32 v52, 0x70
	v_cndmask_b32_e32 v52, v33, v52, vcc
	v_or_b32_e32 v53, 0x800000, v31
	v_add_u32_e32 v33, 21, v52
	v_cndmask_b32_e32 v31, v53, v31, vcc
	v_lshlrev_b64 v[53:54], v33, -1
	v_add_u32_e32 v33, 20, v52
	v_bfi_b32 v53, v53, 0, v31
	v_lshlrev_b64 v[40:41], v33, 1
	v_lshrrev_b64 v[31:32], v52, v[31:32]
	v_bfi_b32 v54, v54, 0, 0
	v_cmp_eq_u64_e64 s[28:29], v[53:54], v[40:41]
	v_mov_b32_e32 v33, v32
	v_mov_b32_e32 v32, v31
	s_and_saveexec_b64 s[38:39], s[28:29]
; %bb.4912:                             ;   in Loop: Header=BB6_4748 Depth=3
	v_bfe_u32 v32, v31, 21, 1
	v_add_co_u32_e64 v32, s[28:29], v31, v32
	v_add_co_u32_e64 v32, s[28:29], -1, v32
; %bb.4913:                             ;   in Loop: Header=BB6_4748 Depth=3
	s_or_b64 exec, exec, s[38:39]
	v_add_u32_e32 v33, 0xffffff81, v35
	v_mov_b32_e32 v35, 0xffffff82
	v_cndmask_b32_e32 v33, v33, v35, vcc
	v_lshrrev_b32_e32 v35, 23, v31
	v_add3_u32 v52, v52, v33, v35
	v_add_u32_e32 v35, 14, v52
	v_and_b32_e32 v32, 0x1fffff, v32
	v_add_u32_e32 v31, v32, v31
	v_mov_b32_e32 v32, v34
	v_cmp_ne_u32_e32 vcc, 0, v35
                                        ; implicit-def: $vgpr33
	s_and_saveexec_b64 s[28:29], vcc
	s_xor_b64 s[28:29], exec, s[28:29]
; %bb.4914:                             ;   in Loop: Header=BB6_4748 Depth=3
	v_cmp_lt_u64_e32 vcc, s[88:89], v[31:32]
	v_add_u32_e32 v33, 15, v52
	v_cndmask_b32_e32 v33, v35, v33, vcc
	v_cndmask_b32_e64 v35, 0, 1, vcc
	v_lshrrev_b64 v[31:32], v35, v[31:32]
; %bb.4915:                             ;   in Loop: Header=BB6_4748 Depth=3
	s_andn2_saveexec_b64 s[28:29], s[28:29]
; %bb.4916:                             ;   in Loop: Header=BB6_4748 Depth=3
	v_bfe_u32 v33, v31, 23, 1
; %bb.4917:                             ;   in Loop: Header=BB6_4748 Depth=3
	s_or_b64 exec, exec, s[28:29]
	v_lshrrev_b64 v[31:32], 21, v[31:32]
	v_cmp_gt_i32_e32 vcc, 32, v33
	v_cndmask_b32_e32 v32, 0, v32, vcc
	v_cndmask_b32_e32 v31, 3, v31, vcc
	v_cmp_eq_u64_e64 s[28:29], 0, v[31:32]
	v_min_i32_e32 v32, 31, v33
	v_lshlrev_b32_e32 v32, 2, v32
	v_cmp_eq_u32_e32 vcc, 0, v33
	v_and_b32_e32 v32, 0xfc, v32
	v_and_or_b32 v31, v31, 3, v32
	s_and_b64 s[28:29], vcc, s[28:29]
	v_cndmask_b32_e64 v31, v31, 0, s[28:29]
	v_or_b32_e32 v0, v31, v0
	buffer_store_dword v0, off, s[0:3], s33 offset:112 ; 4-byte Folded Spill
.LBB6_4918:                             ;   in Loop: Header=BB6_4748 Depth=3
	s_or_b64 exec, exec, s[36:37]
                                        ; implicit-def: $vgpr0
.LBB6_4919:                             ;   in Loop: Header=BB6_4748 Depth=3
	s_andn2_saveexec_b64 s[28:29], s[34:35]
	s_cbranch_execz .LBB6_4921
; %bb.4920:                             ;   in Loop: Header=BB6_4748 Depth=3
	v_or_b32_e32 v0, 0x7b, v0
	buffer_store_dword v0, off, s[0:3], s33 offset:112 ; 4-byte Folded Spill
.LBB6_4921:                             ;   in Loop: Header=BB6_4748 Depth=3
	s_or_b64 exec, exec, s[28:29]
                                        ; implicit-def: $vgpr33
                                        ; implicit-def: $vgpr31_vgpr32
.LBB6_4922:                             ;   in Loop: Header=BB6_4748 Depth=3
	s_andn2_saveexec_b64 s[28:29], s[30:31]
	s_cbranch_execz .LBB6_4928
; %bb.4923:                             ;   in Loop: Header=BB6_4748 Depth=3
	v_cmp_ne_u64_e32 vcc, 0, v[31:32]
                                        ; implicit-def: $vgpr0
                                        ; kill: killed $vgpr0
	s_and_saveexec_b64 s[30:31], vcc
	s_xor_b64 vcc, exec, s[30:31]
	s_cbranch_execz .LBB6_4925
; %bb.4924:                             ;   in Loop: Header=BB6_4748 Depth=3
	v_or_b32_sdwa v0, v33, s83 dst_sel:DWORD dst_unused:UNUSED_PAD src0_sel:BYTE_3 src1_sel:DWORD
	buffer_store_dword v0, off, s[0:3], s33 offset:112 ; 4-byte Folded Spill
                                        ; implicit-def: $vgpr33
.LBB6_4925:                             ;   in Loop: Header=BB6_4748 Depth=3
	s_andn2_saveexec_b64 s[30:31], vcc
	s_cbranch_execz .LBB6_4927
; %bb.4926:                             ;   in Loop: Header=BB6_4748 Depth=3
	v_cmp_lt_i32_e32 vcc, -1, v33
	v_bfrev_b32_e32 v0, 0.5
	v_mov_b32_e32 v31, 0x7c
	v_cndmask_b32_e32 v0, v0, v31, vcc
	buffer_store_dword v0, off, s[0:3], s33 offset:112 ; 4-byte Folded Spill
.LBB6_4927:                             ;   in Loop: Header=BB6_4748 Depth=3
	s_or_b64 exec, exec, s[30:31]
.LBB6_4928:                             ;   in Loop: Header=BB6_4748 Depth=3
	s_or_b64 exec, exec, s[28:29]
	v_lshrrev_b16_e32 v31, 8, v30
	v_cmp_ne_u16_e32 vcc, 0, v31
	v_mov_b32_e32 v0, 0
	v_mov_b32_e32 v32, 0
	s_and_saveexec_b64 s[28:29], vcc
	s_cbranch_execz .LBB6_4936
; %bb.4929:                             ;   in Loop: Header=BB6_4748 Depth=3
	v_cmp_ne_u16_e32 vcc, s44, v31
	v_bfrev_b32_e32 v32, 1
	s_and_saveexec_b64 s[30:31], vcc
	s_cbranch_execz .LBB6_4935
; %bb.4930:                             ;   in Loop: Header=BB6_4748 Depth=3
	v_and_b32_e32 v32, 0x7c, v31
	v_and_b32_e32 v33, 3, v31
	v_cmp_ne_u32_e32 vcc, s81, v32
                                        ; implicit-def: $vgpr32
	s_and_saveexec_b64 s[34:35], vcc
	s_xor_b64 s[34:35], exec, s[34:35]
	s_cbranch_execz .LBB6_4932
; %bb.4931:                             ;   in Loop: Header=BB6_4748 Depth=3
	v_ffbh_u32_e32 v52, v33
	v_min_u32_e32 v52, 32, v52
	v_mov_b32_e32 v32, v34
	v_subrev_u32_e32 v53, 29, v52
	v_bfe_u32 v35, v31, 2, 5
	v_lshlrev_b64 v[31:32], v53, v[31:32]
	v_sub_u32_e32 v32, 30, v52
	v_cmp_eq_u32_e32 vcc, 0, v35
	v_lshlrev_b32_e32 v30, 16, v30
	v_and_b32_e32 v31, 3, v31
	v_cndmask_b32_e32 v32, v35, v32, vcc
	v_and_b32_e32 v30, 0x80000000, v30
	v_cndmask_b32_e32 v31, v33, v31, vcc
	v_lshl_add_u32 v30, v32, 23, v30
	v_lshl_or_b32 v30, v31, 21, v30
	v_add_u32_e32 v32, 0x38000000, v30
                                        ; implicit-def: $vgpr33
                                        ; implicit-def: $vgpr30_vgpr31
.LBB6_4932:                             ;   in Loop: Header=BB6_4748 Depth=3
	s_andn2_saveexec_b64 s[34:35], s[34:35]
; %bb.4933:                             ;   in Loop: Header=BB6_4748 Depth=3
	v_cmp_lt_i16_e32 vcc, -1, v30
	v_mov_b32_e32 v30, 0xff800000
	v_mov_b32_e32 v31, 0x7f800000
	v_cndmask_b32_e32 v30, v30, v31, vcc
	v_cmp_eq_u32_e32 vcc, 0, v33
	v_mov_b32_e32 v31, 0x7f800001
	v_cndmask_b32_e32 v32, v31, v30, vcc
; %bb.4934:                             ;   in Loop: Header=BB6_4748 Depth=3
	s_or_b64 exec, exec, s[34:35]
.LBB6_4935:                             ;   in Loop: Header=BB6_4748 Depth=3
	s_or_b64 exec, exec, s[30:31]
.LBB6_4936:                             ;   in Loop: Header=BB6_4748 Depth=3
	s_or_b64 exec, exec, s[28:29]
	v_lshrrev_b16_e32 v30, 8, v37
	v_cmp_ne_u16_e32 vcc, 0, v30
	s_and_saveexec_b64 s[28:29], vcc
	s_cbranch_execz .LBB6_4944
; %bb.4937:                             ;   in Loop: Header=BB6_4748 Depth=3
	v_cmp_ne_u16_e32 vcc, s44, v30
	v_bfrev_b32_e32 v0, 1
	s_and_saveexec_b64 s[30:31], vcc
	s_cbranch_execz .LBB6_4943
; %bb.4938:                             ;   in Loop: Header=BB6_4748 Depth=3
	v_and_b32_e32 v0, 0x7c, v30
	v_and_b32_e32 v33, 3, v30
	v_cmp_ne_u32_e32 vcc, s81, v0
                                        ; implicit-def: $vgpr0
	s_and_saveexec_b64 s[34:35], vcc
	s_xor_b64 s[34:35], exec, s[34:35]
	s_cbranch_execz .LBB6_4940
; %bb.4939:                             ;   in Loop: Header=BB6_4748 Depth=3
	v_ffbh_u32_e32 v35, v33
	v_min_u32_e32 v35, 32, v35
	v_mov_b32_e32 v31, v34
	v_subrev_u32_e32 v52, 29, v35
	v_bfe_u32 v0, v30, 2, 5
	v_lshlrev_b64 v[30:31], v52, v[30:31]
	v_sub_u32_e32 v31, 30, v35
	v_cmp_eq_u32_e32 vcc, 0, v0
	v_cndmask_b32_e32 v0, v0, v31, vcc
	v_lshlrev_b32_e32 v31, 16, v37
	v_and_b32_e32 v30, 3, v30
	v_and_b32_e32 v31, 0x80000000, v31
	v_cndmask_b32_e32 v30, v33, v30, vcc
	v_lshl_add_u32 v0, v0, 23, v31
	v_lshl_or_b32 v0, v30, 21, v0
	v_add_u32_e32 v0, 0x38000000, v0
                                        ; implicit-def: $vgpr33
.LBB6_4940:                             ;   in Loop: Header=BB6_4748 Depth=3
	s_andn2_saveexec_b64 s[34:35], s[34:35]
; %bb.4941:                             ;   in Loop: Header=BB6_4748 Depth=3
	v_cmp_lt_i16_e32 vcc, -1, v37
	v_mov_b32_e32 v0, 0xff800000
	v_mov_b32_e32 v30, 0x7f800000
	v_cndmask_b32_e32 v0, v0, v30, vcc
	v_cmp_eq_u32_e32 vcc, 0, v33
	v_mov_b32_e32 v30, 0x7f800001
	v_cndmask_b32_e32 v0, v30, v0, vcc
; %bb.4942:                             ;   in Loop: Header=BB6_4748 Depth=3
	s_or_b64 exec, exec, s[34:35]
.LBB6_4943:                             ;   in Loop: Header=BB6_4748 Depth=3
	s_or_b64 exec, exec, s[30:31]
.LBB6_4944:                             ;   in Loop: Header=BB6_4748 Depth=3
	s_or_b64 exec, exec, s[28:29]
	v_mul_f32_e32 v32, v32, v0
	v_and_b32_e32 v52, 0x7f800000, v32
	v_mov_b32_e32 v53, v34
	v_cmp_ne_u64_e32 vcc, s[76:77], v[52:53]
	v_and_b32_e32 v30, 0x7fffff, v32
	v_mov_b32_e32 v31, v34
                                        ; implicit-def: $vgpr0
                                        ; kill: killed $vgpr0
	s_and_saveexec_b64 s[28:29], vcc
	s_xor_b64 s[30:31], exec, s[28:29]
	s_cbranch_execz .LBB6_4958
; %bb.4945:                             ;   in Loop: Header=BB6_4748 Depth=3
	v_and_b32_e32 v52, 0x7fffffff, v32
	v_mov_b32_e32 v53, v34
	v_cmp_gt_u64_e32 vcc, s[78:79], v[52:53]
	v_and_b32_sdwa v0, v32, s44 dst_sel:DWORD dst_unused:UNUSED_PAD src0_sel:BYTE_3 src1_sel:DWORD
                                        ; implicit-def: $vgpr33
                                        ; kill: killed $vgpr33
	s_and_saveexec_b64 s[28:29], vcc
	s_xor_b64 s[34:35], exec, s[28:29]
	s_cbranch_execz .LBB6_4955
; %bb.4946:                             ;   in Loop: Header=BB6_4748 Depth=3
	v_mov_b32_e32 v33, 0
	v_cmp_ne_u32_e32 vcc, 0, v32
	buffer_store_dword v33, off, s[0:3], s33 offset:120 ; 4-byte Folded Spill
	s_and_saveexec_b64 s[36:37], vcc
	s_cbranch_execz .LBB6_4954
; %bb.4947:                             ;   in Loop: Header=BB6_4748 Depth=3
	v_bfe_u32 v33, v32, 23, 8
	v_cmp_gt_u32_e64 s[28:29], s45, v33
	v_sub_u32_e32 v32, 0x71, v33
	v_cmp_eq_u32_e32 vcc, 0, v33
	v_cndmask_b32_e64 v32, 0, v32, s[28:29]
	v_mov_b32_e32 v35, 0x70
	v_cndmask_b32_e32 v35, v32, v35, vcc
	v_or_b32_e32 v52, 0x800000, v30
	v_add_u32_e32 v32, 21, v35
	v_cndmask_b32_e32 v30, v52, v30, vcc
	v_lshlrev_b64 v[52:53], v32, -1
	v_add_u32_e32 v32, 20, v35
	v_bfi_b32 v52, v52, 0, v30
	v_lshlrev_b64 v[54:55], v32, 1
	v_lshrrev_b64 v[30:31], v35, v[30:31]
	v_bfi_b32 v53, v53, 0, 0
	v_cmp_eq_u64_e64 s[28:29], v[52:53], v[54:55]
	v_mov_b32_e32 v32, v31
	v_mov_b32_e32 v31, v30
	s_and_saveexec_b64 s[38:39], s[28:29]
; %bb.4948:                             ;   in Loop: Header=BB6_4748 Depth=3
	v_bfe_u32 v31, v30, 21, 1
	v_add_co_u32_e64 v31, s[28:29], v30, v31
	v_add_co_u32_e64 v31, s[28:29], -1, v31
; %bb.4949:                             ;   in Loop: Header=BB6_4748 Depth=3
	s_or_b64 exec, exec, s[38:39]
	v_add_u32_e32 v32, 0xffffff81, v33
	v_mov_b32_e32 v33, 0xffffff82
	v_cndmask_b32_e32 v32, v32, v33, vcc
	v_lshrrev_b32_e32 v33, 23, v30
	v_add3_u32 v35, v35, v32, v33
	v_add_u32_e32 v33, 14, v35
	v_and_b32_e32 v31, 0x1fffff, v31
	v_add_u32_e32 v30, v31, v30
	v_mov_b32_e32 v31, v34
	v_cmp_ne_u32_e32 vcc, 0, v33
                                        ; implicit-def: $vgpr32
	s_and_saveexec_b64 s[28:29], vcc
	s_xor_b64 s[28:29], exec, s[28:29]
; %bb.4950:                             ;   in Loop: Header=BB6_4748 Depth=3
	v_cmp_lt_u64_e32 vcc, s[88:89], v[30:31]
	v_add_u32_e32 v32, 15, v35
	v_cndmask_b32_e32 v32, v33, v32, vcc
	v_cndmask_b32_e64 v33, 0, 1, vcc
	v_lshrrev_b64 v[30:31], v33, v[30:31]
; %bb.4951:                             ;   in Loop: Header=BB6_4748 Depth=3
	s_andn2_saveexec_b64 s[28:29], s[28:29]
; %bb.4952:                             ;   in Loop: Header=BB6_4748 Depth=3
	v_bfe_u32 v32, v30, 23, 1
; %bb.4953:                             ;   in Loop: Header=BB6_4748 Depth=3
	s_or_b64 exec, exec, s[28:29]
	v_lshrrev_b64 v[30:31], 21, v[30:31]
	v_cmp_gt_i32_e32 vcc, 32, v32
	v_cndmask_b32_e32 v31, 0, v31, vcc
	v_cndmask_b32_e32 v30, 3, v30, vcc
	v_cmp_eq_u64_e64 s[28:29], 0, v[30:31]
	v_min_i32_e32 v31, 31, v32
	v_lshlrev_b32_e32 v31, 2, v31
	v_cmp_eq_u32_e32 vcc, 0, v32
	v_and_b32_e32 v31, 0xfc, v31
	v_and_or_b32 v30, v30, 3, v31
	s_and_b64 s[28:29], vcc, s[28:29]
	v_cndmask_b32_e64 v30, v30, 0, s[28:29]
	v_or_b32_e32 v0, v30, v0
	buffer_store_dword v0, off, s[0:3], s33 offset:120 ; 4-byte Folded Spill
.LBB6_4954:                             ;   in Loop: Header=BB6_4748 Depth=3
	s_or_b64 exec, exec, s[36:37]
                                        ; implicit-def: $vgpr0
.LBB6_4955:                             ;   in Loop: Header=BB6_4748 Depth=3
	s_andn2_saveexec_b64 s[28:29], s[34:35]
	s_cbranch_execz .LBB6_4957
; %bb.4956:                             ;   in Loop: Header=BB6_4748 Depth=3
	v_or_b32_e32 v0, 0x7b, v0
	buffer_store_dword v0, off, s[0:3], s33 offset:120 ; 4-byte Folded Spill
.LBB6_4957:                             ;   in Loop: Header=BB6_4748 Depth=3
	s_or_b64 exec, exec, s[28:29]
                                        ; implicit-def: $vgpr32
                                        ; implicit-def: $vgpr30_vgpr31
.LBB6_4958:                             ;   in Loop: Header=BB6_4748 Depth=3
	s_andn2_saveexec_b64 s[28:29], s[30:31]
	s_cbranch_execz .LBB6_4964
; %bb.4959:                             ;   in Loop: Header=BB6_4748 Depth=3
	v_cmp_ne_u64_e32 vcc, 0, v[30:31]
                                        ; implicit-def: $vgpr0
                                        ; kill: killed $vgpr0
	s_and_saveexec_b64 s[30:31], vcc
	s_xor_b64 vcc, exec, s[30:31]
	s_cbranch_execz .LBB6_4961
; %bb.4960:                             ;   in Loop: Header=BB6_4748 Depth=3
	v_or_b32_sdwa v0, v32, s83 dst_sel:DWORD dst_unused:UNUSED_PAD src0_sel:BYTE_3 src1_sel:DWORD
	buffer_store_dword v0, off, s[0:3], s33 offset:120 ; 4-byte Folded Spill
                                        ; implicit-def: $vgpr32
.LBB6_4961:                             ;   in Loop: Header=BB6_4748 Depth=3
	s_andn2_saveexec_b64 s[30:31], vcc
	s_cbranch_execz .LBB6_4963
; %bb.4962:                             ;   in Loop: Header=BB6_4748 Depth=3
	v_cmp_lt_i32_e32 vcc, -1, v32
	v_bfrev_b32_e32 v0, 0.5
	v_mov_b32_e32 v30, 0x7c
	v_cndmask_b32_e32 v0, v0, v30, vcc
	buffer_store_dword v0, off, s[0:3], s33 offset:120 ; 4-byte Folded Spill
.LBB6_4963:                             ;   in Loop: Header=BB6_4748 Depth=3
	s_or_b64 exec, exec, s[30:31]
.LBB6_4964:                             ;   in Loop: Header=BB6_4748 Depth=3
	s_or_b64 exec, exec, s[28:29]
	v_lshrrev_b32_e32 v0, 16, v49
	v_cmp_ne_u16_sdwa vcc, v0, v34 src0_sel:BYTE_0 src1_sel:DWORD
	v_mov_b32_e32 v30, 0
	v_mov_b32_e32 v31, 0
	s_and_saveexec_b64 s[28:29], vcc
	s_cbranch_execz .LBB6_4972
; %bb.4965:                             ;   in Loop: Header=BB6_4748 Depth=3
	v_cmp_ne_u16_sdwa vcc, v0, s44 src0_sel:BYTE_0 src1_sel:DWORD
	v_bfrev_b32_e32 v31, 1
	s_and_saveexec_b64 s[30:31], vcc
	s_cbranch_execz .LBB6_4971
; %bb.4966:                             ;   in Loop: Header=BB6_4748 Depth=3
	v_and_b32_e32 v31, 0x7c0000, v49
	v_bfe_u32 v32, v49, 16, 2
	v_cmp_ne_u32_e32 vcc, s9, v31
                                        ; implicit-def: $vgpr31
	s_and_saveexec_b64 s[34:35], vcc
	s_xor_b64 s[34:35], exec, s[34:35]
	s_cbranch_execz .LBB6_4968
; %bb.4967:                             ;   in Loop: Header=BB6_4748 Depth=3
	v_ffbh_u32_e32 v33, v32
	v_min_u32_e32 v33, 32, v33
	v_subrev_u32_e32 v35, 29, v33
	v_lshlrev_b64 v[52:53], v35, v[0:1]
	v_bfe_u32 v31, v49, 18, 5
	v_sub_u32_e32 v0, 30, v33
	v_and_b32_e32 v33, 3, v52
	v_cmp_eq_u32_e32 vcc, 0, v31
	v_cndmask_b32_e32 v0, v31, v0, vcc
	v_cndmask_b32_e32 v31, v32, v33, vcc
	v_lshlrev_b32_e32 v32, 8, v49
	v_and_b32_e32 v32, 0x80000000, v32
	v_lshl_add_u32 v0, v0, 23, v32
	v_lshl_or_b32 v0, v31, 21, v0
	v_add_u32_e32 v31, 0x38000000, v0
                                        ; implicit-def: $vgpr32
                                        ; implicit-def: $vgpr0
.LBB6_4968:                             ;   in Loop: Header=BB6_4748 Depth=3
	s_andn2_saveexec_b64 s[34:35], s[34:35]
; %bb.4969:                             ;   in Loop: Header=BB6_4748 Depth=3
	v_mov_b32_e32 v31, -1
	v_cmp_gt_i16_sdwa vcc, sext(v0), v31 src0_sel:BYTE_0 src1_sel:DWORD
	v_mov_b32_e32 v0, 0xff800000
	v_mov_b32_e32 v31, 0x7f800000
	v_cndmask_b32_e32 v0, v0, v31, vcc
	v_cmp_eq_u32_e32 vcc, 0, v32
	v_mov_b32_e32 v31, 0x7f800001
	v_cndmask_b32_e32 v31, v31, v0, vcc
; %bb.4970:                             ;   in Loop: Header=BB6_4748 Depth=3
	s_or_b64 exec, exec, s[34:35]
.LBB6_4971:                             ;   in Loop: Header=BB6_4748 Depth=3
	s_or_b64 exec, exec, s[30:31]
.LBB6_4972:                             ;   in Loop: Header=BB6_4748 Depth=3
	s_or_b64 exec, exec, s[28:29]
	v_lshrrev_b32_e32 v0, 16, v37
	v_cmp_ne_u16_sdwa vcc, v0, v34 src0_sel:BYTE_0 src1_sel:DWORD
	s_and_saveexec_b64 s[28:29], vcc
	s_cbranch_execz .LBB6_4980
; %bb.4973:                             ;   in Loop: Header=BB6_4748 Depth=3
	v_cmp_ne_u16_sdwa vcc, v0, s44 src0_sel:BYTE_0 src1_sel:DWORD
	v_bfrev_b32_e32 v30, 1
	s_and_saveexec_b64 s[30:31], vcc
	s_cbranch_execz .LBB6_4979
; %bb.4974:                             ;   in Loop: Header=BB6_4748 Depth=3
	v_and_b32_e32 v30, 0x7c0000, v37
	v_bfe_u32 v32, v37, 16, 2
	v_cmp_ne_u32_e32 vcc, s9, v30
                                        ; implicit-def: $vgpr30
	s_and_saveexec_b64 s[34:35], vcc
	s_xor_b64 s[34:35], exec, s[34:35]
	s_cbranch_execz .LBB6_4976
; %bb.4975:                             ;   in Loop: Header=BB6_4748 Depth=3
	v_ffbh_u32_e32 v33, v32
	v_min_u32_e32 v33, 32, v33
	v_subrev_u32_e32 v35, 29, v33
	v_lshlrev_b64 v[52:53], v35, v[0:1]
	v_bfe_u32 v30, v37, 18, 5
	v_sub_u32_e32 v0, 30, v33
	v_and_b32_e32 v33, 3, v52
	v_cmp_eq_u32_e32 vcc, 0, v30
	v_cndmask_b32_e32 v0, v30, v0, vcc
	v_cndmask_b32_e32 v30, v32, v33, vcc
	v_lshlrev_b32_e32 v32, 8, v37
	v_and_b32_e32 v32, 0x80000000, v32
	v_lshl_add_u32 v0, v0, 23, v32
	v_lshl_or_b32 v0, v30, 21, v0
	v_add_u32_e32 v30, 0x38000000, v0
                                        ; implicit-def: $vgpr32
                                        ; implicit-def: $vgpr0
.LBB6_4976:                             ;   in Loop: Header=BB6_4748 Depth=3
	s_andn2_saveexec_b64 s[34:35], s[34:35]
; %bb.4977:                             ;   in Loop: Header=BB6_4748 Depth=3
	v_mov_b32_e32 v30, -1
	v_cmp_gt_i16_sdwa vcc, sext(v0), v30 src0_sel:BYTE_0 src1_sel:DWORD
	v_mov_b32_e32 v0, 0xff800000
	v_mov_b32_e32 v30, 0x7f800000
	v_cndmask_b32_e32 v0, v0, v30, vcc
	v_cmp_eq_u32_e32 vcc, 0, v32
	v_mov_b32_e32 v30, 0x7f800001
	v_cndmask_b32_e32 v30, v30, v0, vcc
; %bb.4978:                             ;   in Loop: Header=BB6_4748 Depth=3
	s_or_b64 exec, exec, s[34:35]
.LBB6_4979:                             ;   in Loop: Header=BB6_4748 Depth=3
	s_or_b64 exec, exec, s[30:31]
.LBB6_4980:                             ;   in Loop: Header=BB6_4748 Depth=3
	s_or_b64 exec, exec, s[28:29]
	v_mul_f32_e32 v32, v31, v30
	v_and_b32_e32 v52, 0x7f800000, v32
	v_mov_b32_e32 v53, v34
	v_cmp_ne_u64_e32 vcc, s[76:77], v[52:53]
	v_and_b32_e32 v30, 0x7fffff, v32
	v_mov_b32_e32 v31, v34
                                        ; implicit-def: $vgpr0
                                        ; kill: killed $vgpr0
	s_and_saveexec_b64 s[28:29], vcc
	s_xor_b64 s[30:31], exec, s[28:29]
	s_cbranch_execz .LBB6_4994
; %bb.4981:                             ;   in Loop: Header=BB6_4748 Depth=3
	v_and_b32_e32 v52, 0x7fffffff, v32
	v_mov_b32_e32 v53, v34
	v_cmp_gt_u64_e32 vcc, s[78:79], v[52:53]
	v_and_b32_sdwa v0, v32, s44 dst_sel:DWORD dst_unused:UNUSED_PAD src0_sel:BYTE_3 src1_sel:DWORD
                                        ; implicit-def: $vgpr33
                                        ; kill: killed $vgpr33
	s_and_saveexec_b64 s[28:29], vcc
	s_xor_b64 s[34:35], exec, s[28:29]
	s_cbranch_execz .LBB6_4991
; %bb.4982:                             ;   in Loop: Header=BB6_4748 Depth=3
	v_mov_b32_e32 v33, 0
	v_cmp_ne_u32_e32 vcc, 0, v32
	buffer_store_dword v33, off, s[0:3], s33 offset:128 ; 4-byte Folded Spill
	s_and_saveexec_b64 s[36:37], vcc
	s_cbranch_execz .LBB6_4990
; %bb.4983:                             ;   in Loop: Header=BB6_4748 Depth=3
	v_bfe_u32 v33, v32, 23, 8
	v_cmp_gt_u32_e64 s[28:29], s45, v33
	v_sub_u32_e32 v32, 0x71, v33
	v_cmp_eq_u32_e32 vcc, 0, v33
	v_cndmask_b32_e64 v32, 0, v32, s[28:29]
	v_mov_b32_e32 v35, 0x70
	v_cndmask_b32_e32 v35, v32, v35, vcc
	v_or_b32_e32 v52, 0x800000, v30
	v_add_u32_e32 v32, 21, v35
	v_cndmask_b32_e32 v30, v52, v30, vcc
	v_lshlrev_b64 v[52:53], v32, -1
	v_add_u32_e32 v32, 20, v35
	v_bfi_b32 v52, v52, 0, v30
	v_lshlrev_b64 v[54:55], v32, 1
	v_lshrrev_b64 v[30:31], v35, v[30:31]
	v_bfi_b32 v53, v53, 0, 0
	v_cmp_eq_u64_e64 s[28:29], v[52:53], v[54:55]
	v_mov_b32_e32 v32, v31
	v_mov_b32_e32 v31, v30
	s_and_saveexec_b64 s[38:39], s[28:29]
; %bb.4984:                             ;   in Loop: Header=BB6_4748 Depth=3
	v_bfe_u32 v31, v30, 21, 1
	v_add_co_u32_e64 v31, s[28:29], v30, v31
	v_add_co_u32_e64 v31, s[28:29], -1, v31
; %bb.4985:                             ;   in Loop: Header=BB6_4748 Depth=3
	s_or_b64 exec, exec, s[38:39]
	v_add_u32_e32 v32, 0xffffff81, v33
	v_mov_b32_e32 v33, 0xffffff82
	v_cndmask_b32_e32 v32, v32, v33, vcc
	v_lshrrev_b32_e32 v33, 23, v30
	v_add3_u32 v35, v35, v32, v33
	v_add_u32_e32 v33, 14, v35
	v_and_b32_e32 v31, 0x1fffff, v31
	v_add_u32_e32 v30, v31, v30
	v_mov_b32_e32 v31, v34
	v_cmp_ne_u32_e32 vcc, 0, v33
                                        ; implicit-def: $vgpr32
	s_and_saveexec_b64 s[28:29], vcc
	s_xor_b64 s[28:29], exec, s[28:29]
; %bb.4986:                             ;   in Loop: Header=BB6_4748 Depth=3
	v_cmp_lt_u64_e32 vcc, s[88:89], v[30:31]
	v_add_u32_e32 v32, 15, v35
	v_cndmask_b32_e32 v32, v33, v32, vcc
	v_cndmask_b32_e64 v33, 0, 1, vcc
	v_lshrrev_b64 v[30:31], v33, v[30:31]
; %bb.4987:                             ;   in Loop: Header=BB6_4748 Depth=3
	s_andn2_saveexec_b64 s[28:29], s[28:29]
; %bb.4988:                             ;   in Loop: Header=BB6_4748 Depth=3
	v_bfe_u32 v32, v30, 23, 1
; %bb.4989:                             ;   in Loop: Header=BB6_4748 Depth=3
	s_or_b64 exec, exec, s[28:29]
	v_lshrrev_b64 v[30:31], 21, v[30:31]
	v_cmp_gt_i32_e32 vcc, 32, v32
	v_cndmask_b32_e32 v31, 0, v31, vcc
	v_cndmask_b32_e32 v30, 3, v30, vcc
	v_cmp_eq_u64_e64 s[28:29], 0, v[30:31]
	v_min_i32_e32 v31, 31, v32
	v_lshlrev_b32_e32 v31, 2, v31
	v_cmp_eq_u32_e32 vcc, 0, v32
	v_and_b32_e32 v31, 0xfc, v31
	v_and_or_b32 v30, v30, 3, v31
	s_and_b64 s[28:29], vcc, s[28:29]
	v_cndmask_b32_e64 v30, v30, 0, s[28:29]
	v_or_b32_e32 v0, v30, v0
	buffer_store_dword v0, off, s[0:3], s33 offset:128 ; 4-byte Folded Spill
.LBB6_4990:                             ;   in Loop: Header=BB6_4748 Depth=3
	s_or_b64 exec, exec, s[36:37]
                                        ; implicit-def: $vgpr0
.LBB6_4991:                             ;   in Loop: Header=BB6_4748 Depth=3
	s_andn2_saveexec_b64 s[28:29], s[34:35]
	s_cbranch_execz .LBB6_4993
; %bb.4992:                             ;   in Loop: Header=BB6_4748 Depth=3
	v_or_b32_e32 v0, 0x7b, v0
	buffer_store_dword v0, off, s[0:3], s33 offset:128 ; 4-byte Folded Spill
.LBB6_4993:                             ;   in Loop: Header=BB6_4748 Depth=3
	s_or_b64 exec, exec, s[28:29]
                                        ; implicit-def: $vgpr32
                                        ; implicit-def: $vgpr30_vgpr31
.LBB6_4994:                             ;   in Loop: Header=BB6_4748 Depth=3
	s_andn2_saveexec_b64 s[28:29], s[30:31]
	s_cbranch_execz .LBB6_5000
; %bb.4995:                             ;   in Loop: Header=BB6_4748 Depth=3
	v_cmp_ne_u64_e32 vcc, 0, v[30:31]
                                        ; implicit-def: $vgpr0
                                        ; kill: killed $vgpr0
	s_and_saveexec_b64 s[30:31], vcc
	s_xor_b64 vcc, exec, s[30:31]
	s_cbranch_execz .LBB6_4997
; %bb.4996:                             ;   in Loop: Header=BB6_4748 Depth=3
	v_or_b32_sdwa v0, v32, s83 dst_sel:DWORD dst_unused:UNUSED_PAD src0_sel:BYTE_3 src1_sel:DWORD
	buffer_store_dword v0, off, s[0:3], s33 offset:128 ; 4-byte Folded Spill
                                        ; implicit-def: $vgpr32
.LBB6_4997:                             ;   in Loop: Header=BB6_4748 Depth=3
	s_andn2_saveexec_b64 s[30:31], vcc
	s_cbranch_execz .LBB6_4999
; %bb.4998:                             ;   in Loop: Header=BB6_4748 Depth=3
	v_cmp_lt_i32_e32 vcc, -1, v32
	v_bfrev_b32_e32 v0, 0.5
	v_mov_b32_e32 v30, 0x7c
	v_cndmask_b32_e32 v0, v0, v30, vcc
	buffer_store_dword v0, off, s[0:3], s33 offset:128 ; 4-byte Folded Spill
.LBB6_4999:                             ;   in Loop: Header=BB6_4748 Depth=3
	s_or_b64 exec, exec, s[30:31]
.LBB6_5000:                             ;   in Loop: Header=BB6_4748 Depth=3
	s_or_b64 exec, exec, s[28:29]
	v_cmp_lt_u64_e32 vcc, s[56:57], v[48:49]
	v_mov_b32_e32 v30, 0
	v_mov_b32_e32 v31, 0
	s_and_saveexec_b64 s[28:29], vcc
	s_cbranch_execz .LBB6_5008
; %bb.5001:                             ;   in Loop: Header=BB6_4748 Depth=3
	v_lshrrev_b32_e32 v0, 24, v49
	v_cmp_ne_u32_e32 vcc, s44, v0
	v_bfrev_b32_e32 v31, 1
	s_and_saveexec_b64 s[30:31], vcc
	s_cbranch_execz .LBB6_5007
; %bb.5002:                             ;   in Loop: Header=BB6_4748 Depth=3
	v_and_b32_e32 v31, 0x7c000000, v49
	v_bfe_u32 v32, v49, 24, 2
	v_cmp_ne_u32_e32 vcc, s8, v31
                                        ; implicit-def: $vgpr31
	s_and_saveexec_b64 s[34:35], vcc
	s_xor_b64 s[34:35], exec, s[34:35]
	s_cbranch_execz .LBB6_5004
; %bb.5003:                             ;   in Loop: Header=BB6_4748 Depth=3
	v_ffbh_u32_e32 v33, v32
	v_min_u32_e32 v33, 32, v33
	v_subrev_u32_e32 v35, 29, v33
	v_lshlrev_b64 v[52:53], v35, v[0:1]
	v_bfe_u32 v31, v49, 26, 5
	v_sub_u32_e32 v0, 30, v33
	v_and_b32_e32 v33, 3, v52
	v_cmp_eq_u32_e32 vcc, 0, v31
	v_cndmask_b32_e32 v0, v31, v0, vcc
	v_cndmask_b32_e32 v31, v32, v33, vcc
	v_and_b32_e32 v32, 0x80000000, v49
	v_lshl_add_u32 v0, v0, 23, v32
	v_lshl_or_b32 v0, v31, 21, v0
	v_add_u32_e32 v31, 0x38000000, v0
                                        ; implicit-def: $vgpr32
.LBB6_5004:                             ;   in Loop: Header=BB6_4748 Depth=3
	s_andn2_saveexec_b64 s[34:35], s[34:35]
; %bb.5005:                             ;   in Loop: Header=BB6_4748 Depth=3
	v_cmp_lt_i64_e32 vcc, -1, v[48:49]
	v_mov_b32_e32 v0, 0xff800000
	v_mov_b32_e32 v31, 0x7f800000
	v_cndmask_b32_e32 v0, v0, v31, vcc
	v_cmp_eq_u32_e32 vcc, 0, v32
	v_mov_b32_e32 v31, 0x7f800001
	v_cndmask_b32_e32 v31, v31, v0, vcc
; %bb.5006:                             ;   in Loop: Header=BB6_4748 Depth=3
	s_or_b64 exec, exec, s[34:35]
.LBB6_5007:                             ;   in Loop: Header=BB6_4748 Depth=3
	s_or_b64 exec, exec, s[30:31]
.LBB6_5008:                             ;   in Loop: Header=BB6_4748 Depth=3
	s_or_b64 exec, exec, s[28:29]
	v_cmp_lt_u64_e32 vcc, s[56:57], v[36:37]
	s_and_saveexec_b64 s[28:29], vcc
	s_cbranch_execz .LBB6_5016
; %bb.5009:                             ;   in Loop: Header=BB6_4748 Depth=3
	v_lshrrev_b32_e32 v0, 24, v37
	v_cmp_ne_u32_e32 vcc, s44, v0
	v_bfrev_b32_e32 v30, 1
	s_and_saveexec_b64 s[30:31], vcc
	s_cbranch_execz .LBB6_5015
; %bb.5010:                             ;   in Loop: Header=BB6_4748 Depth=3
	v_and_b32_e32 v30, 0x7c000000, v37
	v_bfe_u32 v32, v37, 24, 2
	v_cmp_ne_u32_e32 vcc, s8, v30
                                        ; implicit-def: $vgpr30
	s_and_saveexec_b64 s[34:35], vcc
	s_xor_b64 s[34:35], exec, s[34:35]
	s_cbranch_execz .LBB6_5012
; %bb.5011:                             ;   in Loop: Header=BB6_4748 Depth=3
	v_ffbh_u32_e32 v33, v32
	v_min_u32_e32 v33, 32, v33
	v_subrev_u32_e32 v35, 29, v33
	v_lshlrev_b64 v[48:49], v35, v[0:1]
	v_bfe_u32 v30, v37, 26, 5
	v_sub_u32_e32 v0, 30, v33
	v_and_b32_e32 v33, 3, v48
	v_cmp_eq_u32_e32 vcc, 0, v30
	v_cndmask_b32_e32 v0, v30, v0, vcc
	v_cndmask_b32_e32 v30, v32, v33, vcc
	v_and_b32_e32 v32, 0x80000000, v37
	v_lshl_add_u32 v0, v0, 23, v32
	v_lshl_or_b32 v0, v30, 21, v0
	v_add_u32_e32 v30, 0x38000000, v0
                                        ; implicit-def: $vgpr32
.LBB6_5012:                             ;   in Loop: Header=BB6_4748 Depth=3
	s_andn2_saveexec_b64 s[34:35], s[34:35]
; %bb.5013:                             ;   in Loop: Header=BB6_4748 Depth=3
	v_cmp_lt_i64_e32 vcc, -1, v[36:37]
	v_mov_b32_e32 v0, 0xff800000
	v_mov_b32_e32 v30, 0x7f800000
	v_cndmask_b32_e32 v0, v0, v30, vcc
	v_cmp_eq_u32_e32 vcc, 0, v32
	v_mov_b32_e32 v30, 0x7f800001
	v_cndmask_b32_e32 v30, v30, v0, vcc
; %bb.5014:                             ;   in Loop: Header=BB6_4748 Depth=3
	s_or_b64 exec, exec, s[34:35]
.LBB6_5015:                             ;   in Loop: Header=BB6_4748 Depth=3
	s_or_b64 exec, exec, s[30:31]
.LBB6_5016:                             ;   in Loop: Header=BB6_4748 Depth=3
	s_or_b64 exec, exec, s[28:29]
	v_mul_f32_e32 v32, v31, v30
	v_and_b32_e32 v35, 0x7f800000, v32
	v_mov_b32_e32 v36, v34
	v_cmp_ne_u64_e32 vcc, s[76:77], v[35:36]
	v_and_b32_e32 v30, 0x7fffff, v32
	v_mov_b32_e32 v31, v34
                                        ; implicit-def: $vgpr0
                                        ; kill: killed $vgpr0
	s_and_saveexec_b64 s[28:29], vcc
	s_xor_b64 s[30:31], exec, s[28:29]
	s_cbranch_execz .LBB6_5030
; %bb.5017:                             ;   in Loop: Header=BB6_4748 Depth=3
	v_and_b32_e32 v35, 0x7fffffff, v32
	v_mov_b32_e32 v36, v34
	v_cmp_gt_u64_e32 vcc, s[78:79], v[35:36]
	v_and_b32_sdwa v0, v32, s44 dst_sel:DWORD dst_unused:UNUSED_PAD src0_sel:BYTE_3 src1_sel:DWORD
                                        ; implicit-def: $vgpr33
                                        ; kill: killed $vgpr33
	s_and_saveexec_b64 s[28:29], vcc
	s_xor_b64 s[34:35], exec, s[28:29]
	s_cbranch_execz .LBB6_5027
; %bb.5018:                             ;   in Loop: Header=BB6_4748 Depth=3
	v_mov_b32_e32 v33, 0
	v_cmp_ne_u32_e32 vcc, 0, v32
	buffer_store_dword v33, off, s[0:3], s33 offset:136 ; 4-byte Folded Spill
	s_and_saveexec_b64 s[36:37], vcc
	s_cbranch_execz .LBB6_5026
; %bb.5019:                             ;   in Loop: Header=BB6_4748 Depth=3
	v_bfe_u32 v33, v32, 23, 8
	v_cmp_gt_u32_e64 s[28:29], s45, v33
	v_sub_u32_e32 v32, 0x71, v33
	v_cmp_eq_u32_e32 vcc, 0, v33
	v_cndmask_b32_e64 v32, 0, v32, s[28:29]
	v_mov_b32_e32 v35, 0x70
	v_cndmask_b32_e32 v35, v32, v35, vcc
	v_or_b32_e32 v36, 0x800000, v30
	v_add_u32_e32 v32, 21, v35
	v_cndmask_b32_e32 v30, v36, v30, vcc
	v_lshlrev_b64 v[36:37], v32, -1
	v_add_u32_e32 v32, 20, v35
	v_bfi_b32 v36, v36, 0, v30
	v_lshlrev_b64 v[48:49], v32, 1
	v_lshrrev_b64 v[30:31], v35, v[30:31]
	v_bfi_b32 v37, v37, 0, 0
	v_cmp_eq_u64_e64 s[28:29], v[36:37], v[48:49]
	v_mov_b32_e32 v32, v31
	v_mov_b32_e32 v31, v30
	s_and_saveexec_b64 s[38:39], s[28:29]
; %bb.5020:                             ;   in Loop: Header=BB6_4748 Depth=3
	v_bfe_u32 v31, v30, 21, 1
	v_add_co_u32_e64 v31, s[28:29], v30, v31
	v_add_co_u32_e64 v31, s[28:29], -1, v31
; %bb.5021:                             ;   in Loop: Header=BB6_4748 Depth=3
	s_or_b64 exec, exec, s[38:39]
	v_add_u32_e32 v32, 0xffffff81, v33
	v_mov_b32_e32 v33, 0xffffff82
	v_cndmask_b32_e32 v32, v32, v33, vcc
	v_lshrrev_b32_e32 v33, 23, v30
	v_add3_u32 v35, v35, v32, v33
	v_add_u32_e32 v33, 14, v35
	v_and_b32_e32 v31, 0x1fffff, v31
	v_add_u32_e32 v30, v31, v30
	v_mov_b32_e32 v31, v34
	v_cmp_ne_u32_e32 vcc, 0, v33
                                        ; implicit-def: $vgpr32
	s_and_saveexec_b64 s[28:29], vcc
	s_xor_b64 s[28:29], exec, s[28:29]
; %bb.5022:                             ;   in Loop: Header=BB6_4748 Depth=3
	v_cmp_lt_u64_e32 vcc, s[88:89], v[30:31]
	v_add_u32_e32 v32, 15, v35
	v_cndmask_b32_e32 v32, v33, v32, vcc
	v_cndmask_b32_e64 v33, 0, 1, vcc
	v_lshrrev_b64 v[30:31], v33, v[30:31]
; %bb.5023:                             ;   in Loop: Header=BB6_4748 Depth=3
	s_andn2_saveexec_b64 s[28:29], s[28:29]
; %bb.5024:                             ;   in Loop: Header=BB6_4748 Depth=3
	v_bfe_u32 v32, v30, 23, 1
; %bb.5025:                             ;   in Loop: Header=BB6_4748 Depth=3
	s_or_b64 exec, exec, s[28:29]
	v_lshrrev_b64 v[30:31], 21, v[30:31]
	v_cmp_gt_i32_e32 vcc, 32, v32
	v_cndmask_b32_e32 v31, 0, v31, vcc
	v_cndmask_b32_e32 v30, 3, v30, vcc
	v_cmp_eq_u64_e64 s[28:29], 0, v[30:31]
	v_min_i32_e32 v31, 31, v32
	v_lshlrev_b32_e32 v31, 2, v31
	v_cmp_eq_u32_e32 vcc, 0, v32
	v_and_b32_e32 v31, 0xfc, v31
	v_and_or_b32 v30, v30, 3, v31
	s_and_b64 s[28:29], vcc, s[28:29]
	v_cndmask_b32_e64 v30, v30, 0, s[28:29]
	v_or_b32_e32 v0, v30, v0
	buffer_store_dword v0, off, s[0:3], s33 offset:136 ; 4-byte Folded Spill
.LBB6_5026:                             ;   in Loop: Header=BB6_4748 Depth=3
	s_or_b64 exec, exec, s[36:37]
                                        ; implicit-def: $vgpr0
.LBB6_5027:                             ;   in Loop: Header=BB6_4748 Depth=3
	s_andn2_saveexec_b64 s[28:29], s[34:35]
	s_cbranch_execz .LBB6_5029
; %bb.5028:                             ;   in Loop: Header=BB6_4748 Depth=3
	v_or_b32_e32 v0, 0x7b, v0
	buffer_store_dword v0, off, s[0:3], s33 offset:136 ; 4-byte Folded Spill
.LBB6_5029:                             ;   in Loop: Header=BB6_4748 Depth=3
	s_or_b64 exec, exec, s[28:29]
                                        ; implicit-def: $vgpr32
                                        ; implicit-def: $vgpr30_vgpr31
.LBB6_5030:                             ;   in Loop: Header=BB6_4748 Depth=3
	s_andn2_saveexec_b64 s[28:29], s[30:31]
	s_cbranch_execz .LBB6_5036
; %bb.5031:                             ;   in Loop: Header=BB6_4748 Depth=3
	v_cmp_ne_u64_e32 vcc, 0, v[30:31]
                                        ; implicit-def: $vgpr0
                                        ; kill: killed $vgpr0
	s_and_saveexec_b64 s[30:31], vcc
	s_xor_b64 vcc, exec, s[30:31]
	s_cbranch_execz .LBB6_5033
; %bb.5032:                             ;   in Loop: Header=BB6_4748 Depth=3
	v_or_b32_sdwa v0, v32, s83 dst_sel:DWORD dst_unused:UNUSED_PAD src0_sel:BYTE_3 src1_sel:DWORD
	buffer_store_dword v0, off, s[0:3], s33 offset:136 ; 4-byte Folded Spill
                                        ; implicit-def: $vgpr32
.LBB6_5033:                             ;   in Loop: Header=BB6_4748 Depth=3
	s_andn2_saveexec_b64 s[30:31], vcc
	s_cbranch_execz .LBB6_5035
; %bb.5034:                             ;   in Loop: Header=BB6_4748 Depth=3
	v_cmp_lt_i32_e32 vcc, -1, v32
	v_bfrev_b32_e32 v0, 0.5
	v_mov_b32_e32 v30, 0x7c
	v_cndmask_b32_e32 v0, v0, v30, vcc
	buffer_store_dword v0, off, s[0:3], s33 offset:136 ; 4-byte Folded Spill
.LBB6_5035:                             ;   in Loop: Header=BB6_4748 Depth=3
	s_or_b64 exec, exec, s[30:31]
.LBB6_5036:                             ;   in Loop: Header=BB6_4748 Depth=3
	s_or_b64 exec, exec, s[28:29]
	v_cmp_ne_u16_sdwa vcc, v50, v34 src0_sel:BYTE_0 src1_sel:DWORD
	v_mov_b32_e32 v0, 0
	v_mov_b32_e32 v30, 0
	s_and_saveexec_b64 s[28:29], vcc
	s_cbranch_execz .LBB6_5044
; %bb.5037:                             ;   in Loop: Header=BB6_4748 Depth=3
	v_cmp_ne_u16_sdwa vcc, sext(v50), s80 src0_sel:BYTE_0 src1_sel:DWORD
	v_bfrev_b32_e32 v30, 1
	s_and_saveexec_b64 s[30:31], vcc
	s_cbranch_execz .LBB6_5043
; %bb.5038:                             ;   in Loop: Header=BB6_4748 Depth=3
	v_and_b32_e32 v30, 0x7c, v50
	v_and_b32_e32 v31, 3, v50
	v_cmp_ne_u32_e32 vcc, s81, v30
                                        ; implicit-def: $vgpr30
	s_and_saveexec_b64 s[34:35], vcc
	s_xor_b64 s[34:35], exec, s[34:35]
	s_cbranch_execz .LBB6_5040
; %bb.5039:                             ;   in Loop: Header=BB6_4748 Depth=3
	v_ffbh_u32_e32 v32, v31
	v_min_u32_e32 v35, 32, v32
	v_subrev_u32_e32 v32, 29, v35
	v_lshlrev_b64 v[32:33], v32, v[50:51]
	v_bfe_u32 v30, v50, 2, 5
	v_and_b32_e32 v32, 3, v32
	v_cmp_eq_u32_e32 vcc, 0, v30
	v_sub_u32_e32 v33, 30, v35
	v_cndmask_b32_e32 v31, v31, v32, vcc
	v_lshlrev_b32_e32 v32, 24, v50
	v_cndmask_b32_e32 v30, v30, v33, vcc
	v_and_b32_e32 v32, 0x80000000, v32
	v_lshl_add_u32 v30, v30, 23, v32
	v_lshl_or_b32 v30, v31, 21, v30
	v_add_u32_e32 v30, 0x38000000, v30
                                        ; implicit-def: $vgpr31
.LBB6_5040:                             ;   in Loop: Header=BB6_4748 Depth=3
	s_andn2_saveexec_b64 s[34:35], s[34:35]
; %bb.5041:                             ;   in Loop: Header=BB6_4748 Depth=3
	v_mov_b32_e32 v30, -1
	v_cmp_gt_i16_sdwa vcc, sext(v50), v30 src0_sel:BYTE_0 src1_sel:DWORD
	v_mov_b32_e32 v30, 0xff800000
	v_mov_b32_e32 v32, 0x7f800000
	v_cndmask_b32_e32 v30, v30, v32, vcc
	v_cmp_eq_u32_e32 vcc, 0, v31
	v_mov_b32_e32 v31, 0x7f800001
	v_cndmask_b32_e32 v30, v31, v30, vcc
; %bb.5042:                             ;   in Loop: Header=BB6_4748 Depth=3
	s_or_b64 exec, exec, s[34:35]
.LBB6_5043:                             ;   in Loop: Header=BB6_4748 Depth=3
	s_or_b64 exec, exec, s[30:31]
.LBB6_5044:                             ;   in Loop: Header=BB6_4748 Depth=3
	s_or_b64 exec, exec, s[28:29]
	v_cmp_ne_u16_sdwa vcc, v38, v34 src0_sel:BYTE_0 src1_sel:DWORD
	s_and_saveexec_b64 s[28:29], vcc
	s_cbranch_execz .LBB6_5052
; %bb.5045:                             ;   in Loop: Header=BB6_4748 Depth=3
	v_cmp_ne_u16_sdwa vcc, sext(v38), s80 src0_sel:BYTE_0 src1_sel:DWORD
	v_bfrev_b32_e32 v0, 1
	s_and_saveexec_b64 s[30:31], vcc
	s_cbranch_execz .LBB6_5051
; %bb.5046:                             ;   in Loop: Header=BB6_4748 Depth=3
	v_and_b32_e32 v0, 0x7c, v38
	v_and_b32_e32 v31, 3, v38
	v_cmp_ne_u32_e32 vcc, s81, v0
                                        ; implicit-def: $vgpr0
	s_and_saveexec_b64 s[34:35], vcc
	s_xor_b64 s[34:35], exec, s[34:35]
	s_cbranch_execz .LBB6_5048
; %bb.5047:                             ;   in Loop: Header=BB6_4748 Depth=3
	v_ffbh_u32_e32 v32, v31
	v_min_u32_e32 v35, 32, v32
	v_subrev_u32_e32 v32, 29, v35
	v_lshlrev_b64 v[32:33], v32, v[38:39]
	v_bfe_u32 v0, v38, 2, 5
	v_and_b32_e32 v32, 3, v32
	v_cmp_eq_u32_e32 vcc, 0, v0
	v_sub_u32_e32 v33, 30, v35
	v_cndmask_b32_e32 v31, v31, v32, vcc
	v_lshlrev_b32_e32 v32, 24, v38
	v_cndmask_b32_e32 v0, v0, v33, vcc
	v_and_b32_e32 v32, 0x80000000, v32
	v_lshl_add_u32 v0, v0, 23, v32
	v_lshl_or_b32 v0, v31, 21, v0
	v_add_u32_e32 v0, 0x38000000, v0
                                        ; implicit-def: $vgpr31
.LBB6_5048:                             ;   in Loop: Header=BB6_4748 Depth=3
	s_andn2_saveexec_b64 s[34:35], s[34:35]
; %bb.5049:                             ;   in Loop: Header=BB6_4748 Depth=3
	v_mov_b32_e32 v0, -1
	v_cmp_gt_i16_sdwa vcc, sext(v38), v0 src0_sel:BYTE_0 src1_sel:DWORD
	v_mov_b32_e32 v0, 0xff800000
	v_mov_b32_e32 v32, 0x7f800000
	v_cndmask_b32_e32 v0, v0, v32, vcc
	v_cmp_eq_u32_e32 vcc, 0, v31
	v_mov_b32_e32 v31, 0x7f800001
	v_cndmask_b32_e32 v0, v31, v0, vcc
; %bb.5050:                             ;   in Loop: Header=BB6_4748 Depth=3
	s_or_b64 exec, exec, s[34:35]
.LBB6_5051:                             ;   in Loop: Header=BB6_4748 Depth=3
	s_or_b64 exec, exec, s[30:31]
.LBB6_5052:                             ;   in Loop: Header=BB6_4748 Depth=3
	s_or_b64 exec, exec, s[28:29]
	v_mul_f32_e32 v32, v30, v0
	v_and_b32_e32 v35, 0x7f800000, v32
	v_mov_b32_e32 v36, v34
	v_cmp_ne_u64_e32 vcc, s[76:77], v[35:36]
	v_and_b32_e32 v30, 0x7fffff, v32
	v_mov_b32_e32 v31, v34
                                        ; implicit-def: $vgpr0
                                        ; kill: killed $vgpr0
	s_and_saveexec_b64 s[28:29], vcc
	s_xor_b64 s[30:31], exec, s[28:29]
	s_cbranch_execz .LBB6_5066
; %bb.5053:                             ;   in Loop: Header=BB6_4748 Depth=3
	v_and_b32_e32 v35, 0x7fffffff, v32
	v_mov_b32_e32 v36, v34
	v_cmp_gt_u64_e32 vcc, s[78:79], v[35:36]
	v_and_b32_sdwa v0, v32, s44 dst_sel:DWORD dst_unused:UNUSED_PAD src0_sel:BYTE_3 src1_sel:DWORD
                                        ; implicit-def: $vgpr33
                                        ; kill: killed $vgpr33
	s_and_saveexec_b64 s[28:29], vcc
	s_xor_b64 s[34:35], exec, s[28:29]
	s_cbranch_execz .LBB6_5063
; %bb.5054:                             ;   in Loop: Header=BB6_4748 Depth=3
	v_mov_b32_e32 v33, 0
	v_cmp_ne_u32_e32 vcc, 0, v32
	buffer_store_dword v33, off, s[0:3], s33 offset:144 ; 4-byte Folded Spill
	s_and_saveexec_b64 s[36:37], vcc
	s_cbranch_execz .LBB6_5062
; %bb.5055:                             ;   in Loop: Header=BB6_4748 Depth=3
	v_bfe_u32 v33, v32, 23, 8
	v_cmp_gt_u32_e64 s[28:29], s45, v33
	v_sub_u32_e32 v32, 0x71, v33
	v_cmp_eq_u32_e32 vcc, 0, v33
	v_cndmask_b32_e64 v32, 0, v32, s[28:29]
	v_mov_b32_e32 v35, 0x70
	v_cndmask_b32_e32 v35, v32, v35, vcc
	v_or_b32_e32 v36, 0x800000, v30
	v_add_u32_e32 v32, 21, v35
	v_cndmask_b32_e32 v30, v36, v30, vcc
	v_lshlrev_b64 v[36:37], v32, -1
	v_add_u32_e32 v32, 20, v35
	v_bfi_b32 v36, v36, 0, v30
	v_lshlrev_b64 v[48:49], v32, 1
	v_lshrrev_b64 v[30:31], v35, v[30:31]
	v_bfi_b32 v37, v37, 0, 0
	v_cmp_eq_u64_e64 s[28:29], v[36:37], v[48:49]
	v_mov_b32_e32 v32, v31
	v_mov_b32_e32 v31, v30
	s_and_saveexec_b64 s[38:39], s[28:29]
; %bb.5056:                             ;   in Loop: Header=BB6_4748 Depth=3
	v_bfe_u32 v31, v30, 21, 1
	v_add_co_u32_e64 v31, s[28:29], v30, v31
	v_add_co_u32_e64 v31, s[28:29], -1, v31
; %bb.5057:                             ;   in Loop: Header=BB6_4748 Depth=3
	s_or_b64 exec, exec, s[38:39]
	v_add_u32_e32 v32, 0xffffff81, v33
	v_mov_b32_e32 v33, 0xffffff82
	v_cndmask_b32_e32 v32, v32, v33, vcc
	v_lshrrev_b32_e32 v33, 23, v30
	v_add3_u32 v35, v35, v32, v33
	v_add_u32_e32 v33, 14, v35
	v_and_b32_e32 v31, 0x1fffff, v31
	v_add_u32_e32 v30, v31, v30
	v_mov_b32_e32 v31, v34
	v_cmp_ne_u32_e32 vcc, 0, v33
                                        ; implicit-def: $vgpr32
	s_and_saveexec_b64 s[28:29], vcc
	s_xor_b64 s[28:29], exec, s[28:29]
; %bb.5058:                             ;   in Loop: Header=BB6_4748 Depth=3
	v_cmp_lt_u64_e32 vcc, s[88:89], v[30:31]
	v_add_u32_e32 v32, 15, v35
	v_cndmask_b32_e32 v32, v33, v32, vcc
	v_cndmask_b32_e64 v33, 0, 1, vcc
	v_lshrrev_b64 v[30:31], v33, v[30:31]
; %bb.5059:                             ;   in Loop: Header=BB6_4748 Depth=3
	s_andn2_saveexec_b64 s[28:29], s[28:29]
; %bb.5060:                             ;   in Loop: Header=BB6_4748 Depth=3
	v_bfe_u32 v32, v30, 23, 1
; %bb.5061:                             ;   in Loop: Header=BB6_4748 Depth=3
	s_or_b64 exec, exec, s[28:29]
	v_lshrrev_b64 v[30:31], 21, v[30:31]
	v_cmp_gt_i32_e32 vcc, 32, v32
	v_cndmask_b32_e32 v31, 0, v31, vcc
	v_cndmask_b32_e32 v30, 3, v30, vcc
	v_cmp_eq_u64_e64 s[28:29], 0, v[30:31]
	v_min_i32_e32 v31, 31, v32
	v_lshlrev_b32_e32 v31, 2, v31
	v_cmp_eq_u32_e32 vcc, 0, v32
	v_and_b32_e32 v31, 0xfc, v31
	v_and_or_b32 v30, v30, 3, v31
	s_and_b64 s[28:29], vcc, s[28:29]
	v_cndmask_b32_e64 v30, v30, 0, s[28:29]
	v_or_b32_e32 v0, v30, v0
	buffer_store_dword v0, off, s[0:3], s33 offset:144 ; 4-byte Folded Spill
.LBB6_5062:                             ;   in Loop: Header=BB6_4748 Depth=3
	s_or_b64 exec, exec, s[36:37]
                                        ; implicit-def: $vgpr0
.LBB6_5063:                             ;   in Loop: Header=BB6_4748 Depth=3
	s_andn2_saveexec_b64 s[28:29], s[34:35]
	s_cbranch_execz .LBB6_5065
; %bb.5064:                             ;   in Loop: Header=BB6_4748 Depth=3
	v_or_b32_e32 v0, 0x7b, v0
	buffer_store_dword v0, off, s[0:3], s33 offset:144 ; 4-byte Folded Spill
.LBB6_5065:                             ;   in Loop: Header=BB6_4748 Depth=3
	s_or_b64 exec, exec, s[28:29]
                                        ; implicit-def: $vgpr32
                                        ; implicit-def: $vgpr30_vgpr31
.LBB6_5066:                             ;   in Loop: Header=BB6_4748 Depth=3
	s_andn2_saveexec_b64 s[28:29], s[30:31]
	s_cbranch_execz .LBB6_5072
; %bb.5067:                             ;   in Loop: Header=BB6_4748 Depth=3
	v_cmp_ne_u64_e32 vcc, 0, v[30:31]
                                        ; implicit-def: $vgpr0
                                        ; kill: killed $vgpr0
	s_and_saveexec_b64 s[30:31], vcc
	s_xor_b64 vcc, exec, s[30:31]
	s_cbranch_execz .LBB6_5069
; %bb.5068:                             ;   in Loop: Header=BB6_4748 Depth=3
	v_or_b32_sdwa v0, v32, s83 dst_sel:DWORD dst_unused:UNUSED_PAD src0_sel:BYTE_3 src1_sel:DWORD
	buffer_store_dword v0, off, s[0:3], s33 offset:144 ; 4-byte Folded Spill
                                        ; implicit-def: $vgpr32
.LBB6_5069:                             ;   in Loop: Header=BB6_4748 Depth=3
	s_andn2_saveexec_b64 s[30:31], vcc
	s_cbranch_execz .LBB6_5071
; %bb.5070:                             ;   in Loop: Header=BB6_4748 Depth=3
	v_cmp_lt_i32_e32 vcc, -1, v32
	v_bfrev_b32_e32 v0, 0.5
	v_mov_b32_e32 v30, 0x7c
	v_cndmask_b32_e32 v0, v0, v30, vcc
	buffer_store_dword v0, off, s[0:3], s33 offset:144 ; 4-byte Folded Spill
.LBB6_5071:                             ;   in Loop: Header=BB6_4748 Depth=3
	s_or_b64 exec, exec, s[30:31]
.LBB6_5072:                             ;   in Loop: Header=BB6_4748 Depth=3
	s_or_b64 exec, exec, s[28:29]
	v_lshrrev_b16_e32 v30, 8, v50
	v_cmp_ne_u16_e32 vcc, 0, v30
	v_mov_b32_e32 v0, 0
	v_mov_b32_e32 v32, 0
	s_and_saveexec_b64 s[28:29], vcc
	s_cbranch_execz .LBB6_5080
; %bb.5073:                             ;   in Loop: Header=BB6_4748 Depth=3
	v_cmp_ne_u16_e32 vcc, s44, v30
	v_bfrev_b32_e32 v32, 1
	s_and_saveexec_b64 s[30:31], vcc
	s_cbranch_execz .LBB6_5079
; %bb.5074:                             ;   in Loop: Header=BB6_4748 Depth=3
	v_and_b32_e32 v31, 0x7c, v30
	v_and_b32_e32 v33, 3, v30
	v_cmp_ne_u32_e32 vcc, s81, v31
                                        ; implicit-def: $vgpr32
	s_and_saveexec_b64 s[34:35], vcc
	s_xor_b64 s[34:35], exec, s[34:35]
	s_cbranch_execz .LBB6_5076
; %bb.5075:                             ;   in Loop: Header=BB6_4748 Depth=3
	v_ffbh_u32_e32 v35, v33
	v_min_u32_e32 v35, 32, v35
	v_mov_b32_e32 v31, v34
	v_subrev_u32_e32 v36, 29, v35
	v_bfe_u32 v32, v30, 2, 5
	v_lshlrev_b64 v[30:31], v36, v[30:31]
	v_sub_u32_e32 v31, 30, v35
	v_cmp_eq_u32_e32 vcc, 0, v32
	v_cndmask_b32_e32 v31, v32, v31, vcc
	v_lshlrev_b32_e32 v32, 16, v50
	v_and_b32_e32 v30, 3, v30
	v_and_b32_e32 v32, 0x80000000, v32
	v_cndmask_b32_e32 v30, v33, v30, vcc
	v_lshl_add_u32 v31, v31, 23, v32
	v_lshl_or_b32 v30, v30, 21, v31
	v_add_u32_e32 v32, 0x38000000, v30
                                        ; implicit-def: $vgpr33
.LBB6_5076:                             ;   in Loop: Header=BB6_4748 Depth=3
	s_andn2_saveexec_b64 s[34:35], s[34:35]
; %bb.5077:                             ;   in Loop: Header=BB6_4748 Depth=3
	v_cmp_lt_i16_e32 vcc, -1, v50
	v_mov_b32_e32 v30, 0xff800000
	v_mov_b32_e32 v31, 0x7f800000
	v_cndmask_b32_e32 v30, v30, v31, vcc
	v_cmp_eq_u32_e32 vcc, 0, v33
	v_mov_b32_e32 v31, 0x7f800001
	v_cndmask_b32_e32 v32, v31, v30, vcc
; %bb.5078:                             ;   in Loop: Header=BB6_4748 Depth=3
	s_or_b64 exec, exec, s[34:35]
.LBB6_5079:                             ;   in Loop: Header=BB6_4748 Depth=3
	s_or_b64 exec, exec, s[30:31]
.LBB6_5080:                             ;   in Loop: Header=BB6_4748 Depth=3
	s_or_b64 exec, exec, s[28:29]
	v_lshrrev_b16_e32 v30, 8, v38
	v_cmp_ne_u16_e32 vcc, 0, v30
	s_and_saveexec_b64 s[28:29], vcc
	s_cbranch_execz .LBB6_5088
; %bb.5081:                             ;   in Loop: Header=BB6_4748 Depth=3
	v_cmp_ne_u16_e32 vcc, s44, v30
	v_bfrev_b32_e32 v0, 1
	s_and_saveexec_b64 s[30:31], vcc
	s_cbranch_execz .LBB6_5087
; %bb.5082:                             ;   in Loop: Header=BB6_4748 Depth=3
	v_and_b32_e32 v0, 0x7c, v30
	v_and_b32_e32 v33, 3, v30
	v_cmp_ne_u32_e32 vcc, s81, v0
                                        ; implicit-def: $vgpr0
	s_and_saveexec_b64 s[34:35], vcc
	s_xor_b64 s[34:35], exec, s[34:35]
	s_cbranch_execz .LBB6_5084
; %bb.5083:                             ;   in Loop: Header=BB6_4748 Depth=3
	v_ffbh_u32_e32 v35, v33
	v_min_u32_e32 v35, 32, v35
	v_mov_b32_e32 v31, v34
	v_subrev_u32_e32 v36, 29, v35
	v_bfe_u32 v0, v30, 2, 5
	v_lshlrev_b64 v[30:31], v36, v[30:31]
	v_sub_u32_e32 v31, 30, v35
	v_cmp_eq_u32_e32 vcc, 0, v0
	v_cndmask_b32_e32 v0, v0, v31, vcc
	v_lshlrev_b32_e32 v31, 16, v38
	v_and_b32_e32 v30, 3, v30
	v_and_b32_e32 v31, 0x80000000, v31
	v_cndmask_b32_e32 v30, v33, v30, vcc
	v_lshl_add_u32 v0, v0, 23, v31
	v_lshl_or_b32 v0, v30, 21, v0
	v_add_u32_e32 v0, 0x38000000, v0
                                        ; implicit-def: $vgpr33
.LBB6_5084:                             ;   in Loop: Header=BB6_4748 Depth=3
	s_andn2_saveexec_b64 s[34:35], s[34:35]
; %bb.5085:                             ;   in Loop: Header=BB6_4748 Depth=3
	v_cmp_lt_i16_e32 vcc, -1, v38
	v_mov_b32_e32 v0, 0xff800000
	v_mov_b32_e32 v30, 0x7f800000
	v_cndmask_b32_e32 v0, v0, v30, vcc
	v_cmp_eq_u32_e32 vcc, 0, v33
	v_mov_b32_e32 v30, 0x7f800001
	v_cndmask_b32_e32 v0, v30, v0, vcc
; %bb.5086:                             ;   in Loop: Header=BB6_4748 Depth=3
	s_or_b64 exec, exec, s[34:35]
.LBB6_5087:                             ;   in Loop: Header=BB6_4748 Depth=3
	s_or_b64 exec, exec, s[30:31]
.LBB6_5088:                             ;   in Loop: Header=BB6_4748 Depth=3
	s_or_b64 exec, exec, s[28:29]
	v_mul_f32_e32 v32, v32, v0
	v_and_b32_e32 v35, 0x7f800000, v32
	v_mov_b32_e32 v36, v34
	v_cmp_ne_u64_e32 vcc, s[76:77], v[35:36]
	v_and_b32_e32 v30, 0x7fffff, v32
	v_mov_b32_e32 v31, v34
                                        ; implicit-def: $vgpr0
                                        ; kill: killed $vgpr0
	s_and_saveexec_b64 s[28:29], vcc
	s_xor_b64 s[30:31], exec, s[28:29]
	s_cbranch_execz .LBB6_5102
; %bb.5089:                             ;   in Loop: Header=BB6_4748 Depth=3
	v_and_b32_e32 v35, 0x7fffffff, v32
	v_mov_b32_e32 v36, v34
	v_cmp_gt_u64_e32 vcc, s[78:79], v[35:36]
	v_and_b32_sdwa v0, v32, s44 dst_sel:DWORD dst_unused:UNUSED_PAD src0_sel:BYTE_3 src1_sel:DWORD
                                        ; implicit-def: $vgpr33
                                        ; kill: killed $vgpr33
	s_and_saveexec_b64 s[28:29], vcc
	s_xor_b64 s[34:35], exec, s[28:29]
	s_cbranch_execz .LBB6_5099
; %bb.5090:                             ;   in Loop: Header=BB6_4748 Depth=3
	v_mov_b32_e32 v33, 0
	v_cmp_ne_u32_e32 vcc, 0, v32
	buffer_store_dword v33, off, s[0:3], s33 offset:152 ; 4-byte Folded Spill
	s_and_saveexec_b64 s[36:37], vcc
	s_cbranch_execz .LBB6_5098
; %bb.5091:                             ;   in Loop: Header=BB6_4748 Depth=3
	v_bfe_u32 v33, v32, 23, 8
	v_cmp_gt_u32_e64 s[28:29], s45, v33
	v_sub_u32_e32 v32, 0x71, v33
	v_cmp_eq_u32_e32 vcc, 0, v33
	v_cndmask_b32_e64 v32, 0, v32, s[28:29]
	v_mov_b32_e32 v35, 0x70
	v_cndmask_b32_e32 v35, v32, v35, vcc
	v_or_b32_e32 v36, 0x800000, v30
	v_add_u32_e32 v32, 21, v35
	v_cndmask_b32_e32 v30, v36, v30, vcc
	v_lshlrev_b64 v[36:37], v32, -1
	v_add_u32_e32 v32, 20, v35
	v_bfi_b32 v36, v36, 0, v30
	v_lshlrev_b64 v[48:49], v32, 1
	v_lshrrev_b64 v[30:31], v35, v[30:31]
	v_bfi_b32 v37, v37, 0, 0
	v_cmp_eq_u64_e64 s[28:29], v[36:37], v[48:49]
	v_mov_b32_e32 v32, v31
	v_mov_b32_e32 v31, v30
	s_and_saveexec_b64 s[38:39], s[28:29]
; %bb.5092:                             ;   in Loop: Header=BB6_4748 Depth=3
	v_bfe_u32 v31, v30, 21, 1
	v_add_co_u32_e64 v31, s[28:29], v30, v31
	v_add_co_u32_e64 v31, s[28:29], -1, v31
; %bb.5093:                             ;   in Loop: Header=BB6_4748 Depth=3
	s_or_b64 exec, exec, s[38:39]
	v_add_u32_e32 v32, 0xffffff81, v33
	v_mov_b32_e32 v33, 0xffffff82
	v_cndmask_b32_e32 v32, v32, v33, vcc
	v_lshrrev_b32_e32 v33, 23, v30
	v_add3_u32 v35, v35, v32, v33
	v_add_u32_e32 v33, 14, v35
	v_and_b32_e32 v31, 0x1fffff, v31
	v_add_u32_e32 v30, v31, v30
	v_mov_b32_e32 v31, v34
	v_cmp_ne_u32_e32 vcc, 0, v33
                                        ; implicit-def: $vgpr32
	s_and_saveexec_b64 s[28:29], vcc
	s_xor_b64 s[28:29], exec, s[28:29]
; %bb.5094:                             ;   in Loop: Header=BB6_4748 Depth=3
	v_cmp_lt_u64_e32 vcc, s[88:89], v[30:31]
	v_add_u32_e32 v32, 15, v35
	v_cndmask_b32_e32 v32, v33, v32, vcc
	v_cndmask_b32_e64 v33, 0, 1, vcc
	v_lshrrev_b64 v[30:31], v33, v[30:31]
; %bb.5095:                             ;   in Loop: Header=BB6_4748 Depth=3
	s_andn2_saveexec_b64 s[28:29], s[28:29]
; %bb.5096:                             ;   in Loop: Header=BB6_4748 Depth=3
	v_bfe_u32 v32, v30, 23, 1
; %bb.5097:                             ;   in Loop: Header=BB6_4748 Depth=3
	s_or_b64 exec, exec, s[28:29]
	v_lshrrev_b64 v[30:31], 21, v[30:31]
	v_cmp_gt_i32_e32 vcc, 32, v32
	v_cndmask_b32_e32 v31, 0, v31, vcc
	v_cndmask_b32_e32 v30, 3, v30, vcc
	v_cmp_eq_u64_e64 s[28:29], 0, v[30:31]
	v_min_i32_e32 v31, 31, v32
	v_lshlrev_b32_e32 v31, 2, v31
	v_cmp_eq_u32_e32 vcc, 0, v32
	v_and_b32_e32 v31, 0xfc, v31
	v_and_or_b32 v30, v30, 3, v31
	s_and_b64 s[28:29], vcc, s[28:29]
	v_cndmask_b32_e64 v30, v30, 0, s[28:29]
	v_or_b32_e32 v0, v30, v0
	buffer_store_dword v0, off, s[0:3], s33 offset:152 ; 4-byte Folded Spill
.LBB6_5098:                             ;   in Loop: Header=BB6_4748 Depth=3
	s_or_b64 exec, exec, s[36:37]
                                        ; implicit-def: $vgpr0
.LBB6_5099:                             ;   in Loop: Header=BB6_4748 Depth=3
	s_andn2_saveexec_b64 s[28:29], s[34:35]
	s_cbranch_execz .LBB6_5101
; %bb.5100:                             ;   in Loop: Header=BB6_4748 Depth=3
	v_or_b32_e32 v0, 0x7b, v0
	buffer_store_dword v0, off, s[0:3], s33 offset:152 ; 4-byte Folded Spill
.LBB6_5101:                             ;   in Loop: Header=BB6_4748 Depth=3
	s_or_b64 exec, exec, s[28:29]
                                        ; implicit-def: $vgpr32
                                        ; implicit-def: $vgpr30_vgpr31
.LBB6_5102:                             ;   in Loop: Header=BB6_4748 Depth=3
	s_andn2_saveexec_b64 s[28:29], s[30:31]
	s_cbranch_execz .LBB6_5108
; %bb.5103:                             ;   in Loop: Header=BB6_4748 Depth=3
	v_cmp_ne_u64_e32 vcc, 0, v[30:31]
                                        ; implicit-def: $vgpr0
                                        ; kill: killed $vgpr0
	s_and_saveexec_b64 s[30:31], vcc
	s_xor_b64 vcc, exec, s[30:31]
	s_cbranch_execz .LBB6_5105
; %bb.5104:                             ;   in Loop: Header=BB6_4748 Depth=3
	v_or_b32_sdwa v0, v32, s83 dst_sel:DWORD dst_unused:UNUSED_PAD src0_sel:BYTE_3 src1_sel:DWORD
	buffer_store_dword v0, off, s[0:3], s33 offset:152 ; 4-byte Folded Spill
                                        ; implicit-def: $vgpr32
.LBB6_5105:                             ;   in Loop: Header=BB6_4748 Depth=3
	s_andn2_saveexec_b64 s[30:31], vcc
	s_cbranch_execz .LBB6_5107
; %bb.5106:                             ;   in Loop: Header=BB6_4748 Depth=3
	v_cmp_lt_i32_e32 vcc, -1, v32
	v_bfrev_b32_e32 v0, 0.5
	v_mov_b32_e32 v30, 0x7c
	v_cndmask_b32_e32 v0, v0, v30, vcc
	buffer_store_dword v0, off, s[0:3], s33 offset:152 ; 4-byte Folded Spill
.LBB6_5107:                             ;   in Loop: Header=BB6_4748 Depth=3
	s_or_b64 exec, exec, s[30:31]
.LBB6_5108:                             ;   in Loop: Header=BB6_4748 Depth=3
	s_or_b64 exec, exec, s[28:29]
	v_lshrrev_b32_e32 v0, 16, v50
	v_cmp_ne_u16_sdwa vcc, v0, v34 src0_sel:BYTE_0 src1_sel:DWORD
	v_mov_b32_e32 v30, 0
	v_mov_b32_e32 v31, 0
	s_and_saveexec_b64 s[28:29], vcc
	s_cbranch_execz .LBB6_5116
; %bb.5109:                             ;   in Loop: Header=BB6_4748 Depth=3
	v_cmp_ne_u16_sdwa vcc, v0, s44 src0_sel:BYTE_0 src1_sel:DWORD
	v_bfrev_b32_e32 v31, 1
	s_and_saveexec_b64 s[30:31], vcc
	s_cbranch_execz .LBB6_5115
; %bb.5110:                             ;   in Loop: Header=BB6_4748 Depth=3
	v_and_b32_e32 v31, 0x7c0000, v50
	v_bfe_u32 v32, v50, 16, 2
	v_cmp_ne_u32_e32 vcc, s9, v31
                                        ; implicit-def: $vgpr31
	s_and_saveexec_b64 s[34:35], vcc
	s_xor_b64 s[34:35], exec, s[34:35]
	s_cbranch_execz .LBB6_5112
; %bb.5111:                             ;   in Loop: Header=BB6_4748 Depth=3
	v_ffbh_u32_e32 v33, v32
	v_min_u32_e32 v33, 32, v33
	v_subrev_u32_e32 v35, 29, v33
	v_lshlrev_b64 v[35:36], v35, v[0:1]
	v_bfe_u32 v31, v50, 18, 5
	v_sub_u32_e32 v0, 30, v33
	v_and_b32_e32 v33, 3, v35
	v_cmp_eq_u32_e32 vcc, 0, v31
	v_cndmask_b32_e32 v0, v31, v0, vcc
	v_cndmask_b32_e32 v31, v32, v33, vcc
	v_lshlrev_b32_e32 v32, 8, v50
	v_and_b32_e32 v32, 0x80000000, v32
	v_lshl_add_u32 v0, v0, 23, v32
	v_lshl_or_b32 v0, v31, 21, v0
	v_add_u32_e32 v31, 0x38000000, v0
                                        ; implicit-def: $vgpr32
                                        ; implicit-def: $vgpr0
.LBB6_5112:                             ;   in Loop: Header=BB6_4748 Depth=3
	s_andn2_saveexec_b64 s[34:35], s[34:35]
; %bb.5113:                             ;   in Loop: Header=BB6_4748 Depth=3
	v_mov_b32_e32 v31, -1
	v_cmp_gt_i16_sdwa vcc, sext(v0), v31 src0_sel:BYTE_0 src1_sel:DWORD
	v_mov_b32_e32 v0, 0xff800000
	v_mov_b32_e32 v31, 0x7f800000
	v_cndmask_b32_e32 v0, v0, v31, vcc
	v_cmp_eq_u32_e32 vcc, 0, v32
	v_mov_b32_e32 v31, 0x7f800001
	v_cndmask_b32_e32 v31, v31, v0, vcc
; %bb.5114:                             ;   in Loop: Header=BB6_4748 Depth=3
	s_or_b64 exec, exec, s[34:35]
.LBB6_5115:                             ;   in Loop: Header=BB6_4748 Depth=3
	s_or_b64 exec, exec, s[30:31]
.LBB6_5116:                             ;   in Loop: Header=BB6_4748 Depth=3
	s_or_b64 exec, exec, s[28:29]
	v_lshrrev_b32_e32 v0, 16, v38
	v_cmp_ne_u16_sdwa vcc, v0, v34 src0_sel:BYTE_0 src1_sel:DWORD
	s_and_saveexec_b64 s[28:29], vcc
	s_cbranch_execz .LBB6_5124
; %bb.5117:                             ;   in Loop: Header=BB6_4748 Depth=3
	v_cmp_ne_u16_sdwa vcc, v0, s44 src0_sel:BYTE_0 src1_sel:DWORD
	v_bfrev_b32_e32 v30, 1
	s_and_saveexec_b64 s[30:31], vcc
	s_cbranch_execz .LBB6_5123
; %bb.5118:                             ;   in Loop: Header=BB6_4748 Depth=3
	v_and_b32_e32 v30, 0x7c0000, v38
	v_bfe_u32 v32, v38, 16, 2
	v_cmp_ne_u32_e32 vcc, s9, v30
                                        ; implicit-def: $vgpr30
	s_and_saveexec_b64 s[34:35], vcc
	s_xor_b64 s[34:35], exec, s[34:35]
	s_cbranch_execz .LBB6_5120
; %bb.5119:                             ;   in Loop: Header=BB6_4748 Depth=3
	v_ffbh_u32_e32 v33, v32
	v_min_u32_e32 v33, 32, v33
	v_subrev_u32_e32 v35, 29, v33
	v_lshlrev_b64 v[35:36], v35, v[0:1]
	v_bfe_u32 v30, v38, 18, 5
	v_sub_u32_e32 v0, 30, v33
	v_and_b32_e32 v33, 3, v35
	v_cmp_eq_u32_e32 vcc, 0, v30
	v_cndmask_b32_e32 v0, v30, v0, vcc
	v_cndmask_b32_e32 v30, v32, v33, vcc
	v_lshlrev_b32_e32 v32, 8, v38
	v_and_b32_e32 v32, 0x80000000, v32
	v_lshl_add_u32 v0, v0, 23, v32
	v_lshl_or_b32 v0, v30, 21, v0
	v_add_u32_e32 v30, 0x38000000, v0
                                        ; implicit-def: $vgpr32
                                        ; implicit-def: $vgpr0
.LBB6_5120:                             ;   in Loop: Header=BB6_4748 Depth=3
	s_andn2_saveexec_b64 s[34:35], s[34:35]
; %bb.5121:                             ;   in Loop: Header=BB6_4748 Depth=3
	v_mov_b32_e32 v30, -1
	v_cmp_gt_i16_sdwa vcc, sext(v0), v30 src0_sel:BYTE_0 src1_sel:DWORD
	v_mov_b32_e32 v0, 0xff800000
	v_mov_b32_e32 v30, 0x7f800000
	v_cndmask_b32_e32 v0, v0, v30, vcc
	v_cmp_eq_u32_e32 vcc, 0, v32
	v_mov_b32_e32 v30, 0x7f800001
	v_cndmask_b32_e32 v30, v30, v0, vcc
; %bb.5122:                             ;   in Loop: Header=BB6_4748 Depth=3
	s_or_b64 exec, exec, s[34:35]
.LBB6_5123:                             ;   in Loop: Header=BB6_4748 Depth=3
	s_or_b64 exec, exec, s[30:31]
.LBB6_5124:                             ;   in Loop: Header=BB6_4748 Depth=3
	s_or_b64 exec, exec, s[28:29]
	v_mul_f32_e32 v32, v31, v30
	v_and_b32_e32 v35, 0x7f800000, v32
	v_mov_b32_e32 v36, v34
	v_cmp_ne_u64_e32 vcc, s[76:77], v[35:36]
	v_and_b32_e32 v30, 0x7fffff, v32
	v_mov_b32_e32 v31, v34
                                        ; implicit-def: $vgpr0
                                        ; kill: killed $vgpr0
	s_and_saveexec_b64 s[28:29], vcc
	s_xor_b64 s[30:31], exec, s[28:29]
	s_cbranch_execz .LBB6_5138
; %bb.5125:                             ;   in Loop: Header=BB6_4748 Depth=3
	v_and_b32_e32 v35, 0x7fffffff, v32
	v_mov_b32_e32 v36, v34
	v_cmp_gt_u64_e32 vcc, s[78:79], v[35:36]
	v_and_b32_sdwa v0, v32, s44 dst_sel:DWORD dst_unused:UNUSED_PAD src0_sel:BYTE_3 src1_sel:DWORD
                                        ; implicit-def: $vgpr33
                                        ; kill: killed $vgpr33
	s_and_saveexec_b64 s[28:29], vcc
	s_xor_b64 s[34:35], exec, s[28:29]
	s_cbranch_execz .LBB6_5135
; %bb.5126:                             ;   in Loop: Header=BB6_4748 Depth=3
	v_mov_b32_e32 v33, 0
	v_cmp_ne_u32_e32 vcc, 0, v32
	buffer_store_dword v33, off, s[0:3], s33 offset:160 ; 4-byte Folded Spill
	s_and_saveexec_b64 s[36:37], vcc
	s_cbranch_execz .LBB6_5134
; %bb.5127:                             ;   in Loop: Header=BB6_4748 Depth=3
	v_bfe_u32 v33, v32, 23, 8
	v_cmp_gt_u32_e64 s[28:29], s45, v33
	v_sub_u32_e32 v32, 0x71, v33
	v_cmp_eq_u32_e32 vcc, 0, v33
	v_cndmask_b32_e64 v32, 0, v32, s[28:29]
	v_mov_b32_e32 v35, 0x70
	v_cndmask_b32_e32 v35, v32, v35, vcc
	v_or_b32_e32 v36, 0x800000, v30
	v_add_u32_e32 v32, 21, v35
	v_cndmask_b32_e32 v30, v36, v30, vcc
	v_lshlrev_b64 v[36:37], v32, -1
	v_add_u32_e32 v32, 20, v35
	v_bfi_b32 v36, v36, 0, v30
	v_lshlrev_b64 v[48:49], v32, 1
	v_lshrrev_b64 v[30:31], v35, v[30:31]
	v_bfi_b32 v37, v37, 0, 0
	v_cmp_eq_u64_e64 s[28:29], v[36:37], v[48:49]
	v_mov_b32_e32 v32, v31
	v_mov_b32_e32 v31, v30
	s_and_saveexec_b64 s[38:39], s[28:29]
; %bb.5128:                             ;   in Loop: Header=BB6_4748 Depth=3
	v_bfe_u32 v31, v30, 21, 1
	v_add_co_u32_e64 v31, s[28:29], v30, v31
	v_add_co_u32_e64 v31, s[28:29], -1, v31
; %bb.5129:                             ;   in Loop: Header=BB6_4748 Depth=3
	s_or_b64 exec, exec, s[38:39]
	v_add_u32_e32 v32, 0xffffff81, v33
	v_mov_b32_e32 v33, 0xffffff82
	v_cndmask_b32_e32 v32, v32, v33, vcc
	v_lshrrev_b32_e32 v33, 23, v30
	v_add3_u32 v35, v35, v32, v33
	v_add_u32_e32 v33, 14, v35
	v_and_b32_e32 v31, 0x1fffff, v31
	v_add_u32_e32 v30, v31, v30
	v_mov_b32_e32 v31, v34
	v_cmp_ne_u32_e32 vcc, 0, v33
                                        ; implicit-def: $vgpr32
	s_and_saveexec_b64 s[28:29], vcc
	s_xor_b64 s[28:29], exec, s[28:29]
; %bb.5130:                             ;   in Loop: Header=BB6_4748 Depth=3
	v_cmp_lt_u64_e32 vcc, s[88:89], v[30:31]
	v_add_u32_e32 v32, 15, v35
	v_cndmask_b32_e32 v32, v33, v32, vcc
	v_cndmask_b32_e64 v33, 0, 1, vcc
	v_lshrrev_b64 v[30:31], v33, v[30:31]
; %bb.5131:                             ;   in Loop: Header=BB6_4748 Depth=3
	s_andn2_saveexec_b64 s[28:29], s[28:29]
; %bb.5132:                             ;   in Loop: Header=BB6_4748 Depth=3
	v_bfe_u32 v32, v30, 23, 1
; %bb.5133:                             ;   in Loop: Header=BB6_4748 Depth=3
	s_or_b64 exec, exec, s[28:29]
	v_lshrrev_b64 v[30:31], 21, v[30:31]
	v_cmp_gt_i32_e32 vcc, 32, v32
	v_cndmask_b32_e32 v31, 0, v31, vcc
	v_cndmask_b32_e32 v30, 3, v30, vcc
	v_cmp_eq_u64_e64 s[28:29], 0, v[30:31]
	v_min_i32_e32 v31, 31, v32
	v_lshlrev_b32_e32 v31, 2, v31
	v_cmp_eq_u32_e32 vcc, 0, v32
	v_and_b32_e32 v31, 0xfc, v31
	v_and_or_b32 v30, v30, 3, v31
	s_and_b64 s[28:29], vcc, s[28:29]
	v_cndmask_b32_e64 v30, v30, 0, s[28:29]
	v_or_b32_e32 v0, v30, v0
	buffer_store_dword v0, off, s[0:3], s33 offset:160 ; 4-byte Folded Spill
.LBB6_5134:                             ;   in Loop: Header=BB6_4748 Depth=3
	s_or_b64 exec, exec, s[36:37]
                                        ; implicit-def: $vgpr0
.LBB6_5135:                             ;   in Loop: Header=BB6_4748 Depth=3
	s_andn2_saveexec_b64 s[28:29], s[34:35]
	s_cbranch_execz .LBB6_5137
; %bb.5136:                             ;   in Loop: Header=BB6_4748 Depth=3
	v_or_b32_e32 v0, 0x7b, v0
	buffer_store_dword v0, off, s[0:3], s33 offset:160 ; 4-byte Folded Spill
.LBB6_5137:                             ;   in Loop: Header=BB6_4748 Depth=3
	s_or_b64 exec, exec, s[28:29]
                                        ; implicit-def: $vgpr32
                                        ; implicit-def: $vgpr30_vgpr31
.LBB6_5138:                             ;   in Loop: Header=BB6_4748 Depth=3
	s_andn2_saveexec_b64 s[28:29], s[30:31]
	s_cbranch_execz .LBB6_5144
; %bb.5139:                             ;   in Loop: Header=BB6_4748 Depth=3
	v_cmp_ne_u64_e32 vcc, 0, v[30:31]
                                        ; implicit-def: $vgpr0
                                        ; kill: killed $vgpr0
	s_and_saveexec_b64 s[30:31], vcc
	s_xor_b64 vcc, exec, s[30:31]
	s_cbranch_execz .LBB6_5141
; %bb.5140:                             ;   in Loop: Header=BB6_4748 Depth=3
	v_or_b32_sdwa v0, v32, s83 dst_sel:DWORD dst_unused:UNUSED_PAD src0_sel:BYTE_3 src1_sel:DWORD
	buffer_store_dword v0, off, s[0:3], s33 offset:160 ; 4-byte Folded Spill
                                        ; implicit-def: $vgpr32
.LBB6_5141:                             ;   in Loop: Header=BB6_4748 Depth=3
	s_andn2_saveexec_b64 s[30:31], vcc
	s_cbranch_execz .LBB6_5143
; %bb.5142:                             ;   in Loop: Header=BB6_4748 Depth=3
	v_cmp_lt_i32_e32 vcc, -1, v32
	v_bfrev_b32_e32 v0, 0.5
	v_mov_b32_e32 v30, 0x7c
	v_cndmask_b32_e32 v0, v0, v30, vcc
	buffer_store_dword v0, off, s[0:3], s33 offset:160 ; 4-byte Folded Spill
.LBB6_5143:                             ;   in Loop: Header=BB6_4748 Depth=3
	s_or_b64 exec, exec, s[30:31]
.LBB6_5144:                             ;   in Loop: Header=BB6_4748 Depth=3
	s_or_b64 exec, exec, s[28:29]
	v_cmp_lt_u32_e32 vcc, s57, v50
	v_mov_b32_e32 v30, 0
	v_mov_b32_e32 v31, 0
	s_and_saveexec_b64 s[28:29], vcc
	s_cbranch_execz .LBB6_5152
; %bb.5145:                             ;   in Loop: Header=BB6_4748 Depth=3
	v_lshrrev_b32_e32 v0, 24, v50
	v_cmp_ne_u32_e32 vcc, s44, v0
	v_bfrev_b32_e32 v31, 1
	s_and_saveexec_b64 s[30:31], vcc
	s_cbranch_execz .LBB6_5151
; %bb.5146:                             ;   in Loop: Header=BB6_4748 Depth=3
	v_and_b32_e32 v31, 0x7c000000, v50
	v_bfe_u32 v32, v50, 24, 2
	v_cmp_ne_u32_e32 vcc, s8, v31
                                        ; implicit-def: $vgpr31
	s_and_saveexec_b64 s[34:35], vcc
	s_xor_b64 s[34:35], exec, s[34:35]
	s_cbranch_execz .LBB6_5148
; %bb.5147:                             ;   in Loop: Header=BB6_4748 Depth=3
	v_ffbh_u32_e32 v33, v32
	v_min_u32_e32 v33, 32, v33
	v_subrev_u32_e32 v35, 29, v33
	v_lshlrev_b64 v[35:36], v35, v[0:1]
	v_bfe_u32 v31, v50, 26, 5
	v_sub_u32_e32 v0, 30, v33
	v_and_b32_e32 v33, 3, v35
	v_cmp_eq_u32_e32 vcc, 0, v31
	v_cndmask_b32_e32 v0, v31, v0, vcc
	v_cndmask_b32_e32 v31, v32, v33, vcc
	v_and_b32_e32 v32, 0x80000000, v50
	v_lshl_add_u32 v0, v0, 23, v32
	v_lshl_or_b32 v0, v31, 21, v0
	v_add_u32_e32 v31, 0x38000000, v0
                                        ; implicit-def: $vgpr32
.LBB6_5148:                             ;   in Loop: Header=BB6_4748 Depth=3
	s_andn2_saveexec_b64 s[34:35], s[34:35]
; %bb.5149:                             ;   in Loop: Header=BB6_4748 Depth=3
	v_cmp_lt_i32_e32 vcc, -1, v50
	v_mov_b32_e32 v0, 0xff800000
	v_mov_b32_e32 v31, 0x7f800000
	v_cndmask_b32_e32 v0, v0, v31, vcc
	v_cmp_eq_u32_e32 vcc, 0, v32
	v_mov_b32_e32 v31, 0x7f800001
	v_cndmask_b32_e32 v31, v31, v0, vcc
; %bb.5150:                             ;   in Loop: Header=BB6_4748 Depth=3
	s_or_b64 exec, exec, s[34:35]
.LBB6_5151:                             ;   in Loop: Header=BB6_4748 Depth=3
	s_or_b64 exec, exec, s[30:31]
.LBB6_5152:                             ;   in Loop: Header=BB6_4748 Depth=3
	s_or_b64 exec, exec, s[28:29]
	v_cmp_lt_u32_e32 vcc, s57, v38
	s_and_saveexec_b64 s[28:29], vcc
	s_cbranch_execz .LBB6_5160
; %bb.5153:                             ;   in Loop: Header=BB6_4748 Depth=3
	v_lshrrev_b32_e32 v0, 24, v38
	v_cmp_ne_u32_e32 vcc, s44, v0
	v_bfrev_b32_e32 v30, 1
	s_and_saveexec_b64 s[30:31], vcc
	s_cbranch_execz .LBB6_5159
; %bb.5154:                             ;   in Loop: Header=BB6_4748 Depth=3
	v_and_b32_e32 v30, 0x7c000000, v38
	v_bfe_u32 v32, v38, 24, 2
	v_cmp_ne_u32_e32 vcc, s8, v30
                                        ; implicit-def: $vgpr30
	s_and_saveexec_b64 s[34:35], vcc
	s_xor_b64 s[34:35], exec, s[34:35]
	s_cbranch_execz .LBB6_5156
; %bb.5155:                             ;   in Loop: Header=BB6_4748 Depth=3
	v_ffbh_u32_e32 v33, v32
	v_min_u32_e32 v33, 32, v33
	v_subrev_u32_e32 v35, 29, v33
	v_lshlrev_b64 v[35:36], v35, v[0:1]
	v_bfe_u32 v30, v38, 26, 5
	v_sub_u32_e32 v0, 30, v33
	v_and_b32_e32 v33, 3, v35
	v_cmp_eq_u32_e32 vcc, 0, v30
	v_cndmask_b32_e32 v0, v30, v0, vcc
	v_cndmask_b32_e32 v30, v32, v33, vcc
	v_and_b32_e32 v32, 0x80000000, v38
	v_lshl_add_u32 v0, v0, 23, v32
	v_lshl_or_b32 v0, v30, 21, v0
	v_add_u32_e32 v30, 0x38000000, v0
                                        ; implicit-def: $vgpr32
.LBB6_5156:                             ;   in Loop: Header=BB6_4748 Depth=3
	s_andn2_saveexec_b64 s[34:35], s[34:35]
; %bb.5157:                             ;   in Loop: Header=BB6_4748 Depth=3
	v_cmp_lt_i32_e32 vcc, -1, v38
	v_mov_b32_e32 v0, 0xff800000
	v_mov_b32_e32 v30, 0x7f800000
	v_cndmask_b32_e32 v0, v0, v30, vcc
	v_cmp_eq_u32_e32 vcc, 0, v32
	v_mov_b32_e32 v30, 0x7f800001
	v_cndmask_b32_e32 v30, v30, v0, vcc
; %bb.5158:                             ;   in Loop: Header=BB6_4748 Depth=3
	s_or_b64 exec, exec, s[34:35]
.LBB6_5159:                             ;   in Loop: Header=BB6_4748 Depth=3
	s_or_b64 exec, exec, s[30:31]
.LBB6_5160:                             ;   in Loop: Header=BB6_4748 Depth=3
	s_or_b64 exec, exec, s[28:29]
	v_mul_f32_e32 v32, v31, v30
	v_and_b32_e32 v35, 0x7f800000, v32
	v_mov_b32_e32 v36, v34
	v_cmp_ne_u64_e32 vcc, s[76:77], v[35:36]
	v_and_b32_e32 v30, 0x7fffff, v32
	v_mov_b32_e32 v31, v34
                                        ; implicit-def: $vgpr0
                                        ; kill: killed $vgpr0
	s_and_saveexec_b64 s[28:29], vcc
	s_xor_b64 s[30:31], exec, s[28:29]
	s_cbranch_execz .LBB6_5174
; %bb.5161:                             ;   in Loop: Header=BB6_4748 Depth=3
	v_and_b32_e32 v35, 0x7fffffff, v32
	v_mov_b32_e32 v36, v34
	v_cmp_gt_u64_e32 vcc, s[78:79], v[35:36]
	v_and_b32_sdwa v0, v32, s44 dst_sel:DWORD dst_unused:UNUSED_PAD src0_sel:BYTE_3 src1_sel:DWORD
                                        ; implicit-def: $vgpr33
                                        ; kill: killed $vgpr33
	s_and_saveexec_b64 s[28:29], vcc
	s_xor_b64 s[34:35], exec, s[28:29]
	s_cbranch_execz .LBB6_5171
; %bb.5162:                             ;   in Loop: Header=BB6_4748 Depth=3
	v_mov_b32_e32 v33, 0
	v_cmp_ne_u32_e32 vcc, 0, v32
	buffer_store_dword v33, off, s[0:3], s33 offset:168 ; 4-byte Folded Spill
	s_and_saveexec_b64 s[36:37], vcc
	s_cbranch_execz .LBB6_5170
; %bb.5163:                             ;   in Loop: Header=BB6_4748 Depth=3
	v_bfe_u32 v33, v32, 23, 8
	v_cmp_gt_u32_e64 s[28:29], s45, v33
	v_sub_u32_e32 v32, 0x71, v33
	v_cmp_eq_u32_e32 vcc, 0, v33
	v_cndmask_b32_e64 v32, 0, v32, s[28:29]
	v_mov_b32_e32 v35, 0x70
	v_cndmask_b32_e32 v35, v32, v35, vcc
	v_or_b32_e32 v36, 0x800000, v30
	v_add_u32_e32 v32, 21, v35
	v_cndmask_b32_e32 v30, v36, v30, vcc
	v_lshlrev_b64 v[36:37], v32, -1
	v_add_u32_e32 v32, 20, v35
	v_bfi_b32 v36, v36, 0, v30
	v_lshlrev_b64 v[48:49], v32, 1
	v_lshrrev_b64 v[30:31], v35, v[30:31]
	v_bfi_b32 v37, v37, 0, 0
	v_cmp_eq_u64_e64 s[28:29], v[36:37], v[48:49]
	v_mov_b32_e32 v32, v31
	v_mov_b32_e32 v31, v30
	s_and_saveexec_b64 s[38:39], s[28:29]
; %bb.5164:                             ;   in Loop: Header=BB6_4748 Depth=3
	v_bfe_u32 v31, v30, 21, 1
	v_add_co_u32_e64 v31, s[28:29], v30, v31
	v_add_co_u32_e64 v31, s[28:29], -1, v31
; %bb.5165:                             ;   in Loop: Header=BB6_4748 Depth=3
	s_or_b64 exec, exec, s[38:39]
	v_add_u32_e32 v32, 0xffffff81, v33
	v_mov_b32_e32 v33, 0xffffff82
	v_cndmask_b32_e32 v32, v32, v33, vcc
	v_lshrrev_b32_e32 v33, 23, v30
	v_add3_u32 v35, v35, v32, v33
	v_add_u32_e32 v33, 14, v35
	v_and_b32_e32 v31, 0x1fffff, v31
	v_add_u32_e32 v30, v31, v30
	v_mov_b32_e32 v31, v34
	v_cmp_ne_u32_e32 vcc, 0, v33
                                        ; implicit-def: $vgpr32
	s_and_saveexec_b64 s[28:29], vcc
	s_xor_b64 s[28:29], exec, s[28:29]
; %bb.5166:                             ;   in Loop: Header=BB6_4748 Depth=3
	v_cmp_lt_u64_e32 vcc, s[88:89], v[30:31]
	v_add_u32_e32 v32, 15, v35
	v_cndmask_b32_e32 v32, v33, v32, vcc
	v_cndmask_b32_e64 v33, 0, 1, vcc
	v_lshrrev_b64 v[30:31], v33, v[30:31]
; %bb.5167:                             ;   in Loop: Header=BB6_4748 Depth=3
	s_andn2_saveexec_b64 s[28:29], s[28:29]
; %bb.5168:                             ;   in Loop: Header=BB6_4748 Depth=3
	v_bfe_u32 v32, v30, 23, 1
; %bb.5169:                             ;   in Loop: Header=BB6_4748 Depth=3
	s_or_b64 exec, exec, s[28:29]
	v_lshrrev_b64 v[30:31], 21, v[30:31]
	v_cmp_gt_i32_e32 vcc, 32, v32
	v_cndmask_b32_e32 v31, 0, v31, vcc
	v_cndmask_b32_e32 v30, 3, v30, vcc
	v_cmp_eq_u64_e64 s[28:29], 0, v[30:31]
	v_min_i32_e32 v31, 31, v32
	v_lshlrev_b32_e32 v31, 2, v31
	v_cmp_eq_u32_e32 vcc, 0, v32
	v_and_b32_e32 v31, 0xfc, v31
	v_and_or_b32 v30, v30, 3, v31
	s_and_b64 s[28:29], vcc, s[28:29]
	v_cndmask_b32_e64 v30, v30, 0, s[28:29]
	v_or_b32_e32 v0, v30, v0
	buffer_store_dword v0, off, s[0:3], s33 offset:168 ; 4-byte Folded Spill
.LBB6_5170:                             ;   in Loop: Header=BB6_4748 Depth=3
	s_or_b64 exec, exec, s[36:37]
                                        ; implicit-def: $vgpr0
.LBB6_5171:                             ;   in Loop: Header=BB6_4748 Depth=3
	s_andn2_saveexec_b64 s[28:29], s[34:35]
	s_cbranch_execz .LBB6_5173
; %bb.5172:                             ;   in Loop: Header=BB6_4748 Depth=3
	v_or_b32_e32 v0, 0x7b, v0
	buffer_store_dword v0, off, s[0:3], s33 offset:168 ; 4-byte Folded Spill
.LBB6_5173:                             ;   in Loop: Header=BB6_4748 Depth=3
	s_or_b64 exec, exec, s[28:29]
                                        ; implicit-def: $vgpr32
                                        ; implicit-def: $vgpr30_vgpr31
.LBB6_5174:                             ;   in Loop: Header=BB6_4748 Depth=3
	s_andn2_saveexec_b64 s[28:29], s[30:31]
	s_cbranch_execz .LBB6_5180
; %bb.5175:                             ;   in Loop: Header=BB6_4748 Depth=3
	v_cmp_ne_u64_e32 vcc, 0, v[30:31]
                                        ; implicit-def: $vgpr0
                                        ; kill: killed $vgpr0
	s_and_saveexec_b64 s[30:31], vcc
	s_xor_b64 vcc, exec, s[30:31]
	s_cbranch_execz .LBB6_5177
; %bb.5176:                             ;   in Loop: Header=BB6_4748 Depth=3
	v_or_b32_sdwa v0, v32, s83 dst_sel:DWORD dst_unused:UNUSED_PAD src0_sel:BYTE_3 src1_sel:DWORD
	buffer_store_dword v0, off, s[0:3], s33 offset:168 ; 4-byte Folded Spill
                                        ; implicit-def: $vgpr32
.LBB6_5177:                             ;   in Loop: Header=BB6_4748 Depth=3
	s_andn2_saveexec_b64 s[30:31], vcc
	s_cbranch_execz .LBB6_5179
; %bb.5178:                             ;   in Loop: Header=BB6_4748 Depth=3
	v_cmp_lt_i32_e32 vcc, -1, v32
	v_bfrev_b32_e32 v0, 0.5
	v_mov_b32_e32 v30, 0x7c
	v_cndmask_b32_e32 v0, v0, v30, vcc
	buffer_store_dword v0, off, s[0:3], s33 offset:168 ; 4-byte Folded Spill
.LBB6_5179:                             ;   in Loop: Header=BB6_4748 Depth=3
	s_or_b64 exec, exec, s[30:31]
.LBB6_5180:                             ;   in Loop: Header=BB6_4748 Depth=3
	s_or_b64 exec, exec, s[28:29]
	v_mov_b32_e32 v30, v51
	v_mov_b32_e32 v31, v34
	v_cmp_ne_u16_sdwa vcc, v51, v34 src0_sel:BYTE_0 src1_sel:DWORD
	v_mov_b32_e32 v32, 0
	v_mov_b32_e32 v0, 0
	s_and_saveexec_b64 s[28:29], vcc
	s_cbranch_execz .LBB6_5188
; %bb.5181:                             ;   in Loop: Header=BB6_4748 Depth=3
	v_cmp_ne_u16_sdwa vcc, v51, s44 src0_sel:BYTE_0 src1_sel:DWORD
	v_bfrev_b32_e32 v0, 1
	s_and_saveexec_b64 s[30:31], vcc
	s_cbranch_execz .LBB6_5187
; %bb.5182:                             ;   in Loop: Header=BB6_4748 Depth=3
	v_and_b32_e32 v0, 0x7c, v51
	v_and_b32_e32 v33, 3, v51
	v_cmp_ne_u32_e32 vcc, s81, v0
                                        ; implicit-def: $vgpr0
	s_and_saveexec_b64 s[34:35], vcc
	s_xor_b64 s[34:35], exec, s[34:35]
	s_cbranch_execz .LBB6_5184
; %bb.5183:                             ;   in Loop: Header=BB6_4748 Depth=3
	v_ffbh_u32_e32 v35, v33
	v_min_u32_e32 v37, 32, v35
	v_subrev_u32_e32 v35, 29, v37
	v_lshlrev_b64 v[35:36], v35, v[30:31]
	v_bfe_u32 v0, v51, 2, 5
	v_sub_u32_e32 v31, 30, v37
	v_and_b32_e32 v35, 3, v35
	v_cmp_eq_u32_e32 vcc, 0, v0
	v_cndmask_b32_e32 v0, v0, v31, vcc
	v_cndmask_b32_e32 v31, v33, v35, vcc
	v_lshlrev_b32_e32 v33, 24, v51
	v_and_b32_e32 v33, 0x80000000, v33
	v_lshl_add_u32 v0, v0, 23, v33
	v_lshl_or_b32 v0, v31, 21, v0
	v_add_u32_e32 v0, 0x38000000, v0
                                        ; implicit-def: $vgpr33
.LBB6_5184:                             ;   in Loop: Header=BB6_4748 Depth=3
	s_andn2_saveexec_b64 s[34:35], s[34:35]
; %bb.5185:                             ;   in Loop: Header=BB6_4748 Depth=3
	v_mov_b32_e32 v0, -1
	v_cmp_gt_i16_sdwa vcc, sext(v51), v0 src0_sel:BYTE_0 src1_sel:DWORD
	v_mov_b32_e32 v0, 0xff800000
	v_mov_b32_e32 v31, 0x7f800000
	v_cndmask_b32_e32 v0, v0, v31, vcc
	v_cmp_eq_u32_e32 vcc, 0, v33
	v_mov_b32_e32 v31, 0x7f800001
	v_cndmask_b32_e32 v0, v31, v0, vcc
; %bb.5186:                             ;   in Loop: Header=BB6_4748 Depth=3
	s_or_b64 exec, exec, s[34:35]
.LBB6_5187:                             ;   in Loop: Header=BB6_4748 Depth=3
	s_or_b64 exec, exec, s[30:31]
.LBB6_5188:                             ;   in Loop: Header=BB6_4748 Depth=3
	s_or_b64 exec, exec, s[28:29]
	v_cmp_ne_u16_sdwa vcc, v39, v34 src0_sel:BYTE_0 src1_sel:DWORD
	s_and_saveexec_b64 s[28:29], vcc
	s_cbranch_execz .LBB6_5196
; %bb.5189:                             ;   in Loop: Header=BB6_4748 Depth=3
	v_cmp_ne_u16_sdwa vcc, v39, s44 src0_sel:BYTE_0 src1_sel:DWORD
	v_bfrev_b32_e32 v32, 1
	s_and_saveexec_b64 s[30:31], vcc
	s_cbranch_execz .LBB6_5195
; %bb.5190:                             ;   in Loop: Header=BB6_4748 Depth=3
	v_and_b32_e32 v32, 0x7c, v39
	v_and_b32_e32 v31, 3, v39
	v_cmp_ne_u32_e32 vcc, s81, v32
                                        ; implicit-def: $vgpr32
	s_and_saveexec_b64 s[34:35], vcc
	s_xor_b64 s[34:35], exec, s[34:35]
	s_cbranch_execz .LBB6_5192
; %bb.5191:                             ;   in Loop: Header=BB6_4748 Depth=3
	v_ffbh_u32_e32 v36, v31
	v_min_u32_e32 v36, 32, v36
	v_mov_b32_e32 v32, v39
	v_mov_b32_e32 v33, v34
	v_subrev_u32_e32 v37, 29, v36
	v_lshlrev_b64 v[32:33], v37, v[32:33]
	v_bfe_u32 v35, v39, 2, 5
	v_and_b32_e32 v32, 3, v32
	v_cmp_eq_u32_e32 vcc, 0, v35
	v_sub_u32_e32 v33, 30, v36
	v_cndmask_b32_e32 v31, v31, v32, vcc
	v_lshlrev_b32_e32 v32, 24, v39
	v_cndmask_b32_e32 v33, v35, v33, vcc
	v_and_b32_e32 v32, 0x80000000, v32
	v_lshl_add_u32 v32, v33, 23, v32
	v_lshl_or_b32 v31, v31, 21, v32
	v_add_u32_e32 v32, 0x38000000, v31
                                        ; implicit-def: $vgpr31
.LBB6_5192:                             ;   in Loop: Header=BB6_4748 Depth=3
	s_andn2_saveexec_b64 s[34:35], s[34:35]
; %bb.5193:                             ;   in Loop: Header=BB6_4748 Depth=3
	v_mov_b32_e32 v32, -1
	v_cmp_gt_i16_sdwa vcc, sext(v39), v32 src0_sel:BYTE_0 src1_sel:DWORD
	v_mov_b32_e32 v32, 0xff800000
	v_mov_b32_e32 v33, 0x7f800000
	v_cndmask_b32_e32 v32, v32, v33, vcc
	v_cmp_eq_u32_e32 vcc, 0, v31
	v_mov_b32_e32 v31, 0x7f800001
	v_cndmask_b32_e32 v32, v31, v32, vcc
; %bb.5194:                             ;   in Loop: Header=BB6_4748 Depth=3
	s_or_b64 exec, exec, s[34:35]
.LBB6_5195:                             ;   in Loop: Header=BB6_4748 Depth=3
	s_or_b64 exec, exec, s[30:31]
.LBB6_5196:                             ;   in Loop: Header=BB6_4748 Depth=3
	s_or_b64 exec, exec, s[28:29]
	v_mul_f32_e32 v33, v0, v32
	v_and_b32_e32 v35, 0x7f800000, v33
	v_mov_b32_e32 v36, v34
	v_cmp_ne_u64_e32 vcc, s[76:77], v[35:36]
	v_and_b32_e32 v31, 0x7fffff, v33
	v_mov_b32_e32 v32, v34
                                        ; implicit-def: $vgpr0
                                        ; kill: killed $vgpr0
	s_and_saveexec_b64 s[28:29], vcc
	s_xor_b64 s[30:31], exec, s[28:29]
	s_cbranch_execz .LBB6_5210
; %bb.5197:                             ;   in Loop: Header=BB6_4748 Depth=3
	v_and_b32_e32 v35, 0x7fffffff, v33
	v_mov_b32_e32 v36, v34
	v_cmp_gt_u64_e32 vcc, s[78:79], v[35:36]
	v_and_b32_sdwa v0, v33, s44 dst_sel:DWORD dst_unused:UNUSED_PAD src0_sel:BYTE_3 src1_sel:DWORD
                                        ; implicit-def: $vgpr35
                                        ; kill: killed $vgpr35
	s_and_saveexec_b64 s[28:29], vcc
	s_xor_b64 s[34:35], exec, s[28:29]
	s_cbranch_execz .LBB6_5207
; %bb.5198:                             ;   in Loop: Header=BB6_4748 Depth=3
	v_mov_b32_e32 v35, 0
	v_cmp_ne_u32_e32 vcc, 0, v33
	buffer_store_dword v35, off, s[0:3], s33 offset:176 ; 4-byte Folded Spill
	s_and_saveexec_b64 s[36:37], vcc
	s_cbranch_execz .LBB6_5206
; %bb.5199:                             ;   in Loop: Header=BB6_4748 Depth=3
	v_bfe_u32 v35, v33, 23, 8
	v_cmp_gt_u32_e64 s[28:29], s45, v35
	v_sub_u32_e32 v33, 0x71, v35
	v_cmp_eq_u32_e32 vcc, 0, v35
	v_cndmask_b32_e64 v33, 0, v33, s[28:29]
	v_mov_b32_e32 v36, 0x70
	v_cndmask_b32_e32 v36, v33, v36, vcc
	v_add_u32_e32 v33, 21, v36
	v_or_b32_e32 v37, 0x800000, v31
	v_lshlrev_b64 v[48:49], v33, -1
	v_cndmask_b32_e32 v31, v37, v31, vcc
	v_add_u32_e32 v33, 20, v36
	v_bfi_b32 v48, v48, 0, v31
	v_lshlrev_b64 v[52:53], v33, 1
	v_lshrrev_b64 v[31:32], v36, v[31:32]
	v_bfi_b32 v49, v49, 0, 0
	v_cmp_eq_u64_e64 s[28:29], v[48:49], v[52:53]
	v_mov_b32_e32 v33, v32
	v_mov_b32_e32 v32, v31
	s_and_saveexec_b64 s[38:39], s[28:29]
; %bb.5200:                             ;   in Loop: Header=BB6_4748 Depth=3
	v_bfe_u32 v32, v31, 21, 1
	v_add_co_u32_e64 v32, s[28:29], v31, v32
	v_add_co_u32_e64 v32, s[28:29], -1, v32
; %bb.5201:                             ;   in Loop: Header=BB6_4748 Depth=3
	s_or_b64 exec, exec, s[38:39]
	v_add_u32_e32 v33, 0xffffff81, v35
	v_mov_b32_e32 v35, 0xffffff82
	v_cndmask_b32_e32 v33, v33, v35, vcc
	v_lshrrev_b32_e32 v35, 23, v31
	v_add3_u32 v36, v36, v33, v35
	v_add_u32_e32 v35, 14, v36
	v_and_b32_e32 v32, 0x1fffff, v32
	v_add_u32_e32 v31, v32, v31
	v_mov_b32_e32 v32, v34
	v_cmp_ne_u32_e32 vcc, 0, v35
                                        ; implicit-def: $vgpr33
	s_and_saveexec_b64 s[28:29], vcc
	s_xor_b64 s[28:29], exec, s[28:29]
; %bb.5202:                             ;   in Loop: Header=BB6_4748 Depth=3
	v_cmp_lt_u64_e32 vcc, s[88:89], v[31:32]
	v_add_u32_e32 v33, 15, v36
	v_cndmask_b32_e32 v33, v35, v33, vcc
	v_cndmask_b32_e64 v35, 0, 1, vcc
	v_lshrrev_b64 v[31:32], v35, v[31:32]
; %bb.5203:                             ;   in Loop: Header=BB6_4748 Depth=3
	s_andn2_saveexec_b64 s[28:29], s[28:29]
; %bb.5204:                             ;   in Loop: Header=BB6_4748 Depth=3
	v_bfe_u32 v33, v31, 23, 1
; %bb.5205:                             ;   in Loop: Header=BB6_4748 Depth=3
	s_or_b64 exec, exec, s[28:29]
	v_lshrrev_b64 v[31:32], 21, v[31:32]
	v_cmp_gt_i32_e32 vcc, 32, v33
	v_cndmask_b32_e32 v32, 0, v32, vcc
	v_cndmask_b32_e32 v31, 3, v31, vcc
	v_cmp_eq_u64_e64 s[28:29], 0, v[31:32]
	v_min_i32_e32 v32, 31, v33
	v_lshlrev_b32_e32 v32, 2, v32
	v_cmp_eq_u32_e32 vcc, 0, v33
	v_and_b32_e32 v32, 0xfc, v32
	v_and_or_b32 v31, v31, 3, v32
	s_and_b64 s[28:29], vcc, s[28:29]
	v_cndmask_b32_e64 v31, v31, 0, s[28:29]
	v_or_b32_e32 v0, v31, v0
	buffer_store_dword v0, off, s[0:3], s33 offset:176 ; 4-byte Folded Spill
.LBB6_5206:                             ;   in Loop: Header=BB6_4748 Depth=3
	s_or_b64 exec, exec, s[36:37]
                                        ; implicit-def: $vgpr0
.LBB6_5207:                             ;   in Loop: Header=BB6_4748 Depth=3
	s_andn2_saveexec_b64 s[28:29], s[34:35]
	s_cbranch_execz .LBB6_5209
; %bb.5208:                             ;   in Loop: Header=BB6_4748 Depth=3
	v_or_b32_e32 v0, 0x7b, v0
	buffer_store_dword v0, off, s[0:3], s33 offset:176 ; 4-byte Folded Spill
.LBB6_5209:                             ;   in Loop: Header=BB6_4748 Depth=3
	s_or_b64 exec, exec, s[28:29]
                                        ; implicit-def: $vgpr33
                                        ; implicit-def: $vgpr31_vgpr32
.LBB6_5210:                             ;   in Loop: Header=BB6_4748 Depth=3
	s_andn2_saveexec_b64 s[28:29], s[30:31]
	s_cbranch_execz .LBB6_5216
; %bb.5211:                             ;   in Loop: Header=BB6_4748 Depth=3
	v_cmp_ne_u64_e32 vcc, 0, v[31:32]
                                        ; implicit-def: $vgpr0
                                        ; kill: killed $vgpr0
	s_and_saveexec_b64 s[30:31], vcc
	s_xor_b64 vcc, exec, s[30:31]
	s_cbranch_execz .LBB6_5213
; %bb.5212:                             ;   in Loop: Header=BB6_4748 Depth=3
	v_or_b32_sdwa v0, v33, s83 dst_sel:DWORD dst_unused:UNUSED_PAD src0_sel:BYTE_3 src1_sel:DWORD
	buffer_store_dword v0, off, s[0:3], s33 offset:176 ; 4-byte Folded Spill
                                        ; implicit-def: $vgpr33
.LBB6_5213:                             ;   in Loop: Header=BB6_4748 Depth=3
	s_andn2_saveexec_b64 s[30:31], vcc
	s_cbranch_execz .LBB6_5215
; %bb.5214:                             ;   in Loop: Header=BB6_4748 Depth=3
	v_cmp_lt_i32_e32 vcc, -1, v33
	v_bfrev_b32_e32 v0, 0.5
	v_mov_b32_e32 v31, 0x7c
	v_cndmask_b32_e32 v0, v0, v31, vcc
	buffer_store_dword v0, off, s[0:3], s33 offset:176 ; 4-byte Folded Spill
.LBB6_5215:                             ;   in Loop: Header=BB6_4748 Depth=3
	s_or_b64 exec, exec, s[30:31]
.LBB6_5216:                             ;   in Loop: Header=BB6_4748 Depth=3
	s_or_b64 exec, exec, s[28:29]
	v_lshrrev_b16_e32 v31, 8, v30
	v_cmp_ne_u16_e32 vcc, 0, v31
	v_mov_b32_e32 v0, 0
	v_mov_b32_e32 v32, 0
	s_and_saveexec_b64 s[28:29], vcc
	s_cbranch_execz .LBB6_5224
; %bb.5217:                             ;   in Loop: Header=BB6_4748 Depth=3
	v_cmp_ne_u16_e32 vcc, s44, v31
	v_bfrev_b32_e32 v32, 1
	s_and_saveexec_b64 s[30:31], vcc
	s_cbranch_execz .LBB6_5223
; %bb.5218:                             ;   in Loop: Header=BB6_4748 Depth=3
	v_and_b32_e32 v32, 0x7c, v31
	v_and_b32_e32 v33, 3, v31
	v_cmp_ne_u32_e32 vcc, s81, v32
                                        ; implicit-def: $vgpr32
	s_and_saveexec_b64 s[34:35], vcc
	s_xor_b64 s[34:35], exec, s[34:35]
	s_cbranch_execz .LBB6_5220
; %bb.5219:                             ;   in Loop: Header=BB6_4748 Depth=3
	v_ffbh_u32_e32 v36, v33
	v_min_u32_e32 v36, 32, v36
	v_mov_b32_e32 v32, v34
	v_subrev_u32_e32 v37, 29, v36
	v_bfe_u32 v35, v31, 2, 5
	v_lshlrev_b64 v[31:32], v37, v[31:32]
	v_sub_u32_e32 v32, 30, v36
	v_cmp_eq_u32_e32 vcc, 0, v35
	v_lshlrev_b32_e32 v30, 16, v30
	v_and_b32_e32 v31, 3, v31
	v_cndmask_b32_e32 v32, v35, v32, vcc
	v_and_b32_e32 v30, 0x80000000, v30
	v_cndmask_b32_e32 v31, v33, v31, vcc
	v_lshl_add_u32 v30, v32, 23, v30
	v_lshl_or_b32 v30, v31, 21, v30
	v_add_u32_e32 v32, 0x38000000, v30
                                        ; implicit-def: $vgpr33
                                        ; implicit-def: $vgpr30_vgpr31
.LBB6_5220:                             ;   in Loop: Header=BB6_4748 Depth=3
	s_andn2_saveexec_b64 s[34:35], s[34:35]
; %bb.5221:                             ;   in Loop: Header=BB6_4748 Depth=3
	v_cmp_lt_i16_e32 vcc, -1, v30
	v_mov_b32_e32 v30, 0xff800000
	v_mov_b32_e32 v31, 0x7f800000
	v_cndmask_b32_e32 v30, v30, v31, vcc
	v_cmp_eq_u32_e32 vcc, 0, v33
	v_mov_b32_e32 v31, 0x7f800001
	v_cndmask_b32_e32 v32, v31, v30, vcc
; %bb.5222:                             ;   in Loop: Header=BB6_4748 Depth=3
	s_or_b64 exec, exec, s[34:35]
.LBB6_5223:                             ;   in Loop: Header=BB6_4748 Depth=3
	s_or_b64 exec, exec, s[30:31]
.LBB6_5224:                             ;   in Loop: Header=BB6_4748 Depth=3
	s_or_b64 exec, exec, s[28:29]
	v_lshrrev_b16_e32 v30, 8, v39
	v_cmp_ne_u16_e32 vcc, 0, v30
	s_and_saveexec_b64 s[28:29], vcc
	s_cbranch_execz .LBB6_5232
; %bb.5225:                             ;   in Loop: Header=BB6_4748 Depth=3
	v_cmp_ne_u16_e32 vcc, s44, v30
	v_bfrev_b32_e32 v0, 1
	s_and_saveexec_b64 s[30:31], vcc
	s_cbranch_execz .LBB6_5231
; %bb.5226:                             ;   in Loop: Header=BB6_4748 Depth=3
	v_and_b32_e32 v0, 0x7c, v30
	v_and_b32_e32 v33, 3, v30
	v_cmp_ne_u32_e32 vcc, s81, v0
                                        ; implicit-def: $vgpr0
	s_and_saveexec_b64 s[34:35], vcc
	s_xor_b64 s[34:35], exec, s[34:35]
	s_cbranch_execz .LBB6_5228
; %bb.5227:                             ;   in Loop: Header=BB6_4748 Depth=3
	v_ffbh_u32_e32 v35, v33
	v_min_u32_e32 v35, 32, v35
	v_mov_b32_e32 v31, v34
	v_subrev_u32_e32 v36, 29, v35
	v_bfe_u32 v0, v30, 2, 5
	v_lshlrev_b64 v[30:31], v36, v[30:31]
	v_sub_u32_e32 v31, 30, v35
	v_cmp_eq_u32_e32 vcc, 0, v0
	v_cndmask_b32_e32 v0, v0, v31, vcc
	v_lshlrev_b32_e32 v31, 16, v39
	v_and_b32_e32 v30, 3, v30
	v_and_b32_e32 v31, 0x80000000, v31
	v_cndmask_b32_e32 v30, v33, v30, vcc
	v_lshl_add_u32 v0, v0, 23, v31
	v_lshl_or_b32 v0, v30, 21, v0
	v_add_u32_e32 v0, 0x38000000, v0
                                        ; implicit-def: $vgpr33
.LBB6_5228:                             ;   in Loop: Header=BB6_4748 Depth=3
	s_andn2_saveexec_b64 s[34:35], s[34:35]
; %bb.5229:                             ;   in Loop: Header=BB6_4748 Depth=3
	v_cmp_lt_i16_e32 vcc, -1, v39
	v_mov_b32_e32 v0, 0xff800000
	v_mov_b32_e32 v30, 0x7f800000
	v_cndmask_b32_e32 v0, v0, v30, vcc
	v_cmp_eq_u32_e32 vcc, 0, v33
	v_mov_b32_e32 v30, 0x7f800001
	v_cndmask_b32_e32 v0, v30, v0, vcc
; %bb.5230:                             ;   in Loop: Header=BB6_4748 Depth=3
	s_or_b64 exec, exec, s[34:35]
.LBB6_5231:                             ;   in Loop: Header=BB6_4748 Depth=3
	s_or_b64 exec, exec, s[30:31]
.LBB6_5232:                             ;   in Loop: Header=BB6_4748 Depth=3
	s_or_b64 exec, exec, s[28:29]
	v_mul_f32_e32 v32, v32, v0
	v_and_b32_e32 v35, 0x7f800000, v32
	v_mov_b32_e32 v36, v34
	v_cmp_ne_u64_e32 vcc, s[76:77], v[35:36]
	v_and_b32_e32 v30, 0x7fffff, v32
	v_mov_b32_e32 v31, v34
                                        ; implicit-def: $vgpr0
                                        ; kill: killed $vgpr0
	s_and_saveexec_b64 s[28:29], vcc
	s_xor_b64 s[30:31], exec, s[28:29]
	s_cbranch_execz .LBB6_5246
; %bb.5233:                             ;   in Loop: Header=BB6_4748 Depth=3
	v_and_b32_e32 v35, 0x7fffffff, v32
	v_mov_b32_e32 v36, v34
	v_cmp_gt_u64_e32 vcc, s[78:79], v[35:36]
	v_and_b32_sdwa v0, v32, s44 dst_sel:DWORD dst_unused:UNUSED_PAD src0_sel:BYTE_3 src1_sel:DWORD
                                        ; implicit-def: $vgpr33
                                        ; kill: killed $vgpr33
	s_and_saveexec_b64 s[28:29], vcc
	s_xor_b64 s[34:35], exec, s[28:29]
	s_cbranch_execz .LBB6_5243
; %bb.5234:                             ;   in Loop: Header=BB6_4748 Depth=3
	v_mov_b32_e32 v33, 0
	v_cmp_ne_u32_e32 vcc, 0, v32
	buffer_store_dword v33, off, s[0:3], s33 offset:184 ; 4-byte Folded Spill
	s_and_saveexec_b64 s[36:37], vcc
	s_cbranch_execz .LBB6_5242
; %bb.5235:                             ;   in Loop: Header=BB6_4748 Depth=3
	v_bfe_u32 v33, v32, 23, 8
	v_cmp_gt_u32_e64 s[28:29], s45, v33
	v_sub_u32_e32 v32, 0x71, v33
	v_cmp_eq_u32_e32 vcc, 0, v33
	v_cndmask_b32_e64 v32, 0, v32, s[28:29]
	v_mov_b32_e32 v35, 0x70
	v_cndmask_b32_e32 v35, v32, v35, vcc
	v_or_b32_e32 v36, 0x800000, v30
	v_add_u32_e32 v32, 21, v35
	v_cndmask_b32_e32 v30, v36, v30, vcc
	v_lshlrev_b64 v[36:37], v32, -1
	v_add_u32_e32 v32, 20, v35
	v_bfi_b32 v36, v36, 0, v30
	v_lshlrev_b64 v[48:49], v32, 1
	v_lshrrev_b64 v[30:31], v35, v[30:31]
	v_bfi_b32 v37, v37, 0, 0
	v_cmp_eq_u64_e64 s[28:29], v[36:37], v[48:49]
	v_mov_b32_e32 v32, v31
	v_mov_b32_e32 v31, v30
	s_and_saveexec_b64 s[38:39], s[28:29]
; %bb.5236:                             ;   in Loop: Header=BB6_4748 Depth=3
	v_bfe_u32 v31, v30, 21, 1
	v_add_co_u32_e64 v31, s[28:29], v30, v31
	v_add_co_u32_e64 v31, s[28:29], -1, v31
; %bb.5237:                             ;   in Loop: Header=BB6_4748 Depth=3
	s_or_b64 exec, exec, s[38:39]
	v_add_u32_e32 v32, 0xffffff81, v33
	v_mov_b32_e32 v33, 0xffffff82
	v_cndmask_b32_e32 v32, v32, v33, vcc
	v_lshrrev_b32_e32 v33, 23, v30
	v_add3_u32 v35, v35, v32, v33
	v_add_u32_e32 v33, 14, v35
	v_and_b32_e32 v31, 0x1fffff, v31
	v_add_u32_e32 v30, v31, v30
	v_mov_b32_e32 v31, v34
	v_cmp_ne_u32_e32 vcc, 0, v33
                                        ; implicit-def: $vgpr32
	s_and_saveexec_b64 s[28:29], vcc
	s_xor_b64 s[28:29], exec, s[28:29]
; %bb.5238:                             ;   in Loop: Header=BB6_4748 Depth=3
	v_cmp_lt_u64_e32 vcc, s[88:89], v[30:31]
	v_add_u32_e32 v32, 15, v35
	v_cndmask_b32_e32 v32, v33, v32, vcc
	v_cndmask_b32_e64 v33, 0, 1, vcc
	v_lshrrev_b64 v[30:31], v33, v[30:31]
; %bb.5239:                             ;   in Loop: Header=BB6_4748 Depth=3
	s_andn2_saveexec_b64 s[28:29], s[28:29]
; %bb.5240:                             ;   in Loop: Header=BB6_4748 Depth=3
	v_bfe_u32 v32, v30, 23, 1
; %bb.5241:                             ;   in Loop: Header=BB6_4748 Depth=3
	s_or_b64 exec, exec, s[28:29]
	v_lshrrev_b64 v[30:31], 21, v[30:31]
	v_cmp_gt_i32_e32 vcc, 32, v32
	v_cndmask_b32_e32 v31, 0, v31, vcc
	v_cndmask_b32_e32 v30, 3, v30, vcc
	v_cmp_eq_u64_e64 s[28:29], 0, v[30:31]
	v_min_i32_e32 v31, 31, v32
	v_lshlrev_b32_e32 v31, 2, v31
	v_cmp_eq_u32_e32 vcc, 0, v32
	v_and_b32_e32 v31, 0xfc, v31
	v_and_or_b32 v30, v30, 3, v31
	s_and_b64 s[28:29], vcc, s[28:29]
	v_cndmask_b32_e64 v30, v30, 0, s[28:29]
	v_or_b32_e32 v0, v30, v0
	buffer_store_dword v0, off, s[0:3], s33 offset:184 ; 4-byte Folded Spill
.LBB6_5242:                             ;   in Loop: Header=BB6_4748 Depth=3
	s_or_b64 exec, exec, s[36:37]
                                        ; implicit-def: $vgpr0
.LBB6_5243:                             ;   in Loop: Header=BB6_4748 Depth=3
	s_andn2_saveexec_b64 s[28:29], s[34:35]
	s_cbranch_execz .LBB6_5245
; %bb.5244:                             ;   in Loop: Header=BB6_4748 Depth=3
	v_or_b32_e32 v0, 0x7b, v0
	buffer_store_dword v0, off, s[0:3], s33 offset:184 ; 4-byte Folded Spill
.LBB6_5245:                             ;   in Loop: Header=BB6_4748 Depth=3
	s_or_b64 exec, exec, s[28:29]
                                        ; implicit-def: $vgpr32
                                        ; implicit-def: $vgpr30_vgpr31
.LBB6_5246:                             ;   in Loop: Header=BB6_4748 Depth=3
	s_andn2_saveexec_b64 s[28:29], s[30:31]
	s_cbranch_execz .LBB6_5252
; %bb.5247:                             ;   in Loop: Header=BB6_4748 Depth=3
	v_cmp_ne_u64_e32 vcc, 0, v[30:31]
                                        ; implicit-def: $vgpr0
                                        ; kill: killed $vgpr0
	s_and_saveexec_b64 s[30:31], vcc
	s_xor_b64 vcc, exec, s[30:31]
	s_cbranch_execz .LBB6_5249
; %bb.5248:                             ;   in Loop: Header=BB6_4748 Depth=3
	v_or_b32_sdwa v0, v32, s83 dst_sel:DWORD dst_unused:UNUSED_PAD src0_sel:BYTE_3 src1_sel:DWORD
	buffer_store_dword v0, off, s[0:3], s33 offset:184 ; 4-byte Folded Spill
                                        ; implicit-def: $vgpr32
.LBB6_5249:                             ;   in Loop: Header=BB6_4748 Depth=3
	s_andn2_saveexec_b64 s[30:31], vcc
	s_cbranch_execz .LBB6_5251
; %bb.5250:                             ;   in Loop: Header=BB6_4748 Depth=3
	v_cmp_lt_i32_e32 vcc, -1, v32
	v_bfrev_b32_e32 v0, 0.5
	v_mov_b32_e32 v30, 0x7c
	v_cndmask_b32_e32 v0, v0, v30, vcc
	buffer_store_dword v0, off, s[0:3], s33 offset:184 ; 4-byte Folded Spill
.LBB6_5251:                             ;   in Loop: Header=BB6_4748 Depth=3
	s_or_b64 exec, exec, s[30:31]
.LBB6_5252:                             ;   in Loop: Header=BB6_4748 Depth=3
	s_or_b64 exec, exec, s[28:29]
	v_lshrrev_b32_e32 v0, 16, v51
	v_cmp_ne_u16_sdwa vcc, v0, v34 src0_sel:BYTE_0 src1_sel:DWORD
	v_mov_b32_e32 v30, 0
	v_mov_b32_e32 v31, 0
	s_and_saveexec_b64 s[28:29], vcc
	s_cbranch_execz .LBB6_5260
; %bb.5253:                             ;   in Loop: Header=BB6_4748 Depth=3
	v_cmp_ne_u16_sdwa vcc, v0, s44 src0_sel:BYTE_0 src1_sel:DWORD
	v_bfrev_b32_e32 v31, 1
	s_and_saveexec_b64 s[30:31], vcc
	s_cbranch_execz .LBB6_5259
; %bb.5254:                             ;   in Loop: Header=BB6_4748 Depth=3
	v_and_b32_e32 v31, 0x7c0000, v51
	v_bfe_u32 v32, v51, 16, 2
	v_cmp_ne_u32_e32 vcc, s9, v31
                                        ; implicit-def: $vgpr31
	s_and_saveexec_b64 s[34:35], vcc
	s_xor_b64 s[34:35], exec, s[34:35]
	s_cbranch_execz .LBB6_5256
; %bb.5255:                             ;   in Loop: Header=BB6_4748 Depth=3
	v_ffbh_u32_e32 v33, v32
	v_min_u32_e32 v33, 32, v33
	v_subrev_u32_e32 v35, 29, v33
	v_lshlrev_b64 v[35:36], v35, v[0:1]
	v_bfe_u32 v31, v51, 18, 5
	v_sub_u32_e32 v0, 30, v33
	v_and_b32_e32 v33, 3, v35
	v_cmp_eq_u32_e32 vcc, 0, v31
	v_cndmask_b32_e32 v0, v31, v0, vcc
	v_cndmask_b32_e32 v31, v32, v33, vcc
	v_lshlrev_b32_e32 v32, 8, v51
	v_and_b32_e32 v32, 0x80000000, v32
	v_lshl_add_u32 v0, v0, 23, v32
	v_lshl_or_b32 v0, v31, 21, v0
	v_add_u32_e32 v31, 0x38000000, v0
                                        ; implicit-def: $vgpr32
                                        ; implicit-def: $vgpr0
.LBB6_5256:                             ;   in Loop: Header=BB6_4748 Depth=3
	s_andn2_saveexec_b64 s[34:35], s[34:35]
; %bb.5257:                             ;   in Loop: Header=BB6_4748 Depth=3
	v_mov_b32_e32 v31, -1
	v_cmp_gt_i16_sdwa vcc, sext(v0), v31 src0_sel:BYTE_0 src1_sel:DWORD
	v_mov_b32_e32 v0, 0xff800000
	v_mov_b32_e32 v31, 0x7f800000
	v_cndmask_b32_e32 v0, v0, v31, vcc
	v_cmp_eq_u32_e32 vcc, 0, v32
	v_mov_b32_e32 v31, 0x7f800001
	v_cndmask_b32_e32 v31, v31, v0, vcc
; %bb.5258:                             ;   in Loop: Header=BB6_4748 Depth=3
	s_or_b64 exec, exec, s[34:35]
.LBB6_5259:                             ;   in Loop: Header=BB6_4748 Depth=3
	s_or_b64 exec, exec, s[30:31]
.LBB6_5260:                             ;   in Loop: Header=BB6_4748 Depth=3
	s_or_b64 exec, exec, s[28:29]
	v_lshrrev_b32_e32 v0, 16, v39
	v_cmp_ne_u16_sdwa vcc, v0, v34 src0_sel:BYTE_0 src1_sel:DWORD
	s_and_saveexec_b64 s[28:29], vcc
	s_cbranch_execz .LBB6_5268
; %bb.5261:                             ;   in Loop: Header=BB6_4748 Depth=3
	v_cmp_ne_u16_sdwa vcc, v0, s44 src0_sel:BYTE_0 src1_sel:DWORD
	v_bfrev_b32_e32 v30, 1
	s_and_saveexec_b64 s[30:31], vcc
	s_cbranch_execz .LBB6_5267
; %bb.5262:                             ;   in Loop: Header=BB6_4748 Depth=3
	v_and_b32_e32 v30, 0x7c0000, v39
	v_bfe_u32 v32, v39, 16, 2
	v_cmp_ne_u32_e32 vcc, s9, v30
                                        ; implicit-def: $vgpr30
	s_and_saveexec_b64 s[34:35], vcc
	s_xor_b64 s[34:35], exec, s[34:35]
	s_cbranch_execz .LBB6_5264
; %bb.5263:                             ;   in Loop: Header=BB6_4748 Depth=3
	v_ffbh_u32_e32 v33, v32
	v_min_u32_e32 v33, 32, v33
	v_subrev_u32_e32 v35, 29, v33
	v_lshlrev_b64 v[35:36], v35, v[0:1]
	v_bfe_u32 v30, v39, 18, 5
	v_sub_u32_e32 v0, 30, v33
	v_and_b32_e32 v33, 3, v35
	v_cmp_eq_u32_e32 vcc, 0, v30
	v_cndmask_b32_e32 v0, v30, v0, vcc
	v_cndmask_b32_e32 v30, v32, v33, vcc
	v_lshlrev_b32_e32 v32, 8, v39
	v_and_b32_e32 v32, 0x80000000, v32
	v_lshl_add_u32 v0, v0, 23, v32
	v_lshl_or_b32 v0, v30, 21, v0
	v_add_u32_e32 v30, 0x38000000, v0
                                        ; implicit-def: $vgpr32
                                        ; implicit-def: $vgpr0
.LBB6_5264:                             ;   in Loop: Header=BB6_4748 Depth=3
	s_andn2_saveexec_b64 s[34:35], s[34:35]
; %bb.5265:                             ;   in Loop: Header=BB6_4748 Depth=3
	v_mov_b32_e32 v30, -1
	v_cmp_gt_i16_sdwa vcc, sext(v0), v30 src0_sel:BYTE_0 src1_sel:DWORD
	v_mov_b32_e32 v0, 0xff800000
	v_mov_b32_e32 v30, 0x7f800000
	v_cndmask_b32_e32 v0, v0, v30, vcc
	v_cmp_eq_u32_e32 vcc, 0, v32
	v_mov_b32_e32 v30, 0x7f800001
	v_cndmask_b32_e32 v30, v30, v0, vcc
; %bb.5266:                             ;   in Loop: Header=BB6_4748 Depth=3
	s_or_b64 exec, exec, s[34:35]
.LBB6_5267:                             ;   in Loop: Header=BB6_4748 Depth=3
	s_or_b64 exec, exec, s[30:31]
.LBB6_5268:                             ;   in Loop: Header=BB6_4748 Depth=3
	s_or_b64 exec, exec, s[28:29]
	v_mul_f32_e32 v32, v31, v30
	v_and_b32_e32 v35, 0x7f800000, v32
	v_mov_b32_e32 v36, v34
	v_cmp_ne_u64_e32 vcc, s[76:77], v[35:36]
	v_and_b32_e32 v30, 0x7fffff, v32
	v_mov_b32_e32 v31, v34
                                        ; implicit-def: $vgpr0
                                        ; kill: killed $vgpr0
	s_and_saveexec_b64 s[28:29], vcc
	s_xor_b64 s[30:31], exec, s[28:29]
	s_cbranch_execz .LBB6_5282
; %bb.5269:                             ;   in Loop: Header=BB6_4748 Depth=3
	v_and_b32_e32 v35, 0x7fffffff, v32
	v_mov_b32_e32 v36, v34
	v_cmp_gt_u64_e32 vcc, s[78:79], v[35:36]
	v_and_b32_sdwa v0, v32, s44 dst_sel:DWORD dst_unused:UNUSED_PAD src0_sel:BYTE_3 src1_sel:DWORD
                                        ; implicit-def: $vgpr33
                                        ; kill: killed $vgpr33
	s_and_saveexec_b64 s[28:29], vcc
	s_xor_b64 s[34:35], exec, s[28:29]
	s_cbranch_execz .LBB6_5279
; %bb.5270:                             ;   in Loop: Header=BB6_4748 Depth=3
	v_mov_b32_e32 v33, 0
	v_cmp_ne_u32_e32 vcc, 0, v32
	buffer_store_dword v33, off, s[0:3], s33 offset:192 ; 4-byte Folded Spill
	s_and_saveexec_b64 s[36:37], vcc
	s_cbranch_execz .LBB6_5278
; %bb.5271:                             ;   in Loop: Header=BB6_4748 Depth=3
	v_bfe_u32 v33, v32, 23, 8
	v_cmp_gt_u32_e64 s[28:29], s45, v33
	v_sub_u32_e32 v32, 0x71, v33
	v_cmp_eq_u32_e32 vcc, 0, v33
	v_cndmask_b32_e64 v32, 0, v32, s[28:29]
	v_mov_b32_e32 v35, 0x70
	v_cndmask_b32_e32 v35, v32, v35, vcc
	v_or_b32_e32 v36, 0x800000, v30
	v_add_u32_e32 v32, 21, v35
	v_cndmask_b32_e32 v30, v36, v30, vcc
	v_lshlrev_b64 v[36:37], v32, -1
	v_add_u32_e32 v32, 20, v35
	v_bfi_b32 v36, v36, 0, v30
	v_lshlrev_b64 v[48:49], v32, 1
	v_lshrrev_b64 v[30:31], v35, v[30:31]
	v_bfi_b32 v37, v37, 0, 0
	v_cmp_eq_u64_e64 s[28:29], v[36:37], v[48:49]
	v_mov_b32_e32 v32, v31
	v_mov_b32_e32 v31, v30
	s_and_saveexec_b64 s[38:39], s[28:29]
; %bb.5272:                             ;   in Loop: Header=BB6_4748 Depth=3
	v_bfe_u32 v31, v30, 21, 1
	v_add_co_u32_e64 v31, s[28:29], v30, v31
	v_add_co_u32_e64 v31, s[28:29], -1, v31
; %bb.5273:                             ;   in Loop: Header=BB6_4748 Depth=3
	s_or_b64 exec, exec, s[38:39]
	v_add_u32_e32 v32, 0xffffff81, v33
	v_mov_b32_e32 v33, 0xffffff82
	v_cndmask_b32_e32 v32, v32, v33, vcc
	v_lshrrev_b32_e32 v33, 23, v30
	v_add3_u32 v35, v35, v32, v33
	v_add_u32_e32 v33, 14, v35
	v_and_b32_e32 v31, 0x1fffff, v31
	v_add_u32_e32 v30, v31, v30
	v_mov_b32_e32 v31, v34
	v_cmp_ne_u32_e32 vcc, 0, v33
                                        ; implicit-def: $vgpr32
	s_and_saveexec_b64 s[28:29], vcc
	s_xor_b64 s[28:29], exec, s[28:29]
; %bb.5274:                             ;   in Loop: Header=BB6_4748 Depth=3
	v_cmp_lt_u64_e32 vcc, s[88:89], v[30:31]
	v_add_u32_e32 v32, 15, v35
	v_cndmask_b32_e32 v32, v33, v32, vcc
	v_cndmask_b32_e64 v33, 0, 1, vcc
	v_lshrrev_b64 v[30:31], v33, v[30:31]
; %bb.5275:                             ;   in Loop: Header=BB6_4748 Depth=3
	s_andn2_saveexec_b64 s[28:29], s[28:29]
; %bb.5276:                             ;   in Loop: Header=BB6_4748 Depth=3
	v_bfe_u32 v32, v30, 23, 1
; %bb.5277:                             ;   in Loop: Header=BB6_4748 Depth=3
	s_or_b64 exec, exec, s[28:29]
	v_lshrrev_b64 v[30:31], 21, v[30:31]
	v_cmp_gt_i32_e32 vcc, 32, v32
	v_cndmask_b32_e32 v31, 0, v31, vcc
	v_cndmask_b32_e32 v30, 3, v30, vcc
	v_cmp_eq_u64_e64 s[28:29], 0, v[30:31]
	v_min_i32_e32 v31, 31, v32
	v_lshlrev_b32_e32 v31, 2, v31
	v_cmp_eq_u32_e32 vcc, 0, v32
	v_and_b32_e32 v31, 0xfc, v31
	v_and_or_b32 v30, v30, 3, v31
	s_and_b64 s[28:29], vcc, s[28:29]
	v_cndmask_b32_e64 v30, v30, 0, s[28:29]
	v_or_b32_e32 v0, v30, v0
	buffer_store_dword v0, off, s[0:3], s33 offset:192 ; 4-byte Folded Spill
.LBB6_5278:                             ;   in Loop: Header=BB6_4748 Depth=3
	s_or_b64 exec, exec, s[36:37]
                                        ; implicit-def: $vgpr0
.LBB6_5279:                             ;   in Loop: Header=BB6_4748 Depth=3
	s_andn2_saveexec_b64 s[28:29], s[34:35]
	s_cbranch_execz .LBB6_5281
; %bb.5280:                             ;   in Loop: Header=BB6_4748 Depth=3
	v_or_b32_e32 v0, 0x7b, v0
	buffer_store_dword v0, off, s[0:3], s33 offset:192 ; 4-byte Folded Spill
.LBB6_5281:                             ;   in Loop: Header=BB6_4748 Depth=3
	s_or_b64 exec, exec, s[28:29]
                                        ; implicit-def: $vgpr32
                                        ; implicit-def: $vgpr30_vgpr31
.LBB6_5282:                             ;   in Loop: Header=BB6_4748 Depth=3
	s_andn2_saveexec_b64 s[28:29], s[30:31]
	s_cbranch_execz .LBB6_5288
; %bb.5283:                             ;   in Loop: Header=BB6_4748 Depth=3
	v_cmp_ne_u64_e32 vcc, 0, v[30:31]
                                        ; implicit-def: $vgpr0
                                        ; kill: killed $vgpr0
	s_and_saveexec_b64 s[30:31], vcc
	s_xor_b64 vcc, exec, s[30:31]
	s_cbranch_execz .LBB6_5285
; %bb.5284:                             ;   in Loop: Header=BB6_4748 Depth=3
	v_or_b32_sdwa v0, v32, s83 dst_sel:DWORD dst_unused:UNUSED_PAD src0_sel:BYTE_3 src1_sel:DWORD
	buffer_store_dword v0, off, s[0:3], s33 offset:192 ; 4-byte Folded Spill
                                        ; implicit-def: $vgpr32
.LBB6_5285:                             ;   in Loop: Header=BB6_4748 Depth=3
	s_andn2_saveexec_b64 s[30:31], vcc
	s_cbranch_execz .LBB6_5287
; %bb.5286:                             ;   in Loop: Header=BB6_4748 Depth=3
	v_cmp_lt_i32_e32 vcc, -1, v32
	v_bfrev_b32_e32 v0, 0.5
	v_mov_b32_e32 v30, 0x7c
	v_cndmask_b32_e32 v0, v0, v30, vcc
	buffer_store_dword v0, off, s[0:3], s33 offset:192 ; 4-byte Folded Spill
.LBB6_5287:                             ;   in Loop: Header=BB6_4748 Depth=3
	s_or_b64 exec, exec, s[30:31]
.LBB6_5288:                             ;   in Loop: Header=BB6_4748 Depth=3
	s_or_b64 exec, exec, s[28:29]
	v_cmp_lt_u64_e32 vcc, s[56:57], v[50:51]
	v_mov_b32_e32 v30, 0
	v_mov_b32_e32 v31, 0
	s_and_saveexec_b64 s[28:29], vcc
	s_cbranch_execz .LBB6_5296
; %bb.5289:                             ;   in Loop: Header=BB6_4748 Depth=3
	v_lshrrev_b32_e32 v0, 24, v51
	v_cmp_ne_u32_e32 vcc, s44, v0
	v_bfrev_b32_e32 v31, 1
	s_and_saveexec_b64 s[30:31], vcc
	s_cbranch_execz .LBB6_5295
; %bb.5290:                             ;   in Loop: Header=BB6_4748 Depth=3
	v_and_b32_e32 v31, 0x7c000000, v51
	v_bfe_u32 v32, v51, 24, 2
	v_cmp_ne_u32_e32 vcc, s8, v31
                                        ; implicit-def: $vgpr31
	s_and_saveexec_b64 s[34:35], vcc
	s_xor_b64 s[34:35], exec, s[34:35]
	s_cbranch_execz .LBB6_5292
; %bb.5291:                             ;   in Loop: Header=BB6_4748 Depth=3
	v_ffbh_u32_e32 v33, v32
	v_min_u32_e32 v33, 32, v33
	v_subrev_u32_e32 v35, 29, v33
	v_lshlrev_b64 v[35:36], v35, v[0:1]
	v_bfe_u32 v31, v51, 26, 5
	v_sub_u32_e32 v0, 30, v33
	v_and_b32_e32 v33, 3, v35
	v_cmp_eq_u32_e32 vcc, 0, v31
	v_cndmask_b32_e32 v0, v31, v0, vcc
	v_cndmask_b32_e32 v31, v32, v33, vcc
	v_and_b32_e32 v32, 0x80000000, v51
	v_lshl_add_u32 v0, v0, 23, v32
	v_lshl_or_b32 v0, v31, 21, v0
	v_add_u32_e32 v31, 0x38000000, v0
                                        ; implicit-def: $vgpr32
                                        ; implicit-def: $vgpr50_vgpr51
.LBB6_5292:                             ;   in Loop: Header=BB6_4748 Depth=3
	s_andn2_saveexec_b64 s[34:35], s[34:35]
; %bb.5293:                             ;   in Loop: Header=BB6_4748 Depth=3
	v_cmp_lt_i64_e32 vcc, -1, v[50:51]
	v_mov_b32_e32 v0, 0xff800000
	v_mov_b32_e32 v31, 0x7f800000
	v_cndmask_b32_e32 v0, v0, v31, vcc
	v_cmp_eq_u32_e32 vcc, 0, v32
	v_mov_b32_e32 v31, 0x7f800001
	v_cndmask_b32_e32 v31, v31, v0, vcc
; %bb.5294:                             ;   in Loop: Header=BB6_4748 Depth=3
	s_or_b64 exec, exec, s[34:35]
.LBB6_5295:                             ;   in Loop: Header=BB6_4748 Depth=3
	s_or_b64 exec, exec, s[30:31]
.LBB6_5296:                             ;   in Loop: Header=BB6_4748 Depth=3
	s_or_b64 exec, exec, s[28:29]
	v_cmp_lt_u64_e32 vcc, s[56:57], v[38:39]
	s_and_saveexec_b64 s[28:29], vcc
	s_cbranch_execz .LBB6_5304
; %bb.5297:                             ;   in Loop: Header=BB6_4748 Depth=3
	v_lshrrev_b32_e32 v0, 24, v39
	v_cmp_ne_u32_e32 vcc, s44, v0
	v_bfrev_b32_e32 v30, 1
	s_and_saveexec_b64 s[30:31], vcc
	s_cbranch_execz .LBB6_5303
; %bb.5298:                             ;   in Loop: Header=BB6_4748 Depth=3
	v_and_b32_e32 v30, 0x7c000000, v39
	v_bfe_u32 v32, v39, 24, 2
	v_cmp_ne_u32_e32 vcc, s8, v30
                                        ; implicit-def: $vgpr30
	s_and_saveexec_b64 s[34:35], vcc
	s_xor_b64 s[34:35], exec, s[34:35]
	s_cbranch_execz .LBB6_5300
; %bb.5299:                             ;   in Loop: Header=BB6_4748 Depth=3
	v_ffbh_u32_e32 v33, v32
	v_min_u32_e32 v33, 32, v33
	v_subrev_u32_e32 v35, 29, v33
	v_lshlrev_b64 v[35:36], v35, v[0:1]
	v_bfe_u32 v30, v39, 26, 5
	v_sub_u32_e32 v0, 30, v33
	v_and_b32_e32 v33, 3, v35
	v_cmp_eq_u32_e32 vcc, 0, v30
	v_cndmask_b32_e32 v0, v30, v0, vcc
	v_cndmask_b32_e32 v30, v32, v33, vcc
	v_and_b32_e32 v32, 0x80000000, v39
	v_lshl_add_u32 v0, v0, 23, v32
	v_lshl_or_b32 v0, v30, 21, v0
	v_add_u32_e32 v30, 0x38000000, v0
                                        ; implicit-def: $vgpr32
                                        ; implicit-def: $vgpr38_vgpr39
.LBB6_5300:                             ;   in Loop: Header=BB6_4748 Depth=3
	s_andn2_saveexec_b64 s[34:35], s[34:35]
; %bb.5301:                             ;   in Loop: Header=BB6_4748 Depth=3
	v_cmp_lt_i64_e32 vcc, -1, v[38:39]
	v_mov_b32_e32 v0, 0xff800000
	v_mov_b32_e32 v30, 0x7f800000
	v_cndmask_b32_e32 v0, v0, v30, vcc
	v_cmp_eq_u32_e32 vcc, 0, v32
	v_mov_b32_e32 v30, 0x7f800001
	v_cndmask_b32_e32 v30, v30, v0, vcc
; %bb.5302:                             ;   in Loop: Header=BB6_4748 Depth=3
	s_or_b64 exec, exec, s[34:35]
.LBB6_5303:                             ;   in Loop: Header=BB6_4748 Depth=3
	s_or_b64 exec, exec, s[30:31]
.LBB6_5304:                             ;   in Loop: Header=BB6_4748 Depth=3
	s_or_b64 exec, exec, s[28:29]
	v_mul_f32_e32 v32, v31, v30
	v_and_b32_e32 v35, 0x7f800000, v32
	v_mov_b32_e32 v36, v34
	v_cmp_ne_u64_e32 vcc, s[76:77], v[35:36]
	v_and_b32_e32 v30, 0x7fffff, v32
	v_mov_b32_e32 v31, v34
                                        ; implicit-def: $vgpr0
                                        ; kill: killed $vgpr0
	s_and_saveexec_b64 s[28:29], vcc
	s_xor_b64 s[30:31], exec, s[28:29]
	s_cbranch_execz .LBB6_5318
; %bb.5305:                             ;   in Loop: Header=BB6_4748 Depth=3
	v_and_b32_e32 v35, 0x7fffffff, v32
	v_mov_b32_e32 v36, v34
	v_cmp_gt_u64_e32 vcc, s[78:79], v[35:36]
	v_and_b32_sdwa v0, v32, s44 dst_sel:DWORD dst_unused:UNUSED_PAD src0_sel:BYTE_3 src1_sel:DWORD
                                        ; implicit-def: $vgpr33
                                        ; kill: killed $vgpr33
	s_and_saveexec_b64 s[28:29], vcc
	s_xor_b64 s[34:35], exec, s[28:29]
	s_cbranch_execz .LBB6_5315
; %bb.5306:                             ;   in Loop: Header=BB6_4748 Depth=3
	v_mov_b32_e32 v33, 0
	v_cmp_ne_u32_e32 vcc, 0, v32
	buffer_store_dword v33, off, s[0:3], s33 offset:200 ; 4-byte Folded Spill
	s_and_saveexec_b64 s[36:37], vcc
	s_cbranch_execz .LBB6_5314
; %bb.5307:                             ;   in Loop: Header=BB6_4748 Depth=3
	v_bfe_u32 v33, v32, 23, 8
	v_cmp_gt_u32_e64 s[28:29], s45, v33
	v_sub_u32_e32 v32, 0x71, v33
	v_cmp_eq_u32_e32 vcc, 0, v33
	v_cndmask_b32_e64 v32, 0, v32, s[28:29]
	v_mov_b32_e32 v35, 0x70
	v_cndmask_b32_e32 v35, v32, v35, vcc
	v_or_b32_e32 v36, 0x800000, v30
	v_add_u32_e32 v32, 21, v35
	v_cndmask_b32_e32 v30, v36, v30, vcc
	v_lshlrev_b64 v[36:37], v32, -1
	v_add_u32_e32 v32, 20, v35
	v_bfi_b32 v36, v36, 0, v30
	v_lshlrev_b64 v[38:39], v32, 1
	v_lshrrev_b64 v[30:31], v35, v[30:31]
	v_bfi_b32 v37, v37, 0, 0
	v_cmp_eq_u64_e64 s[28:29], v[36:37], v[38:39]
	v_mov_b32_e32 v32, v31
	v_mov_b32_e32 v31, v30
	s_and_saveexec_b64 s[38:39], s[28:29]
; %bb.5308:                             ;   in Loop: Header=BB6_4748 Depth=3
	v_bfe_u32 v31, v30, 21, 1
	v_add_co_u32_e64 v31, s[28:29], v30, v31
	v_add_co_u32_e64 v31, s[28:29], -1, v31
; %bb.5309:                             ;   in Loop: Header=BB6_4748 Depth=3
	s_or_b64 exec, exec, s[38:39]
	v_add_u32_e32 v32, 0xffffff81, v33
	v_mov_b32_e32 v33, 0xffffff82
	v_cndmask_b32_e32 v32, v32, v33, vcc
	v_lshrrev_b32_e32 v33, 23, v30
	v_add3_u32 v35, v35, v32, v33
	v_add_u32_e32 v33, 14, v35
	v_and_b32_e32 v31, 0x1fffff, v31
	v_add_u32_e32 v30, v31, v30
	v_mov_b32_e32 v31, v34
	v_cmp_ne_u32_e32 vcc, 0, v33
                                        ; implicit-def: $vgpr32
	s_and_saveexec_b64 s[28:29], vcc
	s_xor_b64 s[28:29], exec, s[28:29]
; %bb.5310:                             ;   in Loop: Header=BB6_4748 Depth=3
	v_cmp_lt_u64_e32 vcc, s[88:89], v[30:31]
	v_add_u32_e32 v32, 15, v35
	v_cndmask_b32_e32 v32, v33, v32, vcc
	v_cndmask_b32_e64 v33, 0, 1, vcc
	v_lshrrev_b64 v[30:31], v33, v[30:31]
; %bb.5311:                             ;   in Loop: Header=BB6_4748 Depth=3
	s_andn2_saveexec_b64 s[28:29], s[28:29]
; %bb.5312:                             ;   in Loop: Header=BB6_4748 Depth=3
	v_bfe_u32 v32, v30, 23, 1
; %bb.5313:                             ;   in Loop: Header=BB6_4748 Depth=3
	s_or_b64 exec, exec, s[28:29]
	v_lshrrev_b64 v[30:31], 21, v[30:31]
	v_cmp_gt_i32_e32 vcc, 32, v32
	v_cndmask_b32_e32 v31, 0, v31, vcc
	v_cndmask_b32_e32 v30, 3, v30, vcc
	v_cmp_eq_u64_e64 s[28:29], 0, v[30:31]
	v_min_i32_e32 v31, 31, v32
	v_lshlrev_b32_e32 v31, 2, v31
	v_cmp_eq_u32_e32 vcc, 0, v32
	v_and_b32_e32 v31, 0xfc, v31
	v_and_or_b32 v30, v30, 3, v31
	s_and_b64 s[28:29], vcc, s[28:29]
	v_cndmask_b32_e64 v30, v30, 0, s[28:29]
	v_or_b32_e32 v0, v30, v0
	buffer_store_dword v0, off, s[0:3], s33 offset:200 ; 4-byte Folded Spill
.LBB6_5314:                             ;   in Loop: Header=BB6_4748 Depth=3
	s_or_b64 exec, exec, s[36:37]
                                        ; implicit-def: $vgpr0
.LBB6_5315:                             ;   in Loop: Header=BB6_4748 Depth=3
	s_andn2_saveexec_b64 s[28:29], s[34:35]
	s_cbranch_execz .LBB6_5317
; %bb.5316:                             ;   in Loop: Header=BB6_4748 Depth=3
	v_or_b32_e32 v0, 0x7b, v0
	buffer_store_dword v0, off, s[0:3], s33 offset:200 ; 4-byte Folded Spill
.LBB6_5317:                             ;   in Loop: Header=BB6_4748 Depth=3
	s_or_b64 exec, exec, s[28:29]
                                        ; implicit-def: $vgpr32
                                        ; implicit-def: $vgpr30_vgpr31
.LBB6_5318:                             ;   in Loop: Header=BB6_4748 Depth=3
	s_andn2_saveexec_b64 s[28:29], s[30:31]
	s_cbranch_execz .LBB6_5324
; %bb.5319:                             ;   in Loop: Header=BB6_4748 Depth=3
	v_cmp_ne_u64_e32 vcc, 0, v[30:31]
                                        ; implicit-def: $vgpr0
                                        ; kill: killed $vgpr0
	s_and_saveexec_b64 s[30:31], vcc
	s_xor_b64 vcc, exec, s[30:31]
	s_cbranch_execz .LBB6_5321
; %bb.5320:                             ;   in Loop: Header=BB6_4748 Depth=3
	v_or_b32_sdwa v0, v32, s83 dst_sel:DWORD dst_unused:UNUSED_PAD src0_sel:BYTE_3 src1_sel:DWORD
	buffer_store_dword v0, off, s[0:3], s33 offset:200 ; 4-byte Folded Spill
                                        ; implicit-def: $vgpr32
.LBB6_5321:                             ;   in Loop: Header=BB6_4748 Depth=3
	s_andn2_saveexec_b64 s[30:31], vcc
	s_cbranch_execz .LBB6_5323
; %bb.5322:                             ;   in Loop: Header=BB6_4748 Depth=3
	v_cmp_lt_i32_e32 vcc, -1, v32
	v_bfrev_b32_e32 v0, 0.5
	v_mov_b32_e32 v30, 0x7c
	v_cndmask_b32_e32 v0, v0, v30, vcc
	buffer_store_dword v0, off, s[0:3], s33 offset:200 ; 4-byte Folded Spill
.LBB6_5323:                             ;   in Loop: Header=BB6_4748 Depth=3
	s_or_b64 exec, exec, s[30:31]
.LBB6_5324:                             ;   in Loop: Header=BB6_4748 Depth=3
	s_or_b64 exec, exec, s[28:29]
	v_cmp_ne_u16_sdwa vcc, v26, v34 src0_sel:BYTE_0 src1_sel:DWORD
	v_mov_b32_e32 v0, 0
	v_mov_b32_e32 v30, 0
	s_and_saveexec_b64 s[28:29], vcc
	s_cbranch_execz .LBB6_5332
; %bb.5325:                             ;   in Loop: Header=BB6_4748 Depth=3
	v_cmp_ne_u16_sdwa vcc, sext(v26), s80 src0_sel:BYTE_0 src1_sel:DWORD
	v_bfrev_b32_e32 v30, 1
	s_and_saveexec_b64 s[30:31], vcc
	s_cbranch_execz .LBB6_5331
; %bb.5326:                             ;   in Loop: Header=BB6_4748 Depth=3
	v_and_b32_e32 v30, 0x7c, v26
	v_and_b32_e32 v31, 3, v26
	v_cmp_ne_u32_e32 vcc, s81, v30
                                        ; implicit-def: $vgpr30
	s_and_saveexec_b64 s[34:35], vcc
	s_xor_b64 s[34:35], exec, s[34:35]
	s_cbranch_execz .LBB6_5328
; %bb.5327:                             ;   in Loop: Header=BB6_4748 Depth=3
	v_ffbh_u32_e32 v32, v31
	v_min_u32_e32 v35, 32, v32
	v_subrev_u32_e32 v32, 29, v35
	v_lshlrev_b64 v[32:33], v32, v[26:27]
	v_bfe_u32 v30, v26, 2, 5
	v_and_b32_e32 v32, 3, v32
	v_cmp_eq_u32_e32 vcc, 0, v30
	v_sub_u32_e32 v33, 30, v35
	v_cndmask_b32_e32 v31, v31, v32, vcc
	v_lshlrev_b32_e32 v32, 24, v26
	v_cndmask_b32_e32 v30, v30, v33, vcc
	v_and_b32_e32 v32, 0x80000000, v32
	v_lshl_add_u32 v30, v30, 23, v32
	v_lshl_or_b32 v30, v31, 21, v30
	v_add_u32_e32 v30, 0x38000000, v30
                                        ; implicit-def: $vgpr31
.LBB6_5328:                             ;   in Loop: Header=BB6_4748 Depth=3
	s_andn2_saveexec_b64 s[34:35], s[34:35]
; %bb.5329:                             ;   in Loop: Header=BB6_4748 Depth=3
	v_mov_b32_e32 v30, -1
	v_cmp_gt_i16_sdwa vcc, sext(v26), v30 src0_sel:BYTE_0 src1_sel:DWORD
	v_mov_b32_e32 v30, 0xff800000
	v_mov_b32_e32 v32, 0x7f800000
	v_cndmask_b32_e32 v30, v30, v32, vcc
	v_cmp_eq_u32_e32 vcc, 0, v31
	v_mov_b32_e32 v31, 0x7f800001
	v_cndmask_b32_e32 v30, v31, v30, vcc
; %bb.5330:                             ;   in Loop: Header=BB6_4748 Depth=3
	s_or_b64 exec, exec, s[34:35]
.LBB6_5331:                             ;   in Loop: Header=BB6_4748 Depth=3
	s_or_b64 exec, exec, s[30:31]
.LBB6_5332:                             ;   in Loop: Header=BB6_4748 Depth=3
	s_or_b64 exec, exec, s[28:29]
	s_waitcnt vmcnt(2)
	v_cmp_ne_u16_sdwa vcc, v3, v34 src0_sel:BYTE_0 src1_sel:DWORD
	s_and_saveexec_b64 s[28:29], vcc
	s_cbranch_execz .LBB6_5340
; %bb.5333:                             ;   in Loop: Header=BB6_4748 Depth=3
	v_cmp_ne_u16_sdwa vcc, sext(v3), s80 src0_sel:BYTE_0 src1_sel:DWORD
	v_bfrev_b32_e32 v0, 1
	s_and_saveexec_b64 s[30:31], vcc
	s_cbranch_execz .LBB6_5339
; %bb.5334:                             ;   in Loop: Header=BB6_4748 Depth=3
	v_and_b32_e32 v0, 0x7c, v3
	v_and_b32_e32 v31, 3, v3
	v_cmp_ne_u32_e32 vcc, s81, v0
                                        ; implicit-def: $vgpr0
	s_and_saveexec_b64 s[34:35], vcc
	s_xor_b64 s[34:35], exec, s[34:35]
	s_cbranch_execz .LBB6_5336
; %bb.5335:                             ;   in Loop: Header=BB6_4748 Depth=3
	v_ffbh_u32_e32 v32, v31
	v_min_u32_e32 v35, 32, v32
	v_subrev_u32_e32 v32, 29, v35
	v_lshlrev_b64 v[32:33], v32, v[3:4]
	v_bfe_u32 v0, v3, 2, 5
	v_and_b32_e32 v32, 3, v32
	v_cmp_eq_u32_e32 vcc, 0, v0
	v_sub_u32_e32 v33, 30, v35
	v_cndmask_b32_e32 v31, v31, v32, vcc
	v_lshlrev_b32_e32 v32, 24, v3
	v_cndmask_b32_e32 v0, v0, v33, vcc
	v_and_b32_e32 v32, 0x80000000, v32
	v_lshl_add_u32 v0, v0, 23, v32
	v_lshl_or_b32 v0, v31, 21, v0
	v_add_u32_e32 v0, 0x38000000, v0
                                        ; implicit-def: $vgpr31
.LBB6_5336:                             ;   in Loop: Header=BB6_4748 Depth=3
	s_andn2_saveexec_b64 s[34:35], s[34:35]
; %bb.5337:                             ;   in Loop: Header=BB6_4748 Depth=3
	v_mov_b32_e32 v0, -1
	v_cmp_gt_i16_sdwa vcc, sext(v3), v0 src0_sel:BYTE_0 src1_sel:DWORD
	v_mov_b32_e32 v0, 0xff800000
	v_mov_b32_e32 v32, 0x7f800000
	v_cndmask_b32_e32 v0, v0, v32, vcc
	v_cmp_eq_u32_e32 vcc, 0, v31
	v_mov_b32_e32 v31, 0x7f800001
	v_cndmask_b32_e32 v0, v31, v0, vcc
; %bb.5338:                             ;   in Loop: Header=BB6_4748 Depth=3
	s_or_b64 exec, exec, s[34:35]
.LBB6_5339:                             ;   in Loop: Header=BB6_4748 Depth=3
	s_or_b64 exec, exec, s[30:31]
.LBB6_5340:                             ;   in Loop: Header=BB6_4748 Depth=3
	s_or_b64 exec, exec, s[28:29]
	v_mul_f32_e32 v32, v30, v0
	v_and_b32_e32 v35, 0x7f800000, v32
	v_mov_b32_e32 v36, v34
	v_cmp_ne_u64_e32 vcc, s[76:77], v[35:36]
	v_and_b32_e32 v30, 0x7fffff, v32
	v_mov_b32_e32 v31, v34
                                        ; implicit-def: $vgpr0
                                        ; kill: killed $vgpr0
	s_and_saveexec_b64 s[28:29], vcc
	s_xor_b64 s[30:31], exec, s[28:29]
	s_cbranch_execz .LBB6_5354
; %bb.5341:                             ;   in Loop: Header=BB6_4748 Depth=3
	v_and_b32_e32 v35, 0x7fffffff, v32
	v_mov_b32_e32 v36, v34
	v_cmp_gt_u64_e32 vcc, s[78:79], v[35:36]
	v_and_b32_sdwa v0, v32, s44 dst_sel:DWORD dst_unused:UNUSED_PAD src0_sel:BYTE_3 src1_sel:DWORD
                                        ; implicit-def: $vgpr33
                                        ; kill: killed $vgpr33
	s_and_saveexec_b64 s[28:29], vcc
	s_xor_b64 s[34:35], exec, s[28:29]
	s_cbranch_execz .LBB6_5351
; %bb.5342:                             ;   in Loop: Header=BB6_4748 Depth=3
	v_mov_b32_e32 v33, 0
	v_cmp_ne_u32_e32 vcc, 0, v32
	buffer_store_dword v33, off, s[0:3], s33 offset:208 ; 4-byte Folded Spill
	s_and_saveexec_b64 s[36:37], vcc
	s_cbranch_execz .LBB6_5350
; %bb.5343:                             ;   in Loop: Header=BB6_4748 Depth=3
	v_bfe_u32 v33, v32, 23, 8
	v_cmp_gt_u32_e64 s[28:29], s45, v33
	v_sub_u32_e32 v32, 0x71, v33
	v_cmp_eq_u32_e32 vcc, 0, v33
	v_cndmask_b32_e64 v32, 0, v32, s[28:29]
	v_mov_b32_e32 v35, 0x70
	v_cndmask_b32_e32 v35, v32, v35, vcc
	v_or_b32_e32 v36, 0x800000, v30
	v_add_u32_e32 v32, 21, v35
	v_cndmask_b32_e32 v30, v36, v30, vcc
	v_lshlrev_b64 v[36:37], v32, -1
	v_add_u32_e32 v32, 20, v35
	v_bfi_b32 v36, v36, 0, v30
	v_lshlrev_b64 v[38:39], v32, 1
	v_lshrrev_b64 v[30:31], v35, v[30:31]
	v_bfi_b32 v37, v37, 0, 0
	v_cmp_eq_u64_e64 s[28:29], v[36:37], v[38:39]
	v_mov_b32_e32 v32, v31
	v_mov_b32_e32 v31, v30
	s_and_saveexec_b64 s[38:39], s[28:29]
; %bb.5344:                             ;   in Loop: Header=BB6_4748 Depth=3
	v_bfe_u32 v31, v30, 21, 1
	v_add_co_u32_e64 v31, s[28:29], v30, v31
	v_add_co_u32_e64 v31, s[28:29], -1, v31
; %bb.5345:                             ;   in Loop: Header=BB6_4748 Depth=3
	s_or_b64 exec, exec, s[38:39]
	v_add_u32_e32 v32, 0xffffff81, v33
	v_mov_b32_e32 v33, 0xffffff82
	v_cndmask_b32_e32 v32, v32, v33, vcc
	v_lshrrev_b32_e32 v33, 23, v30
	v_add3_u32 v35, v35, v32, v33
	v_add_u32_e32 v33, 14, v35
	v_and_b32_e32 v31, 0x1fffff, v31
	v_add_u32_e32 v30, v31, v30
	v_mov_b32_e32 v31, v34
	v_cmp_ne_u32_e32 vcc, 0, v33
                                        ; implicit-def: $vgpr32
	s_and_saveexec_b64 s[28:29], vcc
	s_xor_b64 s[28:29], exec, s[28:29]
; %bb.5346:                             ;   in Loop: Header=BB6_4748 Depth=3
	v_cmp_lt_u64_e32 vcc, s[88:89], v[30:31]
	v_add_u32_e32 v32, 15, v35
	v_cndmask_b32_e32 v32, v33, v32, vcc
	v_cndmask_b32_e64 v33, 0, 1, vcc
	v_lshrrev_b64 v[30:31], v33, v[30:31]
; %bb.5347:                             ;   in Loop: Header=BB6_4748 Depth=3
	s_andn2_saveexec_b64 s[28:29], s[28:29]
; %bb.5348:                             ;   in Loop: Header=BB6_4748 Depth=3
	v_bfe_u32 v32, v30, 23, 1
; %bb.5349:                             ;   in Loop: Header=BB6_4748 Depth=3
	s_or_b64 exec, exec, s[28:29]
	v_lshrrev_b64 v[30:31], 21, v[30:31]
	v_cmp_gt_i32_e32 vcc, 32, v32
	v_cndmask_b32_e32 v31, 0, v31, vcc
	v_cndmask_b32_e32 v30, 3, v30, vcc
	v_cmp_eq_u64_e64 s[28:29], 0, v[30:31]
	v_min_i32_e32 v31, 31, v32
	v_lshlrev_b32_e32 v31, 2, v31
	v_cmp_eq_u32_e32 vcc, 0, v32
	v_and_b32_e32 v31, 0xfc, v31
	v_and_or_b32 v30, v30, 3, v31
	s_and_b64 s[28:29], vcc, s[28:29]
	v_cndmask_b32_e64 v30, v30, 0, s[28:29]
	v_or_b32_e32 v0, v30, v0
	buffer_store_dword v0, off, s[0:3], s33 offset:208 ; 4-byte Folded Spill
.LBB6_5350:                             ;   in Loop: Header=BB6_4748 Depth=3
	s_or_b64 exec, exec, s[36:37]
                                        ; implicit-def: $vgpr0
.LBB6_5351:                             ;   in Loop: Header=BB6_4748 Depth=3
	s_andn2_saveexec_b64 s[28:29], s[34:35]
	s_cbranch_execz .LBB6_5353
; %bb.5352:                             ;   in Loop: Header=BB6_4748 Depth=3
	v_or_b32_e32 v0, 0x7b, v0
	buffer_store_dword v0, off, s[0:3], s33 offset:208 ; 4-byte Folded Spill
.LBB6_5353:                             ;   in Loop: Header=BB6_4748 Depth=3
	s_or_b64 exec, exec, s[28:29]
                                        ; implicit-def: $vgpr32
                                        ; implicit-def: $vgpr30_vgpr31
.LBB6_5354:                             ;   in Loop: Header=BB6_4748 Depth=3
	s_andn2_saveexec_b64 s[28:29], s[30:31]
	s_cbranch_execz .LBB6_5360
; %bb.5355:                             ;   in Loop: Header=BB6_4748 Depth=3
	v_cmp_ne_u64_e32 vcc, 0, v[30:31]
                                        ; implicit-def: $vgpr0
                                        ; kill: killed $vgpr0
	s_and_saveexec_b64 s[30:31], vcc
	s_xor_b64 vcc, exec, s[30:31]
	s_cbranch_execz .LBB6_5357
; %bb.5356:                             ;   in Loop: Header=BB6_4748 Depth=3
	v_or_b32_sdwa v0, v32, s83 dst_sel:DWORD dst_unused:UNUSED_PAD src0_sel:BYTE_3 src1_sel:DWORD
	buffer_store_dword v0, off, s[0:3], s33 offset:208 ; 4-byte Folded Spill
                                        ; implicit-def: $vgpr32
.LBB6_5357:                             ;   in Loop: Header=BB6_4748 Depth=3
	s_andn2_saveexec_b64 s[30:31], vcc
	s_cbranch_execz .LBB6_5359
; %bb.5358:                             ;   in Loop: Header=BB6_4748 Depth=3
	v_cmp_lt_i32_e32 vcc, -1, v32
	v_bfrev_b32_e32 v0, 0.5
	v_mov_b32_e32 v30, 0x7c
	v_cndmask_b32_e32 v0, v0, v30, vcc
	buffer_store_dword v0, off, s[0:3], s33 offset:208 ; 4-byte Folded Spill
.LBB6_5359:                             ;   in Loop: Header=BB6_4748 Depth=3
	s_or_b64 exec, exec, s[30:31]
.LBB6_5360:                             ;   in Loop: Header=BB6_4748 Depth=3
	s_or_b64 exec, exec, s[28:29]
	v_lshrrev_b16_e32 v30, 8, v26
	v_cmp_ne_u16_e32 vcc, 0, v30
	v_mov_b32_e32 v0, 0
	v_mov_b32_e32 v32, 0
	s_and_saveexec_b64 s[28:29], vcc
	s_cbranch_execz .LBB6_5368
; %bb.5361:                             ;   in Loop: Header=BB6_4748 Depth=3
	v_cmp_ne_u16_e32 vcc, s44, v30
	v_bfrev_b32_e32 v32, 1
	s_and_saveexec_b64 s[30:31], vcc
	s_cbranch_execz .LBB6_5367
; %bb.5362:                             ;   in Loop: Header=BB6_4748 Depth=3
	v_and_b32_e32 v31, 0x7c, v30
	v_and_b32_e32 v33, 3, v30
	v_cmp_ne_u32_e32 vcc, s81, v31
                                        ; implicit-def: $vgpr32
	s_and_saveexec_b64 s[34:35], vcc
	s_xor_b64 s[34:35], exec, s[34:35]
	s_cbranch_execz .LBB6_5364
; %bb.5363:                             ;   in Loop: Header=BB6_4748 Depth=3
	v_ffbh_u32_e32 v35, v33
	v_min_u32_e32 v35, 32, v35
	v_mov_b32_e32 v31, v34
	v_subrev_u32_e32 v36, 29, v35
	v_bfe_u32 v32, v30, 2, 5
	v_lshlrev_b64 v[30:31], v36, v[30:31]
	v_sub_u32_e32 v31, 30, v35
	v_cmp_eq_u32_e32 vcc, 0, v32
	v_cndmask_b32_e32 v31, v32, v31, vcc
	v_lshlrev_b32_e32 v32, 16, v26
	v_and_b32_e32 v30, 3, v30
	v_and_b32_e32 v32, 0x80000000, v32
	v_cndmask_b32_e32 v30, v33, v30, vcc
	v_lshl_add_u32 v31, v31, 23, v32
	v_lshl_or_b32 v30, v30, 21, v31
	v_add_u32_e32 v32, 0x38000000, v30
                                        ; implicit-def: $vgpr33
.LBB6_5364:                             ;   in Loop: Header=BB6_4748 Depth=3
	s_andn2_saveexec_b64 s[34:35], s[34:35]
; %bb.5365:                             ;   in Loop: Header=BB6_4748 Depth=3
	v_cmp_lt_i16_e32 vcc, -1, v26
	v_mov_b32_e32 v30, 0xff800000
	v_mov_b32_e32 v31, 0x7f800000
	v_cndmask_b32_e32 v30, v30, v31, vcc
	v_cmp_eq_u32_e32 vcc, 0, v33
	v_mov_b32_e32 v31, 0x7f800001
	v_cndmask_b32_e32 v32, v31, v30, vcc
; %bb.5366:                             ;   in Loop: Header=BB6_4748 Depth=3
	s_or_b64 exec, exec, s[34:35]
.LBB6_5367:                             ;   in Loop: Header=BB6_4748 Depth=3
	s_or_b64 exec, exec, s[30:31]
.LBB6_5368:                             ;   in Loop: Header=BB6_4748 Depth=3
	s_or_b64 exec, exec, s[28:29]
	v_lshrrev_b16_e32 v30, 8, v3
	v_cmp_ne_u16_e32 vcc, 0, v30
	s_and_saveexec_b64 s[28:29], vcc
	s_cbranch_execz .LBB6_5376
; %bb.5369:                             ;   in Loop: Header=BB6_4748 Depth=3
	v_cmp_ne_u16_e32 vcc, s44, v30
	v_bfrev_b32_e32 v0, 1
	s_and_saveexec_b64 s[30:31], vcc
	s_cbranch_execz .LBB6_5375
; %bb.5370:                             ;   in Loop: Header=BB6_4748 Depth=3
	v_and_b32_e32 v0, 0x7c, v30
	v_and_b32_e32 v33, 3, v30
	v_cmp_ne_u32_e32 vcc, s81, v0
                                        ; implicit-def: $vgpr0
	s_and_saveexec_b64 s[34:35], vcc
	s_xor_b64 s[34:35], exec, s[34:35]
	s_cbranch_execz .LBB6_5372
; %bb.5371:                             ;   in Loop: Header=BB6_4748 Depth=3
	v_ffbh_u32_e32 v35, v33
	v_min_u32_e32 v35, 32, v35
	v_mov_b32_e32 v31, v34
	v_subrev_u32_e32 v36, 29, v35
	v_bfe_u32 v0, v30, 2, 5
	v_lshlrev_b64 v[30:31], v36, v[30:31]
	v_sub_u32_e32 v31, 30, v35
	v_cmp_eq_u32_e32 vcc, 0, v0
	v_cndmask_b32_e32 v0, v0, v31, vcc
	v_lshlrev_b32_e32 v31, 16, v3
	v_and_b32_e32 v30, 3, v30
	v_and_b32_e32 v31, 0x80000000, v31
	v_cndmask_b32_e32 v30, v33, v30, vcc
	v_lshl_add_u32 v0, v0, 23, v31
	v_lshl_or_b32 v0, v30, 21, v0
	v_add_u32_e32 v0, 0x38000000, v0
                                        ; implicit-def: $vgpr33
.LBB6_5372:                             ;   in Loop: Header=BB6_4748 Depth=3
	s_andn2_saveexec_b64 s[34:35], s[34:35]
; %bb.5373:                             ;   in Loop: Header=BB6_4748 Depth=3
	v_cmp_lt_i16_e32 vcc, -1, v3
	v_mov_b32_e32 v0, 0xff800000
	v_mov_b32_e32 v30, 0x7f800000
	v_cndmask_b32_e32 v0, v0, v30, vcc
	v_cmp_eq_u32_e32 vcc, 0, v33
	v_mov_b32_e32 v30, 0x7f800001
	v_cndmask_b32_e32 v0, v30, v0, vcc
; %bb.5374:                             ;   in Loop: Header=BB6_4748 Depth=3
	s_or_b64 exec, exec, s[34:35]
.LBB6_5375:                             ;   in Loop: Header=BB6_4748 Depth=3
	s_or_b64 exec, exec, s[30:31]
.LBB6_5376:                             ;   in Loop: Header=BB6_4748 Depth=3
	s_or_b64 exec, exec, s[28:29]
	v_mul_f32_e32 v32, v32, v0
	v_and_b32_e32 v35, 0x7f800000, v32
	v_mov_b32_e32 v36, v34
	v_cmp_ne_u64_e32 vcc, s[76:77], v[35:36]
	v_and_b32_e32 v30, 0x7fffff, v32
	v_mov_b32_e32 v31, v34
                                        ; implicit-def: $vgpr0
                                        ; kill: killed $vgpr0
	s_and_saveexec_b64 s[28:29], vcc
	s_xor_b64 s[30:31], exec, s[28:29]
	s_cbranch_execz .LBB6_5390
; %bb.5377:                             ;   in Loop: Header=BB6_4748 Depth=3
	v_and_b32_e32 v35, 0x7fffffff, v32
	v_mov_b32_e32 v36, v34
	v_cmp_gt_u64_e32 vcc, s[78:79], v[35:36]
	v_and_b32_sdwa v0, v32, s44 dst_sel:DWORD dst_unused:UNUSED_PAD src0_sel:BYTE_3 src1_sel:DWORD
                                        ; implicit-def: $vgpr33
                                        ; kill: killed $vgpr33
	s_and_saveexec_b64 s[28:29], vcc
	s_xor_b64 s[34:35], exec, s[28:29]
	s_cbranch_execz .LBB6_5387
; %bb.5378:                             ;   in Loop: Header=BB6_4748 Depth=3
	v_mov_b32_e32 v33, 0
	v_cmp_ne_u32_e32 vcc, 0, v32
	buffer_store_dword v33, off, s[0:3], s33 offset:216 ; 4-byte Folded Spill
	s_and_saveexec_b64 s[36:37], vcc
	s_cbranch_execz .LBB6_5386
; %bb.5379:                             ;   in Loop: Header=BB6_4748 Depth=3
	v_bfe_u32 v33, v32, 23, 8
	v_cmp_gt_u32_e64 s[28:29], s45, v33
	v_sub_u32_e32 v32, 0x71, v33
	v_cmp_eq_u32_e32 vcc, 0, v33
	v_cndmask_b32_e64 v32, 0, v32, s[28:29]
	v_mov_b32_e32 v35, 0x70
	v_cndmask_b32_e32 v35, v32, v35, vcc
	v_or_b32_e32 v36, 0x800000, v30
	v_add_u32_e32 v32, 21, v35
	v_cndmask_b32_e32 v30, v36, v30, vcc
	v_lshlrev_b64 v[36:37], v32, -1
	v_add_u32_e32 v32, 20, v35
	v_bfi_b32 v36, v36, 0, v30
	v_lshlrev_b64 v[38:39], v32, 1
	v_lshrrev_b64 v[30:31], v35, v[30:31]
	v_bfi_b32 v37, v37, 0, 0
	v_cmp_eq_u64_e64 s[28:29], v[36:37], v[38:39]
	v_mov_b32_e32 v32, v31
	v_mov_b32_e32 v31, v30
	s_and_saveexec_b64 s[38:39], s[28:29]
; %bb.5380:                             ;   in Loop: Header=BB6_4748 Depth=3
	v_bfe_u32 v31, v30, 21, 1
	v_add_co_u32_e64 v31, s[28:29], v30, v31
	v_add_co_u32_e64 v31, s[28:29], -1, v31
; %bb.5381:                             ;   in Loop: Header=BB6_4748 Depth=3
	s_or_b64 exec, exec, s[38:39]
	v_add_u32_e32 v32, 0xffffff81, v33
	v_mov_b32_e32 v33, 0xffffff82
	v_cndmask_b32_e32 v32, v32, v33, vcc
	v_lshrrev_b32_e32 v33, 23, v30
	v_add3_u32 v35, v35, v32, v33
	v_add_u32_e32 v33, 14, v35
	v_and_b32_e32 v31, 0x1fffff, v31
	v_add_u32_e32 v30, v31, v30
	v_mov_b32_e32 v31, v34
	v_cmp_ne_u32_e32 vcc, 0, v33
                                        ; implicit-def: $vgpr32
	s_and_saveexec_b64 s[28:29], vcc
	s_xor_b64 s[28:29], exec, s[28:29]
; %bb.5382:                             ;   in Loop: Header=BB6_4748 Depth=3
	v_cmp_lt_u64_e32 vcc, s[88:89], v[30:31]
	v_add_u32_e32 v32, 15, v35
	v_cndmask_b32_e32 v32, v33, v32, vcc
	v_cndmask_b32_e64 v33, 0, 1, vcc
	v_lshrrev_b64 v[30:31], v33, v[30:31]
; %bb.5383:                             ;   in Loop: Header=BB6_4748 Depth=3
	s_andn2_saveexec_b64 s[28:29], s[28:29]
; %bb.5384:                             ;   in Loop: Header=BB6_4748 Depth=3
	v_bfe_u32 v32, v30, 23, 1
; %bb.5385:                             ;   in Loop: Header=BB6_4748 Depth=3
	s_or_b64 exec, exec, s[28:29]
	v_lshrrev_b64 v[30:31], 21, v[30:31]
	v_cmp_gt_i32_e32 vcc, 32, v32
	v_cndmask_b32_e32 v31, 0, v31, vcc
	v_cndmask_b32_e32 v30, 3, v30, vcc
	v_cmp_eq_u64_e64 s[28:29], 0, v[30:31]
	v_min_i32_e32 v31, 31, v32
	v_lshlrev_b32_e32 v31, 2, v31
	v_cmp_eq_u32_e32 vcc, 0, v32
	v_and_b32_e32 v31, 0xfc, v31
	v_and_or_b32 v30, v30, 3, v31
	s_and_b64 s[28:29], vcc, s[28:29]
	v_cndmask_b32_e64 v30, v30, 0, s[28:29]
	v_or_b32_e32 v0, v30, v0
	buffer_store_dword v0, off, s[0:3], s33 offset:216 ; 4-byte Folded Spill
.LBB6_5386:                             ;   in Loop: Header=BB6_4748 Depth=3
	s_or_b64 exec, exec, s[36:37]
                                        ; implicit-def: $vgpr0
.LBB6_5387:                             ;   in Loop: Header=BB6_4748 Depth=3
	s_andn2_saveexec_b64 s[28:29], s[34:35]
	s_cbranch_execz .LBB6_5389
; %bb.5388:                             ;   in Loop: Header=BB6_4748 Depth=3
	v_or_b32_e32 v0, 0x7b, v0
	buffer_store_dword v0, off, s[0:3], s33 offset:216 ; 4-byte Folded Spill
.LBB6_5389:                             ;   in Loop: Header=BB6_4748 Depth=3
	s_or_b64 exec, exec, s[28:29]
                                        ; implicit-def: $vgpr32
                                        ; implicit-def: $vgpr30_vgpr31
.LBB6_5390:                             ;   in Loop: Header=BB6_4748 Depth=3
	s_andn2_saveexec_b64 s[28:29], s[30:31]
	s_cbranch_execz .LBB6_5396
; %bb.5391:                             ;   in Loop: Header=BB6_4748 Depth=3
	v_cmp_ne_u64_e32 vcc, 0, v[30:31]
                                        ; implicit-def: $vgpr0
                                        ; kill: killed $vgpr0
	s_and_saveexec_b64 s[30:31], vcc
	s_xor_b64 vcc, exec, s[30:31]
	s_cbranch_execz .LBB6_5393
; %bb.5392:                             ;   in Loop: Header=BB6_4748 Depth=3
	v_or_b32_sdwa v0, v32, s83 dst_sel:DWORD dst_unused:UNUSED_PAD src0_sel:BYTE_3 src1_sel:DWORD
	buffer_store_dword v0, off, s[0:3], s33 offset:216 ; 4-byte Folded Spill
                                        ; implicit-def: $vgpr32
.LBB6_5393:                             ;   in Loop: Header=BB6_4748 Depth=3
	s_andn2_saveexec_b64 s[30:31], vcc
	s_cbranch_execz .LBB6_5395
; %bb.5394:                             ;   in Loop: Header=BB6_4748 Depth=3
	v_cmp_lt_i32_e32 vcc, -1, v32
	v_bfrev_b32_e32 v0, 0.5
	v_mov_b32_e32 v30, 0x7c
	v_cndmask_b32_e32 v0, v0, v30, vcc
	buffer_store_dword v0, off, s[0:3], s33 offset:216 ; 4-byte Folded Spill
.LBB6_5395:                             ;   in Loop: Header=BB6_4748 Depth=3
	s_or_b64 exec, exec, s[30:31]
.LBB6_5396:                             ;   in Loop: Header=BB6_4748 Depth=3
	s_or_b64 exec, exec, s[28:29]
	v_lshrrev_b32_e32 v0, 16, v26
	v_cmp_ne_u16_sdwa vcc, v0, v34 src0_sel:BYTE_0 src1_sel:DWORD
	v_mov_b32_e32 v30, 0
	v_mov_b32_e32 v31, 0
	s_and_saveexec_b64 s[28:29], vcc
	s_cbranch_execz .LBB6_5404
; %bb.5397:                             ;   in Loop: Header=BB6_4748 Depth=3
	v_cmp_ne_u16_sdwa vcc, v0, s44 src0_sel:BYTE_0 src1_sel:DWORD
	v_bfrev_b32_e32 v31, 1
	s_and_saveexec_b64 s[30:31], vcc
	s_cbranch_execz .LBB6_5403
; %bb.5398:                             ;   in Loop: Header=BB6_4748 Depth=3
	v_and_b32_e32 v31, 0x7c0000, v26
	v_bfe_u32 v32, v26, 16, 2
	v_cmp_ne_u32_e32 vcc, s9, v31
                                        ; implicit-def: $vgpr31
	s_and_saveexec_b64 s[34:35], vcc
	s_xor_b64 s[34:35], exec, s[34:35]
	s_cbranch_execz .LBB6_5400
; %bb.5399:                             ;   in Loop: Header=BB6_4748 Depth=3
	v_ffbh_u32_e32 v33, v32
	v_min_u32_e32 v33, 32, v33
	v_subrev_u32_e32 v35, 29, v33
	v_lshlrev_b64 v[35:36], v35, v[0:1]
	v_bfe_u32 v31, v26, 18, 5
	v_sub_u32_e32 v0, 30, v33
	v_and_b32_e32 v33, 3, v35
	v_cmp_eq_u32_e32 vcc, 0, v31
	v_cndmask_b32_e32 v0, v31, v0, vcc
	v_cndmask_b32_e32 v31, v32, v33, vcc
	v_lshlrev_b32_e32 v32, 8, v26
	v_and_b32_e32 v32, 0x80000000, v32
	v_lshl_add_u32 v0, v0, 23, v32
	v_lshl_or_b32 v0, v31, 21, v0
	v_add_u32_e32 v31, 0x38000000, v0
                                        ; implicit-def: $vgpr32
                                        ; implicit-def: $vgpr0
.LBB6_5400:                             ;   in Loop: Header=BB6_4748 Depth=3
	s_andn2_saveexec_b64 s[34:35], s[34:35]
; %bb.5401:                             ;   in Loop: Header=BB6_4748 Depth=3
	v_mov_b32_e32 v31, -1
	v_cmp_gt_i16_sdwa vcc, sext(v0), v31 src0_sel:BYTE_0 src1_sel:DWORD
	v_mov_b32_e32 v0, 0xff800000
	v_mov_b32_e32 v31, 0x7f800000
	v_cndmask_b32_e32 v0, v0, v31, vcc
	v_cmp_eq_u32_e32 vcc, 0, v32
	v_mov_b32_e32 v31, 0x7f800001
	v_cndmask_b32_e32 v31, v31, v0, vcc
; %bb.5402:                             ;   in Loop: Header=BB6_4748 Depth=3
	s_or_b64 exec, exec, s[34:35]
.LBB6_5403:                             ;   in Loop: Header=BB6_4748 Depth=3
	s_or_b64 exec, exec, s[30:31]
.LBB6_5404:                             ;   in Loop: Header=BB6_4748 Depth=3
	s_or_b64 exec, exec, s[28:29]
	v_lshrrev_b32_e32 v0, 16, v3
	v_cmp_ne_u16_sdwa vcc, v0, v34 src0_sel:BYTE_0 src1_sel:DWORD
	s_and_saveexec_b64 s[28:29], vcc
	s_cbranch_execz .LBB6_5412
; %bb.5405:                             ;   in Loop: Header=BB6_4748 Depth=3
	v_cmp_ne_u16_sdwa vcc, v0, s44 src0_sel:BYTE_0 src1_sel:DWORD
	v_bfrev_b32_e32 v30, 1
	s_and_saveexec_b64 s[30:31], vcc
	s_cbranch_execz .LBB6_5411
; %bb.5406:                             ;   in Loop: Header=BB6_4748 Depth=3
	v_and_b32_e32 v30, 0x7c0000, v3
	v_bfe_u32 v32, v3, 16, 2
	v_cmp_ne_u32_e32 vcc, s9, v30
                                        ; implicit-def: $vgpr30
	s_and_saveexec_b64 s[34:35], vcc
	s_xor_b64 s[34:35], exec, s[34:35]
	s_cbranch_execz .LBB6_5408
; %bb.5407:                             ;   in Loop: Header=BB6_4748 Depth=3
	v_ffbh_u32_e32 v33, v32
	v_min_u32_e32 v33, 32, v33
	v_subrev_u32_e32 v35, 29, v33
	v_lshlrev_b64 v[35:36], v35, v[0:1]
	v_bfe_u32 v30, v3, 18, 5
	v_sub_u32_e32 v0, 30, v33
	v_and_b32_e32 v33, 3, v35
	v_cmp_eq_u32_e32 vcc, 0, v30
	v_cndmask_b32_e32 v0, v30, v0, vcc
	v_cndmask_b32_e32 v30, v32, v33, vcc
	v_lshlrev_b32_e32 v32, 8, v3
	v_and_b32_e32 v32, 0x80000000, v32
	v_lshl_add_u32 v0, v0, 23, v32
	v_lshl_or_b32 v0, v30, 21, v0
	v_add_u32_e32 v30, 0x38000000, v0
                                        ; implicit-def: $vgpr32
                                        ; implicit-def: $vgpr0
.LBB6_5408:                             ;   in Loop: Header=BB6_4748 Depth=3
	s_andn2_saveexec_b64 s[34:35], s[34:35]
; %bb.5409:                             ;   in Loop: Header=BB6_4748 Depth=3
	v_mov_b32_e32 v30, -1
	v_cmp_gt_i16_sdwa vcc, sext(v0), v30 src0_sel:BYTE_0 src1_sel:DWORD
	v_mov_b32_e32 v0, 0xff800000
	v_mov_b32_e32 v30, 0x7f800000
	v_cndmask_b32_e32 v0, v0, v30, vcc
	v_cmp_eq_u32_e32 vcc, 0, v32
	v_mov_b32_e32 v30, 0x7f800001
	v_cndmask_b32_e32 v30, v30, v0, vcc
; %bb.5410:                             ;   in Loop: Header=BB6_4748 Depth=3
	s_or_b64 exec, exec, s[34:35]
.LBB6_5411:                             ;   in Loop: Header=BB6_4748 Depth=3
	s_or_b64 exec, exec, s[30:31]
.LBB6_5412:                             ;   in Loop: Header=BB6_4748 Depth=3
	s_or_b64 exec, exec, s[28:29]
	v_mul_f32_e32 v32, v31, v30
	v_and_b32_e32 v35, 0x7f800000, v32
	v_mov_b32_e32 v36, v34
	v_cmp_ne_u64_e32 vcc, s[76:77], v[35:36]
	v_and_b32_e32 v30, 0x7fffff, v32
	v_mov_b32_e32 v31, v34
                                        ; implicit-def: $vgpr0
                                        ; kill: killed $vgpr0
	s_and_saveexec_b64 s[28:29], vcc
	s_xor_b64 s[30:31], exec, s[28:29]
	s_cbranch_execz .LBB6_5426
; %bb.5413:                             ;   in Loop: Header=BB6_4748 Depth=3
	v_and_b32_e32 v35, 0x7fffffff, v32
	v_mov_b32_e32 v36, v34
	v_cmp_gt_u64_e32 vcc, s[78:79], v[35:36]
	v_and_b32_sdwa v0, v32, s44 dst_sel:DWORD dst_unused:UNUSED_PAD src0_sel:BYTE_3 src1_sel:DWORD
                                        ; implicit-def: $vgpr33
                                        ; kill: killed $vgpr33
	s_and_saveexec_b64 s[28:29], vcc
	s_xor_b64 s[34:35], exec, s[28:29]
	s_cbranch_execz .LBB6_5423
; %bb.5414:                             ;   in Loop: Header=BB6_4748 Depth=3
	v_mov_b32_e32 v33, 0
	v_cmp_ne_u32_e32 vcc, 0, v32
	buffer_store_dword v33, off, s[0:3], s33 offset:224 ; 4-byte Folded Spill
	s_and_saveexec_b64 s[36:37], vcc
	s_cbranch_execz .LBB6_5422
; %bb.5415:                             ;   in Loop: Header=BB6_4748 Depth=3
	v_bfe_u32 v33, v32, 23, 8
	v_cmp_gt_u32_e64 s[28:29], s45, v33
	v_sub_u32_e32 v32, 0x71, v33
	v_cmp_eq_u32_e32 vcc, 0, v33
	v_cndmask_b32_e64 v32, 0, v32, s[28:29]
	v_mov_b32_e32 v35, 0x70
	v_cndmask_b32_e32 v35, v32, v35, vcc
	v_or_b32_e32 v36, 0x800000, v30
	v_add_u32_e32 v32, 21, v35
	v_cndmask_b32_e32 v30, v36, v30, vcc
	v_lshlrev_b64 v[36:37], v32, -1
	v_add_u32_e32 v32, 20, v35
	v_bfi_b32 v36, v36, 0, v30
	v_lshlrev_b64 v[38:39], v32, 1
	v_lshrrev_b64 v[30:31], v35, v[30:31]
	v_bfi_b32 v37, v37, 0, 0
	v_cmp_eq_u64_e64 s[28:29], v[36:37], v[38:39]
	v_mov_b32_e32 v32, v31
	v_mov_b32_e32 v31, v30
	s_and_saveexec_b64 s[38:39], s[28:29]
; %bb.5416:                             ;   in Loop: Header=BB6_4748 Depth=3
	v_bfe_u32 v31, v30, 21, 1
	v_add_co_u32_e64 v31, s[28:29], v30, v31
	v_add_co_u32_e64 v31, s[28:29], -1, v31
; %bb.5417:                             ;   in Loop: Header=BB6_4748 Depth=3
	s_or_b64 exec, exec, s[38:39]
	v_add_u32_e32 v32, 0xffffff81, v33
	v_mov_b32_e32 v33, 0xffffff82
	v_cndmask_b32_e32 v32, v32, v33, vcc
	v_lshrrev_b32_e32 v33, 23, v30
	v_add3_u32 v35, v35, v32, v33
	v_add_u32_e32 v33, 14, v35
	v_and_b32_e32 v31, 0x1fffff, v31
	v_add_u32_e32 v30, v31, v30
	v_mov_b32_e32 v31, v34
	v_cmp_ne_u32_e32 vcc, 0, v33
                                        ; implicit-def: $vgpr32
	s_and_saveexec_b64 s[28:29], vcc
	s_xor_b64 s[28:29], exec, s[28:29]
; %bb.5418:                             ;   in Loop: Header=BB6_4748 Depth=3
	v_cmp_lt_u64_e32 vcc, s[88:89], v[30:31]
	v_add_u32_e32 v32, 15, v35
	v_cndmask_b32_e32 v32, v33, v32, vcc
	v_cndmask_b32_e64 v33, 0, 1, vcc
	v_lshrrev_b64 v[30:31], v33, v[30:31]
; %bb.5419:                             ;   in Loop: Header=BB6_4748 Depth=3
	s_andn2_saveexec_b64 s[28:29], s[28:29]
; %bb.5420:                             ;   in Loop: Header=BB6_4748 Depth=3
	v_bfe_u32 v32, v30, 23, 1
; %bb.5421:                             ;   in Loop: Header=BB6_4748 Depth=3
	s_or_b64 exec, exec, s[28:29]
	v_lshrrev_b64 v[30:31], 21, v[30:31]
	v_cmp_gt_i32_e32 vcc, 32, v32
	v_cndmask_b32_e32 v31, 0, v31, vcc
	v_cndmask_b32_e32 v30, 3, v30, vcc
	v_cmp_eq_u64_e64 s[28:29], 0, v[30:31]
	v_min_i32_e32 v31, 31, v32
	v_lshlrev_b32_e32 v31, 2, v31
	v_cmp_eq_u32_e32 vcc, 0, v32
	v_and_b32_e32 v31, 0xfc, v31
	v_and_or_b32 v30, v30, 3, v31
	s_and_b64 s[28:29], vcc, s[28:29]
	v_cndmask_b32_e64 v30, v30, 0, s[28:29]
	v_or_b32_e32 v0, v30, v0
	buffer_store_dword v0, off, s[0:3], s33 offset:224 ; 4-byte Folded Spill
.LBB6_5422:                             ;   in Loop: Header=BB6_4748 Depth=3
	s_or_b64 exec, exec, s[36:37]
                                        ; implicit-def: $vgpr0
.LBB6_5423:                             ;   in Loop: Header=BB6_4748 Depth=3
	s_andn2_saveexec_b64 s[28:29], s[34:35]
	s_cbranch_execz .LBB6_5425
; %bb.5424:                             ;   in Loop: Header=BB6_4748 Depth=3
	v_or_b32_e32 v0, 0x7b, v0
	buffer_store_dword v0, off, s[0:3], s33 offset:224 ; 4-byte Folded Spill
.LBB6_5425:                             ;   in Loop: Header=BB6_4748 Depth=3
	s_or_b64 exec, exec, s[28:29]
                                        ; implicit-def: $vgpr32
                                        ; implicit-def: $vgpr30_vgpr31
.LBB6_5426:                             ;   in Loop: Header=BB6_4748 Depth=3
	s_andn2_saveexec_b64 s[28:29], s[30:31]
	s_cbranch_execz .LBB6_5432
; %bb.5427:                             ;   in Loop: Header=BB6_4748 Depth=3
	v_cmp_ne_u64_e32 vcc, 0, v[30:31]
                                        ; implicit-def: $vgpr0
                                        ; kill: killed $vgpr0
	s_and_saveexec_b64 s[30:31], vcc
	s_xor_b64 vcc, exec, s[30:31]
	s_cbranch_execz .LBB6_5429
; %bb.5428:                             ;   in Loop: Header=BB6_4748 Depth=3
	v_or_b32_sdwa v0, v32, s83 dst_sel:DWORD dst_unused:UNUSED_PAD src0_sel:BYTE_3 src1_sel:DWORD
	buffer_store_dword v0, off, s[0:3], s33 offset:224 ; 4-byte Folded Spill
                                        ; implicit-def: $vgpr32
.LBB6_5429:                             ;   in Loop: Header=BB6_4748 Depth=3
	s_andn2_saveexec_b64 s[30:31], vcc
	s_cbranch_execz .LBB6_5431
; %bb.5430:                             ;   in Loop: Header=BB6_4748 Depth=3
	v_cmp_lt_i32_e32 vcc, -1, v32
	v_bfrev_b32_e32 v0, 0.5
	v_mov_b32_e32 v30, 0x7c
	v_cndmask_b32_e32 v0, v0, v30, vcc
	buffer_store_dword v0, off, s[0:3], s33 offset:224 ; 4-byte Folded Spill
.LBB6_5431:                             ;   in Loop: Header=BB6_4748 Depth=3
	s_or_b64 exec, exec, s[30:31]
.LBB6_5432:                             ;   in Loop: Header=BB6_4748 Depth=3
	s_or_b64 exec, exec, s[28:29]
	v_cmp_lt_u32_e32 vcc, s57, v26
	v_mov_b32_e32 v30, 0
	v_mov_b32_e32 v31, 0
	s_and_saveexec_b64 s[28:29], vcc
	s_cbranch_execz .LBB6_5440
; %bb.5433:                             ;   in Loop: Header=BB6_4748 Depth=3
	v_lshrrev_b32_e32 v0, 24, v26
	v_cmp_ne_u32_e32 vcc, s44, v0
	v_bfrev_b32_e32 v31, 1
	s_and_saveexec_b64 s[30:31], vcc
	s_cbranch_execz .LBB6_5439
; %bb.5434:                             ;   in Loop: Header=BB6_4748 Depth=3
	v_and_b32_e32 v31, 0x7c000000, v26
	v_bfe_u32 v32, v26, 24, 2
	v_cmp_ne_u32_e32 vcc, s8, v31
                                        ; implicit-def: $vgpr31
	s_and_saveexec_b64 s[34:35], vcc
	s_xor_b64 s[34:35], exec, s[34:35]
	s_cbranch_execz .LBB6_5436
; %bb.5435:                             ;   in Loop: Header=BB6_4748 Depth=3
	v_ffbh_u32_e32 v33, v32
	v_min_u32_e32 v33, 32, v33
	v_subrev_u32_e32 v35, 29, v33
	v_lshlrev_b64 v[35:36], v35, v[0:1]
	v_bfe_u32 v31, v26, 26, 5
	v_sub_u32_e32 v0, 30, v33
	v_and_b32_e32 v33, 3, v35
	v_cmp_eq_u32_e32 vcc, 0, v31
	v_cndmask_b32_e32 v0, v31, v0, vcc
	v_cndmask_b32_e32 v31, v32, v33, vcc
	v_and_b32_e32 v32, 0x80000000, v26
	v_lshl_add_u32 v0, v0, 23, v32
	v_lshl_or_b32 v0, v31, 21, v0
	v_add_u32_e32 v31, 0x38000000, v0
                                        ; implicit-def: $vgpr32
.LBB6_5436:                             ;   in Loop: Header=BB6_4748 Depth=3
	s_andn2_saveexec_b64 s[34:35], s[34:35]
; %bb.5437:                             ;   in Loop: Header=BB6_4748 Depth=3
	v_cmp_lt_i32_e32 vcc, -1, v26
	v_mov_b32_e32 v0, 0xff800000
	v_mov_b32_e32 v31, 0x7f800000
	v_cndmask_b32_e32 v0, v0, v31, vcc
	v_cmp_eq_u32_e32 vcc, 0, v32
	v_mov_b32_e32 v31, 0x7f800001
	v_cndmask_b32_e32 v31, v31, v0, vcc
; %bb.5438:                             ;   in Loop: Header=BB6_4748 Depth=3
	s_or_b64 exec, exec, s[34:35]
.LBB6_5439:                             ;   in Loop: Header=BB6_4748 Depth=3
	s_or_b64 exec, exec, s[30:31]
.LBB6_5440:                             ;   in Loop: Header=BB6_4748 Depth=3
	s_or_b64 exec, exec, s[28:29]
	v_cmp_lt_u32_e32 vcc, s57, v3
	s_and_saveexec_b64 s[28:29], vcc
	s_cbranch_execz .LBB6_5448
; %bb.5441:                             ;   in Loop: Header=BB6_4748 Depth=3
	v_lshrrev_b32_e32 v0, 24, v3
	v_cmp_ne_u32_e32 vcc, s44, v0
	v_bfrev_b32_e32 v30, 1
	s_and_saveexec_b64 s[30:31], vcc
	s_cbranch_execz .LBB6_5447
; %bb.5442:                             ;   in Loop: Header=BB6_4748 Depth=3
	v_and_b32_e32 v30, 0x7c000000, v3
	v_bfe_u32 v32, v3, 24, 2
	v_cmp_ne_u32_e32 vcc, s8, v30
                                        ; implicit-def: $vgpr30
	s_and_saveexec_b64 s[34:35], vcc
	s_xor_b64 s[34:35], exec, s[34:35]
	s_cbranch_execz .LBB6_5444
; %bb.5443:                             ;   in Loop: Header=BB6_4748 Depth=3
	v_ffbh_u32_e32 v33, v32
	v_min_u32_e32 v33, 32, v33
	v_subrev_u32_e32 v35, 29, v33
	v_lshlrev_b64 v[35:36], v35, v[0:1]
	v_bfe_u32 v30, v3, 26, 5
	v_sub_u32_e32 v0, 30, v33
	v_and_b32_e32 v33, 3, v35
	v_cmp_eq_u32_e32 vcc, 0, v30
	v_cndmask_b32_e32 v0, v30, v0, vcc
	v_cndmask_b32_e32 v30, v32, v33, vcc
	v_and_b32_e32 v32, 0x80000000, v3
	v_lshl_add_u32 v0, v0, 23, v32
	v_lshl_or_b32 v0, v30, 21, v0
	v_add_u32_e32 v30, 0x38000000, v0
                                        ; implicit-def: $vgpr32
.LBB6_5444:                             ;   in Loop: Header=BB6_4748 Depth=3
	s_andn2_saveexec_b64 s[34:35], s[34:35]
; %bb.5445:                             ;   in Loop: Header=BB6_4748 Depth=3
	v_cmp_lt_i32_e32 vcc, -1, v3
	v_mov_b32_e32 v0, 0xff800000
	v_mov_b32_e32 v30, 0x7f800000
	v_cndmask_b32_e32 v0, v0, v30, vcc
	v_cmp_eq_u32_e32 vcc, 0, v32
	v_mov_b32_e32 v30, 0x7f800001
	v_cndmask_b32_e32 v30, v30, v0, vcc
; %bb.5446:                             ;   in Loop: Header=BB6_4748 Depth=3
	s_or_b64 exec, exec, s[34:35]
.LBB6_5447:                             ;   in Loop: Header=BB6_4748 Depth=3
	s_or_b64 exec, exec, s[30:31]
.LBB6_5448:                             ;   in Loop: Header=BB6_4748 Depth=3
	s_or_b64 exec, exec, s[28:29]
	v_mul_f32_e32 v32, v31, v30
	v_and_b32_e32 v35, 0x7f800000, v32
	v_mov_b32_e32 v36, v34
	v_cmp_ne_u64_e32 vcc, s[76:77], v[35:36]
	v_and_b32_e32 v30, 0x7fffff, v32
	v_mov_b32_e32 v31, v34
                                        ; implicit-def: $vgpr0
                                        ; kill: killed $vgpr0
	s_and_saveexec_b64 s[28:29], vcc
	s_xor_b64 s[30:31], exec, s[28:29]
	s_cbranch_execz .LBB6_5462
; %bb.5449:                             ;   in Loop: Header=BB6_4748 Depth=3
	v_and_b32_e32 v35, 0x7fffffff, v32
	v_mov_b32_e32 v36, v34
	v_cmp_gt_u64_e32 vcc, s[78:79], v[35:36]
	v_and_b32_sdwa v0, v32, s44 dst_sel:DWORD dst_unused:UNUSED_PAD src0_sel:BYTE_3 src1_sel:DWORD
                                        ; implicit-def: $vgpr33
                                        ; kill: killed $vgpr33
	s_and_saveexec_b64 s[28:29], vcc
	s_xor_b64 s[34:35], exec, s[28:29]
	s_cbranch_execz .LBB6_5459
; %bb.5450:                             ;   in Loop: Header=BB6_4748 Depth=3
	v_mov_b32_e32 v33, 0
	v_cmp_ne_u32_e32 vcc, 0, v32
	buffer_store_dword v33, off, s[0:3], s33 offset:232 ; 4-byte Folded Spill
	s_and_saveexec_b64 s[36:37], vcc
	s_cbranch_execz .LBB6_5458
; %bb.5451:                             ;   in Loop: Header=BB6_4748 Depth=3
	v_bfe_u32 v33, v32, 23, 8
	v_cmp_gt_u32_e64 s[28:29], s45, v33
	v_sub_u32_e32 v32, 0x71, v33
	v_cmp_eq_u32_e32 vcc, 0, v33
	v_cndmask_b32_e64 v32, 0, v32, s[28:29]
	v_mov_b32_e32 v35, 0x70
	v_cndmask_b32_e32 v35, v32, v35, vcc
	v_or_b32_e32 v36, 0x800000, v30
	v_add_u32_e32 v32, 21, v35
	v_cndmask_b32_e32 v30, v36, v30, vcc
	v_lshlrev_b64 v[36:37], v32, -1
	v_add_u32_e32 v32, 20, v35
	v_bfi_b32 v36, v36, 0, v30
	v_lshlrev_b64 v[38:39], v32, 1
	v_lshrrev_b64 v[30:31], v35, v[30:31]
	v_bfi_b32 v37, v37, 0, 0
	v_cmp_eq_u64_e64 s[28:29], v[36:37], v[38:39]
	v_mov_b32_e32 v32, v31
	v_mov_b32_e32 v31, v30
	s_and_saveexec_b64 s[38:39], s[28:29]
; %bb.5452:                             ;   in Loop: Header=BB6_4748 Depth=3
	v_bfe_u32 v31, v30, 21, 1
	v_add_co_u32_e64 v31, s[28:29], v30, v31
	v_add_co_u32_e64 v31, s[28:29], -1, v31
; %bb.5453:                             ;   in Loop: Header=BB6_4748 Depth=3
	s_or_b64 exec, exec, s[38:39]
	v_add_u32_e32 v32, 0xffffff81, v33
	v_mov_b32_e32 v33, 0xffffff82
	v_cndmask_b32_e32 v32, v32, v33, vcc
	v_lshrrev_b32_e32 v33, 23, v30
	v_add3_u32 v35, v35, v32, v33
	v_add_u32_e32 v33, 14, v35
	v_and_b32_e32 v31, 0x1fffff, v31
	v_add_u32_e32 v30, v31, v30
	v_mov_b32_e32 v31, v34
	v_cmp_ne_u32_e32 vcc, 0, v33
                                        ; implicit-def: $vgpr32
	s_and_saveexec_b64 s[28:29], vcc
	s_xor_b64 s[28:29], exec, s[28:29]
; %bb.5454:                             ;   in Loop: Header=BB6_4748 Depth=3
	v_cmp_lt_u64_e32 vcc, s[88:89], v[30:31]
	v_add_u32_e32 v32, 15, v35
	v_cndmask_b32_e32 v32, v33, v32, vcc
	v_cndmask_b32_e64 v33, 0, 1, vcc
	v_lshrrev_b64 v[30:31], v33, v[30:31]
; %bb.5455:                             ;   in Loop: Header=BB6_4748 Depth=3
	s_andn2_saveexec_b64 s[28:29], s[28:29]
; %bb.5456:                             ;   in Loop: Header=BB6_4748 Depth=3
	v_bfe_u32 v32, v30, 23, 1
; %bb.5457:                             ;   in Loop: Header=BB6_4748 Depth=3
	s_or_b64 exec, exec, s[28:29]
	v_lshrrev_b64 v[30:31], 21, v[30:31]
	v_cmp_gt_i32_e32 vcc, 32, v32
	v_cndmask_b32_e32 v31, 0, v31, vcc
	v_cndmask_b32_e32 v30, 3, v30, vcc
	v_cmp_eq_u64_e64 s[28:29], 0, v[30:31]
	v_min_i32_e32 v31, 31, v32
	v_lshlrev_b32_e32 v31, 2, v31
	v_cmp_eq_u32_e32 vcc, 0, v32
	v_and_b32_e32 v31, 0xfc, v31
	v_and_or_b32 v30, v30, 3, v31
	s_and_b64 s[28:29], vcc, s[28:29]
	v_cndmask_b32_e64 v30, v30, 0, s[28:29]
	v_or_b32_e32 v0, v30, v0
	buffer_store_dword v0, off, s[0:3], s33 offset:232 ; 4-byte Folded Spill
.LBB6_5458:                             ;   in Loop: Header=BB6_4748 Depth=3
	s_or_b64 exec, exec, s[36:37]
                                        ; implicit-def: $vgpr0
.LBB6_5459:                             ;   in Loop: Header=BB6_4748 Depth=3
	s_andn2_saveexec_b64 s[28:29], s[34:35]
	s_cbranch_execz .LBB6_5461
; %bb.5460:                             ;   in Loop: Header=BB6_4748 Depth=3
	v_or_b32_e32 v0, 0x7b, v0
	buffer_store_dword v0, off, s[0:3], s33 offset:232 ; 4-byte Folded Spill
.LBB6_5461:                             ;   in Loop: Header=BB6_4748 Depth=3
	s_or_b64 exec, exec, s[28:29]
                                        ; implicit-def: $vgpr32
                                        ; implicit-def: $vgpr30_vgpr31
.LBB6_5462:                             ;   in Loop: Header=BB6_4748 Depth=3
	s_andn2_saveexec_b64 s[28:29], s[30:31]
	s_cbranch_execz .LBB6_5468
; %bb.5463:                             ;   in Loop: Header=BB6_4748 Depth=3
	v_cmp_ne_u64_e32 vcc, 0, v[30:31]
                                        ; implicit-def: $vgpr0
                                        ; kill: killed $vgpr0
	s_and_saveexec_b64 s[30:31], vcc
	s_xor_b64 vcc, exec, s[30:31]
	s_cbranch_execz .LBB6_5465
; %bb.5464:                             ;   in Loop: Header=BB6_4748 Depth=3
	v_or_b32_sdwa v0, v32, s83 dst_sel:DWORD dst_unused:UNUSED_PAD src0_sel:BYTE_3 src1_sel:DWORD
	buffer_store_dword v0, off, s[0:3], s33 offset:232 ; 4-byte Folded Spill
                                        ; implicit-def: $vgpr32
.LBB6_5465:                             ;   in Loop: Header=BB6_4748 Depth=3
	s_andn2_saveexec_b64 s[30:31], vcc
	s_cbranch_execz .LBB6_5467
; %bb.5466:                             ;   in Loop: Header=BB6_4748 Depth=3
	v_cmp_lt_i32_e32 vcc, -1, v32
	v_bfrev_b32_e32 v0, 0.5
	v_mov_b32_e32 v30, 0x7c
	v_cndmask_b32_e32 v0, v0, v30, vcc
	buffer_store_dword v0, off, s[0:3], s33 offset:232 ; 4-byte Folded Spill
.LBB6_5467:                             ;   in Loop: Header=BB6_4748 Depth=3
	s_or_b64 exec, exec, s[30:31]
.LBB6_5468:                             ;   in Loop: Header=BB6_4748 Depth=3
	s_or_b64 exec, exec, s[28:29]
	v_mov_b32_e32 v30, v27
	v_mov_b32_e32 v31, v34
	v_cmp_ne_u16_sdwa vcc, v27, v34 src0_sel:BYTE_0 src1_sel:DWORD
	v_mov_b32_e32 v32, 0
	v_mov_b32_e32 v0, 0
	s_and_saveexec_b64 s[28:29], vcc
	s_cbranch_execz .LBB6_5476
; %bb.5469:                             ;   in Loop: Header=BB6_4748 Depth=3
	v_cmp_ne_u16_sdwa vcc, v27, s44 src0_sel:BYTE_0 src1_sel:DWORD
	v_bfrev_b32_e32 v0, 1
	s_and_saveexec_b64 s[30:31], vcc
	s_cbranch_execz .LBB6_5475
; %bb.5470:                             ;   in Loop: Header=BB6_4748 Depth=3
	v_and_b32_e32 v0, 0x7c, v27
	v_and_b32_e32 v33, 3, v27
	v_cmp_ne_u32_e32 vcc, s81, v0
                                        ; implicit-def: $vgpr0
	s_and_saveexec_b64 s[34:35], vcc
	s_xor_b64 s[34:35], exec, s[34:35]
	s_cbranch_execz .LBB6_5472
; %bb.5471:                             ;   in Loop: Header=BB6_4748 Depth=3
	v_ffbh_u32_e32 v35, v33
	v_min_u32_e32 v37, 32, v35
	v_subrev_u32_e32 v35, 29, v37
	v_lshlrev_b64 v[35:36], v35, v[30:31]
	v_bfe_u32 v0, v27, 2, 5
	v_sub_u32_e32 v31, 30, v37
	v_and_b32_e32 v35, 3, v35
	v_cmp_eq_u32_e32 vcc, 0, v0
	v_cndmask_b32_e32 v0, v0, v31, vcc
	v_cndmask_b32_e32 v31, v33, v35, vcc
	v_lshlrev_b32_e32 v33, 24, v27
	v_and_b32_e32 v33, 0x80000000, v33
	v_lshl_add_u32 v0, v0, 23, v33
	v_lshl_or_b32 v0, v31, 21, v0
	v_add_u32_e32 v0, 0x38000000, v0
                                        ; implicit-def: $vgpr33
.LBB6_5472:                             ;   in Loop: Header=BB6_4748 Depth=3
	s_andn2_saveexec_b64 s[34:35], s[34:35]
; %bb.5473:                             ;   in Loop: Header=BB6_4748 Depth=3
	v_mov_b32_e32 v0, -1
	v_cmp_gt_i16_sdwa vcc, sext(v27), v0 src0_sel:BYTE_0 src1_sel:DWORD
	v_mov_b32_e32 v0, 0xff800000
	v_mov_b32_e32 v31, 0x7f800000
	v_cndmask_b32_e32 v0, v0, v31, vcc
	v_cmp_eq_u32_e32 vcc, 0, v33
	v_mov_b32_e32 v31, 0x7f800001
	v_cndmask_b32_e32 v0, v31, v0, vcc
; %bb.5474:                             ;   in Loop: Header=BB6_4748 Depth=3
	s_or_b64 exec, exec, s[34:35]
.LBB6_5475:                             ;   in Loop: Header=BB6_4748 Depth=3
	s_or_b64 exec, exec, s[30:31]
.LBB6_5476:                             ;   in Loop: Header=BB6_4748 Depth=3
	s_or_b64 exec, exec, s[28:29]
	v_cmp_ne_u16_sdwa vcc, v4, v34 src0_sel:BYTE_0 src1_sel:DWORD
	s_and_saveexec_b64 s[28:29], vcc
	s_cbranch_execz .LBB6_5484
; %bb.5477:                             ;   in Loop: Header=BB6_4748 Depth=3
	v_cmp_ne_u16_sdwa vcc, v4, s44 src0_sel:BYTE_0 src1_sel:DWORD
	v_bfrev_b32_e32 v32, 1
	s_and_saveexec_b64 s[30:31], vcc
	s_cbranch_execz .LBB6_5483
; %bb.5478:                             ;   in Loop: Header=BB6_4748 Depth=3
	v_and_b32_e32 v32, 0x7c, v4
	v_and_b32_e32 v31, 3, v4
	v_cmp_ne_u32_e32 vcc, s81, v32
                                        ; implicit-def: $vgpr32
	s_and_saveexec_b64 s[34:35], vcc
	s_xor_b64 s[34:35], exec, s[34:35]
	s_cbranch_execz .LBB6_5480
; %bb.5479:                             ;   in Loop: Header=BB6_4748 Depth=3
	v_ffbh_u32_e32 v36, v31
	v_min_u32_e32 v36, 32, v36
	v_mov_b32_e32 v32, v4
	v_mov_b32_e32 v33, v34
	v_subrev_u32_e32 v37, 29, v36
	v_lshlrev_b64 v[32:33], v37, v[32:33]
	v_bfe_u32 v35, v4, 2, 5
	v_and_b32_e32 v32, 3, v32
	v_cmp_eq_u32_e32 vcc, 0, v35
	v_sub_u32_e32 v33, 30, v36
	v_cndmask_b32_e32 v31, v31, v32, vcc
	v_lshlrev_b32_e32 v32, 24, v4
	v_cndmask_b32_e32 v33, v35, v33, vcc
	v_and_b32_e32 v32, 0x80000000, v32
	v_lshl_add_u32 v32, v33, 23, v32
	v_lshl_or_b32 v31, v31, 21, v32
	v_add_u32_e32 v32, 0x38000000, v31
                                        ; implicit-def: $vgpr31
.LBB6_5480:                             ;   in Loop: Header=BB6_4748 Depth=3
	s_andn2_saveexec_b64 s[34:35], s[34:35]
; %bb.5481:                             ;   in Loop: Header=BB6_4748 Depth=3
	v_mov_b32_e32 v32, -1
	v_cmp_gt_i16_sdwa vcc, sext(v4), v32 src0_sel:BYTE_0 src1_sel:DWORD
	v_mov_b32_e32 v32, 0xff800000
	v_mov_b32_e32 v33, 0x7f800000
	v_cndmask_b32_e32 v32, v32, v33, vcc
	v_cmp_eq_u32_e32 vcc, 0, v31
	v_mov_b32_e32 v31, 0x7f800001
	v_cndmask_b32_e32 v32, v31, v32, vcc
; %bb.5482:                             ;   in Loop: Header=BB6_4748 Depth=3
	s_or_b64 exec, exec, s[34:35]
.LBB6_5483:                             ;   in Loop: Header=BB6_4748 Depth=3
	s_or_b64 exec, exec, s[30:31]
.LBB6_5484:                             ;   in Loop: Header=BB6_4748 Depth=3
	s_or_b64 exec, exec, s[28:29]
	v_mul_f32_e32 v35, v0, v32
	v_and_b32_e32 v32, 0x7f800000, v35
	v_mov_b32_e32 v33, v34
	v_cmp_ne_u64_e32 vcc, s[76:77], v[32:33]
	v_and_b32_e32 v31, 0x7fffff, v35
	v_mov_b32_e32 v32, v34
                                        ; implicit-def: $vgpr0
                                        ; kill: killed $vgpr0
	s_and_saveexec_b64 s[28:29], vcc
	s_xor_b64 s[30:31], exec, s[28:29]
	s_cbranch_execz .LBB6_5498
; %bb.5485:                             ;   in Loop: Header=BB6_4748 Depth=3
	v_and_b32_e32 v36, 0x7fffffff, v35
	v_mov_b32_e32 v37, v34
	v_cmp_gt_u64_e32 vcc, s[78:79], v[36:37]
	v_and_b32_sdwa v0, v35, s44 dst_sel:DWORD dst_unused:UNUSED_PAD src0_sel:BYTE_3 src1_sel:DWORD
                                        ; implicit-def: $vgpr33
                                        ; kill: killed $vgpr33
	s_and_saveexec_b64 s[28:29], vcc
	s_xor_b64 s[34:35], exec, s[28:29]
	s_cbranch_execz .LBB6_5495
; %bb.5486:                             ;   in Loop: Header=BB6_4748 Depth=3
	v_mov_b32_e32 v33, 0
	v_cmp_ne_u32_e32 vcc, 0, v35
	buffer_store_dword v33, off, s[0:3], s33 offset:240 ; 4-byte Folded Spill
	s_and_saveexec_b64 s[36:37], vcc
	s_cbranch_execz .LBB6_5494
; %bb.5487:                             ;   in Loop: Header=BB6_4748 Depth=3
	v_bfe_u32 v35, v35, 23, 8
	v_cmp_gt_u32_e64 s[28:29], s45, v35
	v_sub_u32_e32 v33, 0x71, v35
	v_cmp_eq_u32_e32 vcc, 0, v35
	v_cndmask_b32_e64 v33, 0, v33, s[28:29]
	v_mov_b32_e32 v36, 0x70
	v_cndmask_b32_e32 v36, v33, v36, vcc
	v_or_b32_e32 v37, 0x800000, v31
	v_add_u32_e32 v33, 21, v36
	v_cndmask_b32_e32 v31, v37, v31, vcc
	v_lshlrev_b64 v[37:38], v33, -1
	v_add_u32_e32 v33, 20, v36
	v_bfi_b32 v37, v37, 0, v31
	v_lshlrev_b64 v[48:49], v33, 1
	v_lshrrev_b64 v[31:32], v36, v[31:32]
	v_bfi_b32 v38, v38, 0, 0
	v_cmp_eq_u64_e64 s[28:29], v[37:38], v[48:49]
	v_mov_b32_e32 v33, v32
	v_mov_b32_e32 v32, v31
	s_and_saveexec_b64 s[38:39], s[28:29]
; %bb.5488:                             ;   in Loop: Header=BB6_4748 Depth=3
	v_bfe_u32 v32, v31, 21, 1
	v_add_co_u32_e64 v32, s[28:29], v31, v32
	v_add_co_u32_e64 v32, s[28:29], -1, v32
; %bb.5489:                             ;   in Loop: Header=BB6_4748 Depth=3
	s_or_b64 exec, exec, s[38:39]
	v_add_u32_e32 v33, 0xffffff81, v35
	v_mov_b32_e32 v35, 0xffffff82
	v_cndmask_b32_e32 v33, v33, v35, vcc
	v_lshrrev_b32_e32 v35, 23, v31
	v_add3_u32 v36, v36, v33, v35
	v_add_u32_e32 v35, 14, v36
	v_and_b32_e32 v32, 0x1fffff, v32
	v_add_u32_e32 v31, v32, v31
	v_mov_b32_e32 v32, v34
	v_cmp_ne_u32_e32 vcc, 0, v35
                                        ; implicit-def: $vgpr33
	s_and_saveexec_b64 s[28:29], vcc
	s_xor_b64 s[28:29], exec, s[28:29]
; %bb.5490:                             ;   in Loop: Header=BB6_4748 Depth=3
	v_cmp_lt_u64_e32 vcc, s[88:89], v[31:32]
	v_add_u32_e32 v33, 15, v36
	v_cndmask_b32_e32 v33, v35, v33, vcc
	v_cndmask_b32_e64 v35, 0, 1, vcc
	v_lshrrev_b64 v[31:32], v35, v[31:32]
; %bb.5491:                             ;   in Loop: Header=BB6_4748 Depth=3
	s_andn2_saveexec_b64 s[28:29], s[28:29]
; %bb.5492:                             ;   in Loop: Header=BB6_4748 Depth=3
	v_bfe_u32 v33, v31, 23, 1
; %bb.5493:                             ;   in Loop: Header=BB6_4748 Depth=3
	s_or_b64 exec, exec, s[28:29]
	v_lshrrev_b64 v[31:32], 21, v[31:32]
	v_cmp_gt_i32_e32 vcc, 32, v33
	v_cndmask_b32_e32 v32, 0, v32, vcc
	v_cndmask_b32_e32 v31, 3, v31, vcc
	v_cmp_eq_u64_e64 s[28:29], 0, v[31:32]
	v_min_i32_e32 v32, 31, v33
	v_lshlrev_b32_e32 v32, 2, v32
	v_cmp_eq_u32_e32 vcc, 0, v33
	v_and_b32_e32 v32, 0xfc, v32
	v_and_or_b32 v31, v31, 3, v32
	s_and_b64 s[28:29], vcc, s[28:29]
	v_cndmask_b32_e64 v31, v31, 0, s[28:29]
	v_or_b32_e32 v0, v31, v0
	buffer_store_dword v0, off, s[0:3], s33 offset:240 ; 4-byte Folded Spill
.LBB6_5494:                             ;   in Loop: Header=BB6_4748 Depth=3
	s_or_b64 exec, exec, s[36:37]
                                        ; implicit-def: $vgpr0
.LBB6_5495:                             ;   in Loop: Header=BB6_4748 Depth=3
	s_andn2_saveexec_b64 s[28:29], s[34:35]
	s_cbranch_execz .LBB6_5497
; %bb.5496:                             ;   in Loop: Header=BB6_4748 Depth=3
	v_or_b32_e32 v0, 0x7b, v0
	buffer_store_dword v0, off, s[0:3], s33 offset:240 ; 4-byte Folded Spill
.LBB6_5497:                             ;   in Loop: Header=BB6_4748 Depth=3
	s_or_b64 exec, exec, s[28:29]
                                        ; implicit-def: $vgpr35
                                        ; implicit-def: $vgpr31_vgpr32
.LBB6_5498:                             ;   in Loop: Header=BB6_4748 Depth=3
	s_andn2_saveexec_b64 s[28:29], s[30:31]
	s_cbranch_execz .LBB6_5504
; %bb.5499:                             ;   in Loop: Header=BB6_4748 Depth=3
	v_cmp_ne_u64_e32 vcc, 0, v[31:32]
                                        ; implicit-def: $vgpr0
                                        ; kill: killed $vgpr0
	s_and_saveexec_b64 s[30:31], vcc
	s_xor_b64 vcc, exec, s[30:31]
	s_cbranch_execz .LBB6_5501
; %bb.5500:                             ;   in Loop: Header=BB6_4748 Depth=3
	v_or_b32_sdwa v0, v35, s83 dst_sel:DWORD dst_unused:UNUSED_PAD src0_sel:BYTE_3 src1_sel:DWORD
	buffer_store_dword v0, off, s[0:3], s33 offset:240 ; 4-byte Folded Spill
                                        ; implicit-def: $vgpr35
.LBB6_5501:                             ;   in Loop: Header=BB6_4748 Depth=3
	s_andn2_saveexec_b64 s[30:31], vcc
	s_cbranch_execz .LBB6_5503
; %bb.5502:                             ;   in Loop: Header=BB6_4748 Depth=3
	v_cmp_lt_i32_e32 vcc, -1, v35
	v_bfrev_b32_e32 v0, 0.5
	v_mov_b32_e32 v31, 0x7c
	v_cndmask_b32_e32 v0, v0, v31, vcc
	buffer_store_dword v0, off, s[0:3], s33 offset:240 ; 4-byte Folded Spill
.LBB6_5503:                             ;   in Loop: Header=BB6_4748 Depth=3
	s_or_b64 exec, exec, s[30:31]
.LBB6_5504:                             ;   in Loop: Header=BB6_4748 Depth=3
	s_or_b64 exec, exec, s[28:29]
	v_lshrrev_b16_e32 v31, 8, v30
	v_cmp_ne_u16_e32 vcc, 0, v31
	v_mov_b32_e32 v0, 0
	v_mov_b32_e32 v32, 0
	s_and_saveexec_b64 s[28:29], vcc
	s_cbranch_execz .LBB6_5512
; %bb.5505:                             ;   in Loop: Header=BB6_4748 Depth=3
	v_cmp_ne_u16_e32 vcc, s44, v31
	v_bfrev_b32_e32 v32, 1
	s_and_saveexec_b64 s[30:31], vcc
	s_cbranch_execz .LBB6_5511
; %bb.5506:                             ;   in Loop: Header=BB6_4748 Depth=3
	v_and_b32_e32 v32, 0x7c, v31
	v_and_b32_e32 v35, 3, v31
	v_cmp_ne_u32_e32 vcc, s81, v32
                                        ; implicit-def: $vgpr32
	s_and_saveexec_b64 s[34:35], vcc
	s_xor_b64 s[34:35], exec, s[34:35]
	s_cbranch_execz .LBB6_5508
; %bb.5507:                             ;   in Loop: Header=BB6_4748 Depth=3
	v_ffbh_u32_e32 v36, v35
	v_min_u32_e32 v36, 32, v36
	v_mov_b32_e32 v32, v34
	v_subrev_u32_e32 v37, 29, v36
	v_bfe_u32 v33, v31, 2, 5
	v_lshlrev_b64 v[31:32], v37, v[31:32]
	v_sub_u32_e32 v32, 30, v36
	v_cmp_eq_u32_e32 vcc, 0, v33
	v_lshlrev_b32_e32 v30, 16, v30
	v_and_b32_e32 v31, 3, v31
	v_cndmask_b32_e32 v32, v33, v32, vcc
	v_and_b32_e32 v30, 0x80000000, v30
	v_cndmask_b32_e32 v31, v35, v31, vcc
	v_lshl_add_u32 v30, v32, 23, v30
	v_lshl_or_b32 v30, v31, 21, v30
	v_add_u32_e32 v32, 0x38000000, v30
                                        ; implicit-def: $vgpr35
                                        ; implicit-def: $vgpr30_vgpr31
.LBB6_5508:                             ;   in Loop: Header=BB6_4748 Depth=3
	s_andn2_saveexec_b64 s[34:35], s[34:35]
; %bb.5509:                             ;   in Loop: Header=BB6_4748 Depth=3
	v_cmp_lt_i16_e32 vcc, -1, v30
	v_mov_b32_e32 v30, 0xff800000
	v_mov_b32_e32 v31, 0x7f800000
	v_cndmask_b32_e32 v30, v30, v31, vcc
	v_cmp_eq_u32_e32 vcc, 0, v35
	v_mov_b32_e32 v31, 0x7f800001
	v_cndmask_b32_e32 v32, v31, v30, vcc
; %bb.5510:                             ;   in Loop: Header=BB6_4748 Depth=3
	s_or_b64 exec, exec, s[34:35]
.LBB6_5511:                             ;   in Loop: Header=BB6_4748 Depth=3
	s_or_b64 exec, exec, s[30:31]
.LBB6_5512:                             ;   in Loop: Header=BB6_4748 Depth=3
	s_or_b64 exec, exec, s[28:29]
	v_lshrrev_b16_e32 v30, 8, v4
	v_cmp_ne_u16_e32 vcc, 0, v30
	s_and_saveexec_b64 s[28:29], vcc
	s_cbranch_execz .LBB6_5520
; %bb.5513:                             ;   in Loop: Header=BB6_4748 Depth=3
	v_cmp_ne_u16_e32 vcc, s44, v30
	v_bfrev_b32_e32 v0, 1
	s_and_saveexec_b64 s[30:31], vcc
	s_cbranch_execz .LBB6_5519
; %bb.5514:                             ;   in Loop: Header=BB6_4748 Depth=3
	v_and_b32_e32 v0, 0x7c, v30
	v_and_b32_e32 v35, 3, v30
	v_cmp_ne_u32_e32 vcc, s81, v0
                                        ; implicit-def: $vgpr0
	s_and_saveexec_b64 s[34:35], vcc
	s_xor_b64 s[34:35], exec, s[34:35]
	s_cbranch_execz .LBB6_5516
; %bb.5515:                             ;   in Loop: Header=BB6_4748 Depth=3
	v_ffbh_u32_e32 v33, v35
	v_min_u32_e32 v33, 32, v33
	v_mov_b32_e32 v31, v34
	v_subrev_u32_e32 v36, 29, v33
	v_bfe_u32 v0, v30, 2, 5
	v_lshlrev_b64 v[30:31], v36, v[30:31]
	v_sub_u32_e32 v31, 30, v33
	v_cmp_eq_u32_e32 vcc, 0, v0
	v_cndmask_b32_e32 v0, v0, v31, vcc
	v_lshlrev_b32_e32 v31, 16, v4
	v_and_b32_e32 v30, 3, v30
	v_and_b32_e32 v31, 0x80000000, v31
	v_cndmask_b32_e32 v30, v35, v30, vcc
	v_lshl_add_u32 v0, v0, 23, v31
	v_lshl_or_b32 v0, v30, 21, v0
	v_add_u32_e32 v0, 0x38000000, v0
                                        ; implicit-def: $vgpr35
.LBB6_5516:                             ;   in Loop: Header=BB6_4748 Depth=3
	s_andn2_saveexec_b64 s[34:35], s[34:35]
; %bb.5517:                             ;   in Loop: Header=BB6_4748 Depth=3
	v_cmp_lt_i16_e32 vcc, -1, v4
	v_mov_b32_e32 v0, 0xff800000
	v_mov_b32_e32 v30, 0x7f800000
	v_cndmask_b32_e32 v0, v0, v30, vcc
	v_cmp_eq_u32_e32 vcc, 0, v35
	v_mov_b32_e32 v30, 0x7f800001
	v_cndmask_b32_e32 v0, v30, v0, vcc
; %bb.5518:                             ;   in Loop: Header=BB6_4748 Depth=3
	s_or_b64 exec, exec, s[34:35]
.LBB6_5519:                             ;   in Loop: Header=BB6_4748 Depth=3
	s_or_b64 exec, exec, s[30:31]
.LBB6_5520:                             ;   in Loop: Header=BB6_4748 Depth=3
	s_or_b64 exec, exec, s[28:29]
	v_mul_f32_e32 v32, v32, v0
	v_and_b32_e32 v35, 0x7f800000, v32
	v_mov_b32_e32 v36, v34
	v_cmp_ne_u64_e32 vcc, s[76:77], v[35:36]
	v_and_b32_e32 v30, 0x7fffff, v32
	v_mov_b32_e32 v31, v34
                                        ; implicit-def: $vgpr0
                                        ; kill: killed $vgpr0
	s_and_saveexec_b64 s[28:29], vcc
	s_xor_b64 s[30:31], exec, s[28:29]
	s_cbranch_execz .LBB6_5534
; %bb.5521:                             ;   in Loop: Header=BB6_4748 Depth=3
	v_and_b32_e32 v35, 0x7fffffff, v32
	v_mov_b32_e32 v36, v34
	v_cmp_gt_u64_e32 vcc, s[78:79], v[35:36]
	v_and_b32_sdwa v0, v32, s44 dst_sel:DWORD dst_unused:UNUSED_PAD src0_sel:BYTE_3 src1_sel:DWORD
                                        ; implicit-def: $vgpr33
                                        ; kill: killed $vgpr33
	s_and_saveexec_b64 s[28:29], vcc
	s_xor_b64 s[34:35], exec, s[28:29]
	s_cbranch_execz .LBB6_5531
; %bb.5522:                             ;   in Loop: Header=BB6_4748 Depth=3
	v_mov_b32_e32 v33, 0
	v_cmp_ne_u32_e32 vcc, 0, v32
	buffer_store_dword v33, off, s[0:3], s33 offset:248 ; 4-byte Folded Spill
	s_and_saveexec_b64 s[36:37], vcc
	s_cbranch_execz .LBB6_5530
; %bb.5523:                             ;   in Loop: Header=BB6_4748 Depth=3
	v_bfe_u32 v35, v32, 23, 8
	v_cmp_gt_u32_e64 s[28:29], s45, v35
	v_sub_u32_e32 v32, 0x71, v35
	v_cmp_eq_u32_e32 vcc, 0, v35
	v_cndmask_b32_e64 v32, 0, v32, s[28:29]
	v_mov_b32_e32 v36, 0x70
	v_cndmask_b32_e32 v36, v32, v36, vcc
	v_add_u32_e32 v32, 21, v36
	v_or_b32_e32 v33, 0x800000, v30
	v_lshlrev_b64 v[37:38], v32, -1
	v_cndmask_b32_e32 v30, v33, v30, vcc
	v_add_u32_e32 v32, 20, v36
	v_bfi_b32 v37, v37, 0, v30
	v_lshlrev_b64 v[48:49], v32, 1
	v_lshrrev_b64 v[30:31], v36, v[30:31]
	v_bfi_b32 v38, v38, 0, 0
	v_cmp_eq_u64_e64 s[28:29], v[37:38], v[48:49]
	v_mov_b32_e32 v32, v31
	v_mov_b32_e32 v31, v30
	s_and_saveexec_b64 s[38:39], s[28:29]
; %bb.5524:                             ;   in Loop: Header=BB6_4748 Depth=3
	v_bfe_u32 v31, v30, 21, 1
	v_add_co_u32_e64 v31, s[28:29], v30, v31
	v_add_co_u32_e64 v31, s[28:29], -1, v31
; %bb.5525:                             ;   in Loop: Header=BB6_4748 Depth=3
	s_or_b64 exec, exec, s[38:39]
	v_add_u32_e32 v32, 0xffffff81, v35
	v_mov_b32_e32 v33, 0xffffff82
	v_cndmask_b32_e32 v32, v32, v33, vcc
	v_lshrrev_b32_e32 v33, 23, v30
	v_add3_u32 v36, v36, v32, v33
	v_add_u32_e32 v35, 14, v36
	v_and_b32_e32 v31, 0x1fffff, v31
	v_add_u32_e32 v30, v31, v30
	v_mov_b32_e32 v31, v34
	v_cmp_ne_u32_e32 vcc, 0, v35
                                        ; implicit-def: $vgpr32
	s_and_saveexec_b64 s[28:29], vcc
	s_xor_b64 s[28:29], exec, s[28:29]
; %bb.5526:                             ;   in Loop: Header=BB6_4748 Depth=3
	v_cmp_lt_u64_e32 vcc, s[88:89], v[30:31]
	v_add_u32_e32 v32, 15, v36
	v_cndmask_b32_e64 v33, 0, 1, vcc
	v_lshrrev_b64 v[30:31], v33, v[30:31]
	v_cndmask_b32_e32 v32, v35, v32, vcc
; %bb.5527:                             ;   in Loop: Header=BB6_4748 Depth=3
	s_andn2_saveexec_b64 s[28:29], s[28:29]
; %bb.5528:                             ;   in Loop: Header=BB6_4748 Depth=3
	v_bfe_u32 v32, v30, 23, 1
; %bb.5529:                             ;   in Loop: Header=BB6_4748 Depth=3
	s_or_b64 exec, exec, s[28:29]
	v_lshrrev_b64 v[30:31], 21, v[30:31]
	v_cmp_gt_i32_e32 vcc, 32, v32
	v_cndmask_b32_e32 v31, 0, v31, vcc
	v_cndmask_b32_e32 v30, 3, v30, vcc
	v_cmp_eq_u64_e64 s[28:29], 0, v[30:31]
	v_min_i32_e32 v31, 31, v32
	v_lshlrev_b32_e32 v31, 2, v31
	v_cmp_eq_u32_e32 vcc, 0, v32
	v_and_b32_e32 v31, 0xfc, v31
	v_and_or_b32 v30, v30, 3, v31
	s_and_b64 s[28:29], vcc, s[28:29]
	v_cndmask_b32_e64 v30, v30, 0, s[28:29]
	v_or_b32_e32 v0, v30, v0
	buffer_store_dword v0, off, s[0:3], s33 offset:248 ; 4-byte Folded Spill
.LBB6_5530:                             ;   in Loop: Header=BB6_4748 Depth=3
	s_or_b64 exec, exec, s[36:37]
                                        ; implicit-def: $vgpr0
.LBB6_5531:                             ;   in Loop: Header=BB6_4748 Depth=3
	s_andn2_saveexec_b64 s[28:29], s[34:35]
	s_cbranch_execz .LBB6_5533
; %bb.5532:                             ;   in Loop: Header=BB6_4748 Depth=3
	v_or_b32_e32 v0, 0x7b, v0
	buffer_store_dword v0, off, s[0:3], s33 offset:248 ; 4-byte Folded Spill
.LBB6_5533:                             ;   in Loop: Header=BB6_4748 Depth=3
	s_or_b64 exec, exec, s[28:29]
                                        ; implicit-def: $vgpr32
                                        ; implicit-def: $vgpr30_vgpr31
.LBB6_5534:                             ;   in Loop: Header=BB6_4748 Depth=3
	s_andn2_saveexec_b64 s[28:29], s[30:31]
	s_cbranch_execz .LBB6_5540
; %bb.5535:                             ;   in Loop: Header=BB6_4748 Depth=3
	v_cmp_ne_u64_e32 vcc, 0, v[30:31]
                                        ; implicit-def: $vgpr0
                                        ; kill: killed $vgpr0
	s_and_saveexec_b64 s[30:31], vcc
	s_xor_b64 vcc, exec, s[30:31]
	s_cbranch_execz .LBB6_5537
; %bb.5536:                             ;   in Loop: Header=BB6_4748 Depth=3
	v_or_b32_sdwa v0, v32, s83 dst_sel:DWORD dst_unused:UNUSED_PAD src0_sel:BYTE_3 src1_sel:DWORD
	buffer_store_dword v0, off, s[0:3], s33 offset:248 ; 4-byte Folded Spill
                                        ; implicit-def: $vgpr32
.LBB6_5537:                             ;   in Loop: Header=BB6_4748 Depth=3
	s_andn2_saveexec_b64 s[30:31], vcc
	s_cbranch_execz .LBB6_5539
; %bb.5538:                             ;   in Loop: Header=BB6_4748 Depth=3
	v_cmp_lt_i32_e32 vcc, -1, v32
	v_bfrev_b32_e32 v0, 0.5
	v_mov_b32_e32 v30, 0x7c
	v_cndmask_b32_e32 v0, v0, v30, vcc
	buffer_store_dword v0, off, s[0:3], s33 offset:248 ; 4-byte Folded Spill
.LBB6_5539:                             ;   in Loop: Header=BB6_4748 Depth=3
	s_or_b64 exec, exec, s[30:31]
.LBB6_5540:                             ;   in Loop: Header=BB6_4748 Depth=3
	s_or_b64 exec, exec, s[28:29]
	v_lshrrev_b32_e32 v0, 16, v27
	v_cmp_ne_u16_sdwa vcc, v0, v34 src0_sel:BYTE_0 src1_sel:DWORD
	v_mov_b32_e32 v30, 0
	v_mov_b32_e32 v31, 0
	s_and_saveexec_b64 s[28:29], vcc
	s_cbranch_execz .LBB6_5548
; %bb.5541:                             ;   in Loop: Header=BB6_4748 Depth=3
	v_cmp_ne_u16_sdwa vcc, v0, s44 src0_sel:BYTE_0 src1_sel:DWORD
	v_bfrev_b32_e32 v31, 1
	s_and_saveexec_b64 s[30:31], vcc
	s_cbranch_execz .LBB6_5547
; %bb.5542:                             ;   in Loop: Header=BB6_4748 Depth=3
	v_and_b32_e32 v31, 0x7c0000, v27
	v_bfe_u32 v32, v27, 16, 2
	v_cmp_ne_u32_e32 vcc, s9, v31
                                        ; implicit-def: $vgpr31
	s_and_saveexec_b64 s[34:35], vcc
	s_xor_b64 s[34:35], exec, s[34:35]
	s_cbranch_execz .LBB6_5544
; %bb.5543:                             ;   in Loop: Header=BB6_4748 Depth=3
	v_ffbh_u32_e32 v33, v32
	v_min_u32_e32 v33, 32, v33
	v_subrev_u32_e32 v35, 29, v33
	v_lshlrev_b64 v[35:36], v35, v[0:1]
	v_bfe_u32 v31, v27, 18, 5
	v_sub_u32_e32 v0, 30, v33
	v_and_b32_e32 v33, 3, v35
	v_cmp_eq_u32_e32 vcc, 0, v31
	v_cndmask_b32_e32 v0, v31, v0, vcc
	v_cndmask_b32_e32 v31, v32, v33, vcc
	v_lshlrev_b32_e32 v32, 8, v27
	v_and_b32_e32 v32, 0x80000000, v32
	v_lshl_add_u32 v0, v0, 23, v32
	v_lshl_or_b32 v0, v31, 21, v0
	v_add_u32_e32 v31, 0x38000000, v0
                                        ; implicit-def: $vgpr32
                                        ; implicit-def: $vgpr0
.LBB6_5544:                             ;   in Loop: Header=BB6_4748 Depth=3
	s_andn2_saveexec_b64 s[34:35], s[34:35]
; %bb.5545:                             ;   in Loop: Header=BB6_4748 Depth=3
	v_mov_b32_e32 v31, -1
	v_cmp_gt_i16_sdwa vcc, sext(v0), v31 src0_sel:BYTE_0 src1_sel:DWORD
	v_mov_b32_e32 v0, 0xff800000
	v_mov_b32_e32 v31, 0x7f800000
	v_cndmask_b32_e32 v0, v0, v31, vcc
	v_cmp_eq_u32_e32 vcc, 0, v32
	v_mov_b32_e32 v31, 0x7f800001
	v_cndmask_b32_e32 v31, v31, v0, vcc
; %bb.5546:                             ;   in Loop: Header=BB6_4748 Depth=3
	s_or_b64 exec, exec, s[34:35]
.LBB6_5547:                             ;   in Loop: Header=BB6_4748 Depth=3
	s_or_b64 exec, exec, s[30:31]
.LBB6_5548:                             ;   in Loop: Header=BB6_4748 Depth=3
	s_or_b64 exec, exec, s[28:29]
	v_lshrrev_b32_e32 v0, 16, v4
	v_cmp_ne_u16_sdwa vcc, v0, v34 src0_sel:BYTE_0 src1_sel:DWORD
	s_and_saveexec_b64 s[28:29], vcc
	s_cbranch_execz .LBB6_5556
; %bb.5549:                             ;   in Loop: Header=BB6_4748 Depth=3
	v_cmp_ne_u16_sdwa vcc, v0, s44 src0_sel:BYTE_0 src1_sel:DWORD
	v_bfrev_b32_e32 v30, 1
	s_and_saveexec_b64 s[30:31], vcc
	s_cbranch_execz .LBB6_5555
; %bb.5550:                             ;   in Loop: Header=BB6_4748 Depth=3
	v_and_b32_e32 v30, 0x7c0000, v4
	v_bfe_u32 v32, v4, 16, 2
	v_cmp_ne_u32_e32 vcc, s9, v30
                                        ; implicit-def: $vgpr30
	s_and_saveexec_b64 s[34:35], vcc
	s_xor_b64 s[34:35], exec, s[34:35]
	s_cbranch_execz .LBB6_5552
; %bb.5551:                             ;   in Loop: Header=BB6_4748 Depth=3
	v_ffbh_u32_e32 v33, v32
	v_min_u32_e32 v33, 32, v33
	v_subrev_u32_e32 v35, 29, v33
	v_lshlrev_b64 v[35:36], v35, v[0:1]
	v_bfe_u32 v30, v4, 18, 5
	v_sub_u32_e32 v0, 30, v33
	v_and_b32_e32 v33, 3, v35
	v_cmp_eq_u32_e32 vcc, 0, v30
	v_cndmask_b32_e32 v0, v30, v0, vcc
	v_cndmask_b32_e32 v30, v32, v33, vcc
	v_lshlrev_b32_e32 v32, 8, v4
	v_and_b32_e32 v32, 0x80000000, v32
	v_lshl_add_u32 v0, v0, 23, v32
	v_lshl_or_b32 v0, v30, 21, v0
	v_add_u32_e32 v30, 0x38000000, v0
                                        ; implicit-def: $vgpr32
                                        ; implicit-def: $vgpr0
.LBB6_5552:                             ;   in Loop: Header=BB6_4748 Depth=3
	s_andn2_saveexec_b64 s[34:35], s[34:35]
; %bb.5553:                             ;   in Loop: Header=BB6_4748 Depth=3
	v_mov_b32_e32 v30, -1
	v_cmp_gt_i16_sdwa vcc, sext(v0), v30 src0_sel:BYTE_0 src1_sel:DWORD
	v_mov_b32_e32 v0, 0xff800000
	v_mov_b32_e32 v30, 0x7f800000
	v_cndmask_b32_e32 v0, v0, v30, vcc
	v_cmp_eq_u32_e32 vcc, 0, v32
	v_mov_b32_e32 v30, 0x7f800001
	v_cndmask_b32_e32 v30, v30, v0, vcc
; %bb.5554:                             ;   in Loop: Header=BB6_4748 Depth=3
	s_or_b64 exec, exec, s[34:35]
.LBB6_5555:                             ;   in Loop: Header=BB6_4748 Depth=3
	s_or_b64 exec, exec, s[30:31]
.LBB6_5556:                             ;   in Loop: Header=BB6_4748 Depth=3
	s_or_b64 exec, exec, s[28:29]
	v_mul_f32_e32 v35, v31, v30
	v_and_b32_e32 v31, 0x7f800000, v35
	v_mov_b32_e32 v32, v34
	v_cmp_ne_u64_e32 vcc, s[76:77], v[31:32]
	v_and_b32_e32 v30, 0x7fffff, v35
	v_mov_b32_e32 v31, v34
                                        ; implicit-def: $vgpr0
                                        ; kill: killed $vgpr0
	s_and_saveexec_b64 s[28:29], vcc
	s_xor_b64 s[30:31], exec, s[28:29]
	s_cbranch_execz .LBB6_5570
; %bb.5557:                             ;   in Loop: Header=BB6_4748 Depth=3
	v_and_b32_e32 v36, 0x7fffffff, v35
	v_mov_b32_e32 v37, v34
	v_cmp_gt_u64_e32 vcc, s[78:79], v[36:37]
	v_and_b32_sdwa v0, v35, s44 dst_sel:DWORD dst_unused:UNUSED_PAD src0_sel:BYTE_3 src1_sel:DWORD
                                        ; implicit-def: $vgpr32
                                        ; kill: killed $vgpr32
	s_and_saveexec_b64 s[28:29], vcc
	s_xor_b64 s[34:35], exec, s[28:29]
	s_cbranch_execz .LBB6_5567
; %bb.5558:                             ;   in Loop: Header=BB6_4748 Depth=3
	v_mov_b32_e32 v32, 0
	v_cmp_ne_u32_e32 vcc, 0, v35
	buffer_store_dword v32, off, s[0:3], s33 offset:256 ; 4-byte Folded Spill
	s_and_saveexec_b64 s[36:37], vcc
	s_cbranch_execz .LBB6_5566
; %bb.5559:                             ;   in Loop: Header=BB6_4748 Depth=3
	v_bfe_u32 v35, v35, 23, 8
	v_cmp_gt_u32_e64 s[28:29], s45, v35
	v_sub_u32_e32 v32, 0x71, v35
	v_cmp_eq_u32_e32 vcc, 0, v35
	v_cndmask_b32_e64 v32, 0, v32, s[28:29]
	v_mov_b32_e32 v36, 0x70
	v_cndmask_b32_e32 v36, v32, v36, vcc
	v_add_u32_e32 v32, 21, v36
	v_or_b32_e32 v33, 0x800000, v30
	v_lshlrev_b64 v[37:38], v32, -1
	v_cndmask_b32_e32 v30, v33, v30, vcc
	v_add_u32_e32 v32, 20, v36
	v_bfi_b32 v37, v37, 0, v30
	v_lshlrev_b64 v[48:49], v32, 1
	v_lshrrev_b64 v[30:31], v36, v[30:31]
	v_bfi_b32 v38, v38, 0, 0
	v_cmp_eq_u64_e64 s[28:29], v[37:38], v[48:49]
	v_mov_b32_e32 v32, v31
	v_mov_b32_e32 v31, v30
	s_and_saveexec_b64 s[38:39], s[28:29]
; %bb.5560:                             ;   in Loop: Header=BB6_4748 Depth=3
	v_bfe_u32 v31, v30, 21, 1
	v_add_co_u32_e64 v31, s[28:29], v30, v31
	v_add_co_u32_e64 v31, s[28:29], -1, v31
; %bb.5561:                             ;   in Loop: Header=BB6_4748 Depth=3
	s_or_b64 exec, exec, s[38:39]
	v_add_u32_e32 v32, 0xffffff81, v35
	v_mov_b32_e32 v33, 0xffffff82
	v_cndmask_b32_e32 v32, v32, v33, vcc
	v_lshrrev_b32_e32 v33, 23, v30
	v_add3_u32 v36, v36, v32, v33
	v_add_u32_e32 v35, 14, v36
	v_and_b32_e32 v31, 0x1fffff, v31
	v_add_u32_e32 v30, v31, v30
	v_mov_b32_e32 v31, v34
	v_cmp_ne_u32_e32 vcc, 0, v35
                                        ; implicit-def: $vgpr32
	s_and_saveexec_b64 s[28:29], vcc
	s_xor_b64 s[28:29], exec, s[28:29]
; %bb.5562:                             ;   in Loop: Header=BB6_4748 Depth=3
	v_cmp_lt_u64_e32 vcc, s[88:89], v[30:31]
	v_add_u32_e32 v32, 15, v36
	v_cndmask_b32_e64 v33, 0, 1, vcc
	v_lshrrev_b64 v[30:31], v33, v[30:31]
	v_cndmask_b32_e32 v32, v35, v32, vcc
; %bb.5563:                             ;   in Loop: Header=BB6_4748 Depth=3
	s_andn2_saveexec_b64 s[28:29], s[28:29]
; %bb.5564:                             ;   in Loop: Header=BB6_4748 Depth=3
	v_bfe_u32 v32, v30, 23, 1
; %bb.5565:                             ;   in Loop: Header=BB6_4748 Depth=3
	s_or_b64 exec, exec, s[28:29]
	v_lshrrev_b64 v[30:31], 21, v[30:31]
	v_cmp_gt_i32_e32 vcc, 32, v32
	v_cndmask_b32_e32 v31, 0, v31, vcc
	v_cndmask_b32_e32 v30, 3, v30, vcc
	v_cmp_eq_u64_e64 s[28:29], 0, v[30:31]
	v_min_i32_e32 v31, 31, v32
	v_lshlrev_b32_e32 v31, 2, v31
	v_cmp_eq_u32_e32 vcc, 0, v32
	v_and_b32_e32 v31, 0xfc, v31
	v_and_or_b32 v30, v30, 3, v31
	s_and_b64 s[28:29], vcc, s[28:29]
	v_cndmask_b32_e64 v30, v30, 0, s[28:29]
	v_or_b32_e32 v0, v30, v0
	buffer_store_dword v0, off, s[0:3], s33 offset:256 ; 4-byte Folded Spill
.LBB6_5566:                             ;   in Loop: Header=BB6_4748 Depth=3
	s_or_b64 exec, exec, s[36:37]
                                        ; implicit-def: $vgpr0
.LBB6_5567:                             ;   in Loop: Header=BB6_4748 Depth=3
	s_andn2_saveexec_b64 s[28:29], s[34:35]
	s_cbranch_execz .LBB6_5569
; %bb.5568:                             ;   in Loop: Header=BB6_4748 Depth=3
	v_or_b32_e32 v0, 0x7b, v0
	buffer_store_dword v0, off, s[0:3], s33 offset:256 ; 4-byte Folded Spill
.LBB6_5569:                             ;   in Loop: Header=BB6_4748 Depth=3
	s_or_b64 exec, exec, s[28:29]
                                        ; implicit-def: $vgpr35
                                        ; implicit-def: $vgpr30_vgpr31
.LBB6_5570:                             ;   in Loop: Header=BB6_4748 Depth=3
	s_andn2_saveexec_b64 s[28:29], s[30:31]
	s_cbranch_execz .LBB6_5576
; %bb.5571:                             ;   in Loop: Header=BB6_4748 Depth=3
	v_cmp_ne_u64_e32 vcc, 0, v[30:31]
                                        ; implicit-def: $vgpr0
                                        ; kill: killed $vgpr0
	s_and_saveexec_b64 s[30:31], vcc
	s_xor_b64 vcc, exec, s[30:31]
	s_cbranch_execz .LBB6_5573
; %bb.5572:                             ;   in Loop: Header=BB6_4748 Depth=3
	v_or_b32_sdwa v0, v35, s83 dst_sel:DWORD dst_unused:UNUSED_PAD src0_sel:BYTE_3 src1_sel:DWORD
	buffer_store_dword v0, off, s[0:3], s33 offset:256 ; 4-byte Folded Spill
                                        ; implicit-def: $vgpr35
.LBB6_5573:                             ;   in Loop: Header=BB6_4748 Depth=3
	s_andn2_saveexec_b64 s[30:31], vcc
	s_cbranch_execz .LBB6_5575
; %bb.5574:                             ;   in Loop: Header=BB6_4748 Depth=3
	v_cmp_lt_i32_e32 vcc, -1, v35
	v_bfrev_b32_e32 v0, 0.5
	v_mov_b32_e32 v30, 0x7c
	v_cndmask_b32_e32 v0, v0, v30, vcc
	buffer_store_dword v0, off, s[0:3], s33 offset:256 ; 4-byte Folded Spill
.LBB6_5575:                             ;   in Loop: Header=BB6_4748 Depth=3
	s_or_b64 exec, exec, s[30:31]
.LBB6_5576:                             ;   in Loop: Header=BB6_4748 Depth=3
	s_or_b64 exec, exec, s[28:29]
	v_cmp_lt_u64_e32 vcc, s[56:57], v[26:27]
	v_mov_b32_e32 v30, 0
	v_mov_b32_e32 v31, 0
	s_and_saveexec_b64 s[28:29], vcc
	s_cbranch_execz .LBB6_5584
; %bb.5577:                             ;   in Loop: Header=BB6_4748 Depth=3
	v_lshrrev_b32_e32 v0, 24, v27
	v_cmp_ne_u32_e32 vcc, s44, v0
	v_bfrev_b32_e32 v31, 1
	s_and_saveexec_b64 s[30:31], vcc
	s_cbranch_execz .LBB6_5583
; %bb.5578:                             ;   in Loop: Header=BB6_4748 Depth=3
	v_and_b32_e32 v31, 0x7c000000, v27
	v_bfe_u32 v35, v27, 24, 2
	v_cmp_ne_u32_e32 vcc, s8, v31
                                        ; implicit-def: $vgpr31
	s_and_saveexec_b64 s[34:35], vcc
	s_xor_b64 s[34:35], exec, s[34:35]
	s_cbranch_execz .LBB6_5580
; %bb.5579:                             ;   in Loop: Header=BB6_4748 Depth=3
	v_ffbh_u32_e32 v32, v35
	v_min_u32_e32 v32, 32, v32
	v_subrev_u32_e32 v33, 29, v32
	v_lshlrev_b64 v[36:37], v33, v[0:1]
	v_bfe_u32 v31, v27, 26, 5
	v_sub_u32_e32 v0, 30, v32
	v_and_b32_e32 v32, 3, v36
	v_cmp_eq_u32_e32 vcc, 0, v31
	v_cndmask_b32_e32 v0, v31, v0, vcc
	v_cndmask_b32_e32 v31, v35, v32, vcc
	v_and_b32_e32 v32, 0x80000000, v27
	v_lshl_add_u32 v0, v0, 23, v32
	v_lshl_or_b32 v0, v31, 21, v0
	v_add_u32_e32 v31, 0x38000000, v0
                                        ; implicit-def: $vgpr35
.LBB6_5580:                             ;   in Loop: Header=BB6_4748 Depth=3
	s_andn2_saveexec_b64 s[34:35], s[34:35]
; %bb.5581:                             ;   in Loop: Header=BB6_4748 Depth=3
	v_cmp_lt_i64_e32 vcc, -1, v[26:27]
	v_mov_b32_e32 v0, 0xff800000
	v_mov_b32_e32 v26, 0x7f800000
	v_cndmask_b32_e32 v0, v0, v26, vcc
	v_cmp_eq_u32_e32 vcc, 0, v35
	v_mov_b32_e32 v26, 0x7f800001
	v_cndmask_b32_e32 v31, v26, v0, vcc
; %bb.5582:                             ;   in Loop: Header=BB6_4748 Depth=3
	s_or_b64 exec, exec, s[34:35]
.LBB6_5583:                             ;   in Loop: Header=BB6_4748 Depth=3
	s_or_b64 exec, exec, s[30:31]
.LBB6_5584:                             ;   in Loop: Header=BB6_4748 Depth=3
	s_or_b64 exec, exec, s[28:29]
	v_cmp_lt_u64_e32 vcc, s[56:57], v[3:4]
	s_and_saveexec_b64 s[28:29], vcc
	s_cbranch_execz .LBB6_5592
; %bb.5585:                             ;   in Loop: Header=BB6_4748 Depth=3
	v_lshrrev_b32_e32 v0, 24, v4
	v_cmp_ne_u32_e32 vcc, s44, v0
	v_bfrev_b32_e32 v30, 1
	s_and_saveexec_b64 s[30:31], vcc
	s_cbranch_execz .LBB6_5591
; %bb.5586:                             ;   in Loop: Header=BB6_4748 Depth=3
	v_and_b32_e32 v27, 0x7c000000, v4
	v_bfe_u32 v26, v4, 24, 2
	v_cmp_ne_u32_e32 vcc, s8, v27
                                        ; implicit-def: $vgpr30
	s_and_saveexec_b64 s[34:35], vcc
	s_xor_b64 s[34:35], exec, s[34:35]
	s_cbranch_execz .LBB6_5588
; %bb.5587:                             ;   in Loop: Header=BB6_4748 Depth=3
	v_ffbh_u32_e32 v30, v26
	v_min_u32_e32 v30, 32, v30
	v_subrev_u32_e32 v32, 29, v30
	v_bfe_u32 v27, v4, 26, 5
	v_lshlrev_b64 v[35:36], v32, v[0:1]
	v_sub_u32_e32 v0, 30, v30
	v_cmp_eq_u32_e32 vcc, 0, v27
	v_and_b32_e32 v30, 3, v35
	v_cndmask_b32_e32 v0, v27, v0, vcc
	v_and_b32_e32 v27, 0x80000000, v4
	v_cndmask_b32_e32 v26, v26, v30, vcc
	v_lshl_add_u32 v0, v0, 23, v27
	v_lshl_or_b32 v0, v26, 21, v0
	v_add_u32_e32 v30, 0x38000000, v0
                                        ; implicit-def: $vgpr26
.LBB6_5588:                             ;   in Loop: Header=BB6_4748 Depth=3
	s_andn2_saveexec_b64 s[34:35], s[34:35]
; %bb.5589:                             ;   in Loop: Header=BB6_4748 Depth=3
	v_cmp_lt_i64_e32 vcc, -1, v[3:4]
	v_mov_b32_e32 v0, 0xff800000
	v_mov_b32_e32 v3, 0x7f800000
	v_cndmask_b32_e32 v0, v0, v3, vcc
	v_cmp_eq_u32_e32 vcc, 0, v26
	v_mov_b32_e32 v3, 0x7f800001
	v_cndmask_b32_e32 v30, v3, v0, vcc
; %bb.5590:                             ;   in Loop: Header=BB6_4748 Depth=3
	s_or_b64 exec, exec, s[34:35]
.LBB6_5591:                             ;   in Loop: Header=BB6_4748 Depth=3
	s_or_b64 exec, exec, s[30:31]
.LBB6_5592:                             ;   in Loop: Header=BB6_4748 Depth=3
	s_or_b64 exec, exec, s[28:29]
	v_mul_f32_e32 v26, v31, v30
	v_and_b32_e32 v30, 0x7f800000, v26
	v_mov_b32_e32 v31, v34
	v_cmp_ne_u64_e32 vcc, s[76:77], v[30:31]
	v_and_b32_e32 v3, 0x7fffff, v26
	v_mov_b32_e32 v4, v34
                                        ; implicit-def: $vgpr0
                                        ; kill: killed $vgpr0
	s_and_saveexec_b64 s[28:29], vcc
	s_xor_b64 s[30:31], exec, s[28:29]
	s_cbranch_execz .LBB6_5606
; %bb.5593:                             ;   in Loop: Header=BB6_4748 Depth=3
	v_and_b32_e32 v30, 0x7fffffff, v26
	v_mov_b32_e32 v31, v34
	v_cmp_gt_u64_e32 vcc, s[78:79], v[30:31]
	v_and_b32_sdwa v0, v26, s44 dst_sel:DWORD dst_unused:UNUSED_PAD src0_sel:BYTE_3 src1_sel:DWORD
                                        ; implicit-def: $vgpr27
                                        ; kill: killed $vgpr27
	s_and_saveexec_b64 s[28:29], vcc
	s_xor_b64 s[34:35], exec, s[28:29]
	s_cbranch_execz .LBB6_5603
; %bb.5594:                             ;   in Loop: Header=BB6_4748 Depth=3
	v_mov_b32_e32 v27, 0
	v_cmp_ne_u32_e32 vcc, 0, v26
	buffer_store_dword v27, off, s[0:3], s33 offset:264 ; 4-byte Folded Spill
	s_and_saveexec_b64 s[36:37], vcc
	s_cbranch_execz .LBB6_5602
; %bb.5595:                             ;   in Loop: Header=BB6_4748 Depth=3
	v_bfe_u32 v30, v26, 23, 8
	v_cmp_gt_u32_e64 s[28:29], s45, v30
	v_sub_u32_e32 v26, 0x71, v30
	v_cmp_eq_u32_e32 vcc, 0, v30
	v_cndmask_b32_e64 v26, 0, v26, s[28:29]
	v_mov_b32_e32 v31, 0x70
	v_cndmask_b32_e32 v31, v26, v31, vcc
	v_or_b32_e32 v27, 0x800000, v3
	v_add_u32_e32 v26, 21, v31
	v_cndmask_b32_e32 v3, v27, v3, vcc
	v_lshlrev_b64 v[26:27], v26, -1
	v_add_u32_e32 v32, 20, v31
	v_bfi_b32 v26, v26, 0, v3
	v_lshlrev_b64 v[35:36], v32, 1
	v_lshrrev_b64 v[3:4], v31, v[3:4]
	v_bfi_b32 v27, v27, 0, 0
	v_cmp_eq_u64_e64 s[28:29], v[26:27], v[35:36]
	v_mov_b32_e32 v27, v4
	v_mov_b32_e32 v26, v3
	s_and_saveexec_b64 s[38:39], s[28:29]
; %bb.5596:                             ;   in Loop: Header=BB6_4748 Depth=3
	v_bfe_u32 v4, v3, 21, 1
	v_add_co_u32_e64 v4, s[28:29], v3, v4
	v_add_co_u32_e64 v26, s[28:29], -1, v4
; %bb.5597:                             ;   in Loop: Header=BB6_4748 Depth=3
	s_or_b64 exec, exec, s[38:39]
	v_add_u32_e32 v4, 0xffffff81, v30
	v_mov_b32_e32 v27, 0xffffff82
	v_cndmask_b32_e32 v4, v4, v27, vcc
	v_lshrrev_b32_e32 v27, 23, v3
	v_add3_u32 v30, v31, v4, v27
	v_add_u32_e32 v27, 14, v30
	v_and_b32_e32 v4, 0x1fffff, v26
	v_add_u32_e32 v3, v4, v3
	v_mov_b32_e32 v4, v34
	v_cmp_ne_u32_e32 vcc, 0, v27
                                        ; implicit-def: $vgpr26
	s_and_saveexec_b64 s[28:29], vcc
	s_xor_b64 s[28:29], exec, s[28:29]
; %bb.5598:                             ;   in Loop: Header=BB6_4748 Depth=3
	v_cmp_lt_u64_e32 vcc, s[88:89], v[3:4]
	v_add_u32_e32 v26, 15, v30
	v_cndmask_b32_e32 v26, v27, v26, vcc
	v_cndmask_b32_e64 v27, 0, 1, vcc
	v_lshrrev_b64 v[3:4], v27, v[3:4]
; %bb.5599:                             ;   in Loop: Header=BB6_4748 Depth=3
	s_andn2_saveexec_b64 s[28:29], s[28:29]
; %bb.5600:                             ;   in Loop: Header=BB6_4748 Depth=3
	v_bfe_u32 v26, v3, 23, 1
; %bb.5601:                             ;   in Loop: Header=BB6_4748 Depth=3
	s_or_b64 exec, exec, s[28:29]
	v_lshrrev_b64 v[3:4], 21, v[3:4]
	v_cmp_gt_i32_e32 vcc, 32, v26
	v_cndmask_b32_e32 v4, 0, v4, vcc
	v_cndmask_b32_e32 v3, 3, v3, vcc
	v_cmp_eq_u64_e64 s[28:29], 0, v[3:4]
	v_min_i32_e32 v4, 31, v26
	v_lshlrev_b32_e32 v4, 2, v4
	v_cmp_eq_u32_e32 vcc, 0, v26
	v_and_b32_e32 v4, 0xfc, v4
	v_and_or_b32 v3, v3, 3, v4
	s_and_b64 s[28:29], vcc, s[28:29]
	v_cndmask_b32_e64 v3, v3, 0, s[28:29]
	v_or_b32_e32 v0, v3, v0
	buffer_store_dword v0, off, s[0:3], s33 offset:264 ; 4-byte Folded Spill
.LBB6_5602:                             ;   in Loop: Header=BB6_4748 Depth=3
	s_or_b64 exec, exec, s[36:37]
                                        ; implicit-def: $vgpr0
.LBB6_5603:                             ;   in Loop: Header=BB6_4748 Depth=3
	s_andn2_saveexec_b64 s[28:29], s[34:35]
	s_cbranch_execz .LBB6_5605
; %bb.5604:                             ;   in Loop: Header=BB6_4748 Depth=3
	v_or_b32_e32 v0, 0x7b, v0
	buffer_store_dword v0, off, s[0:3], s33 offset:264 ; 4-byte Folded Spill
.LBB6_5605:                             ;   in Loop: Header=BB6_4748 Depth=3
	s_or_b64 exec, exec, s[28:29]
                                        ; implicit-def: $vgpr26
                                        ; implicit-def: $vgpr3_vgpr4
.LBB6_5606:                             ;   in Loop: Header=BB6_4748 Depth=3
	s_andn2_saveexec_b64 s[28:29], s[30:31]
	s_cbranch_execz .LBB6_5612
; %bb.5607:                             ;   in Loop: Header=BB6_4748 Depth=3
	v_cmp_ne_u64_e32 vcc, 0, v[3:4]
                                        ; implicit-def: $vgpr0
                                        ; kill: killed $vgpr0
	s_and_saveexec_b64 s[30:31], vcc
	s_xor_b64 vcc, exec, s[30:31]
	s_cbranch_execz .LBB6_5609
; %bb.5608:                             ;   in Loop: Header=BB6_4748 Depth=3
	v_or_b32_sdwa v0, v26, s83 dst_sel:DWORD dst_unused:UNUSED_PAD src0_sel:BYTE_3 src1_sel:DWORD
	buffer_store_dword v0, off, s[0:3], s33 offset:264 ; 4-byte Folded Spill
                                        ; implicit-def: $vgpr26
.LBB6_5609:                             ;   in Loop: Header=BB6_4748 Depth=3
	s_andn2_saveexec_b64 s[30:31], vcc
	s_cbranch_execz .LBB6_5611
; %bb.5610:                             ;   in Loop: Header=BB6_4748 Depth=3
	v_cmp_lt_i32_e32 vcc, -1, v26
	v_bfrev_b32_e32 v0, 0.5
	v_mov_b32_e32 v3, 0x7c
	v_cndmask_b32_e32 v0, v0, v3, vcc
	buffer_store_dword v0, off, s[0:3], s33 offset:264 ; 4-byte Folded Spill
.LBB6_5611:                             ;   in Loop: Header=BB6_4748 Depth=3
	s_or_b64 exec, exec, s[30:31]
.LBB6_5612:                             ;   in Loop: Header=BB6_4748 Depth=3
	s_or_b64 exec, exec, s[28:29]
	v_cmp_ne_u16_sdwa vcc, v28, v34 src0_sel:BYTE_0 src1_sel:DWORD
	v_mov_b32_e32 v0, 0
	v_mov_b32_e32 v3, 0
	s_and_saveexec_b64 s[28:29], vcc
	s_cbranch_execz .LBB6_5620
; %bb.5613:                             ;   in Loop: Header=BB6_4748 Depth=3
	v_cmp_ne_u16_sdwa vcc, sext(v28), s80 src0_sel:BYTE_0 src1_sel:DWORD
	v_bfrev_b32_e32 v3, 1
	s_and_saveexec_b64 s[30:31], vcc
	s_cbranch_execz .LBB6_5619
; %bb.5614:                             ;   in Loop: Header=BB6_4748 Depth=3
	v_and_b32_e32 v3, 0x7c, v28
	v_and_b32_e32 v4, 3, v28
	v_cmp_ne_u32_e32 vcc, s81, v3
                                        ; implicit-def: $vgpr3
	s_and_saveexec_b64 s[34:35], vcc
	s_xor_b64 s[34:35], exec, s[34:35]
	s_cbranch_execz .LBB6_5616
; %bb.5615:                             ;   in Loop: Header=BB6_4748 Depth=3
	v_ffbh_u32_e32 v26, v4
	v_min_u32_e32 v30, 32, v26
	v_subrev_u32_e32 v26, 29, v30
	v_lshlrev_b64 v[26:27], v26, v[28:29]
	v_bfe_u32 v3, v28, 2, 5
	v_and_b32_e32 v26, 3, v26
	v_cmp_eq_u32_e32 vcc, 0, v3
	v_sub_u32_e32 v27, 30, v30
	v_cndmask_b32_e32 v4, v4, v26, vcc
	v_lshlrev_b32_e32 v26, 24, v28
	v_cndmask_b32_e32 v3, v3, v27, vcc
	v_and_b32_e32 v26, 0x80000000, v26
	v_lshl_add_u32 v3, v3, 23, v26
	v_lshl_or_b32 v3, v4, 21, v3
	v_add_u32_e32 v3, 0x38000000, v3
                                        ; implicit-def: $vgpr4
.LBB6_5616:                             ;   in Loop: Header=BB6_4748 Depth=3
	s_andn2_saveexec_b64 s[34:35], s[34:35]
; %bb.5617:                             ;   in Loop: Header=BB6_4748 Depth=3
	v_mov_b32_e32 v3, -1
	v_cmp_gt_i16_sdwa vcc, sext(v28), v3 src0_sel:BYTE_0 src1_sel:DWORD
	v_mov_b32_e32 v3, 0xff800000
	v_mov_b32_e32 v26, 0x7f800000
	v_cndmask_b32_e32 v3, v3, v26, vcc
	v_cmp_eq_u32_e32 vcc, 0, v4
	v_mov_b32_e32 v4, 0x7f800001
	v_cndmask_b32_e32 v3, v4, v3, vcc
; %bb.5618:                             ;   in Loop: Header=BB6_4748 Depth=3
	s_or_b64 exec, exec, s[34:35]
.LBB6_5619:                             ;   in Loop: Header=BB6_4748 Depth=3
	s_or_b64 exec, exec, s[30:31]
.LBB6_5620:                             ;   in Loop: Header=BB6_4748 Depth=3
	s_or_b64 exec, exec, s[28:29]
	v_cmp_ne_u16_sdwa vcc, v5, v34 src0_sel:BYTE_0 src1_sel:DWORD
	s_and_saveexec_b64 s[28:29], vcc
	s_cbranch_execz .LBB6_5628
; %bb.5621:                             ;   in Loop: Header=BB6_4748 Depth=3
	v_cmp_ne_u16_sdwa vcc, sext(v5), s80 src0_sel:BYTE_0 src1_sel:DWORD
	v_bfrev_b32_e32 v0, 1
	s_and_saveexec_b64 s[30:31], vcc
	s_cbranch_execz .LBB6_5627
; %bb.5622:                             ;   in Loop: Header=BB6_4748 Depth=3
	v_and_b32_e32 v0, 0x7c, v5
	v_and_b32_e32 v4, 3, v5
	v_cmp_ne_u32_e32 vcc, s81, v0
                                        ; implicit-def: $vgpr0
	s_and_saveexec_b64 s[34:35], vcc
	s_xor_b64 s[34:35], exec, s[34:35]
	s_cbranch_execz .LBB6_5624
; %bb.5623:                             ;   in Loop: Header=BB6_4748 Depth=3
	v_ffbh_u32_e32 v26, v4
	v_min_u32_e32 v30, 32, v26
	v_subrev_u32_e32 v26, 29, v30
	v_lshlrev_b64 v[26:27], v26, v[5:6]
	v_bfe_u32 v0, v5, 2, 5
	v_and_b32_e32 v26, 3, v26
	v_cmp_eq_u32_e32 vcc, 0, v0
	v_sub_u32_e32 v27, 30, v30
	v_cndmask_b32_e32 v4, v4, v26, vcc
	v_lshlrev_b32_e32 v26, 24, v5
	v_cndmask_b32_e32 v0, v0, v27, vcc
	v_and_b32_e32 v26, 0x80000000, v26
	v_lshl_add_u32 v0, v0, 23, v26
	v_lshl_or_b32 v0, v4, 21, v0
	v_add_u32_e32 v0, 0x38000000, v0
                                        ; implicit-def: $vgpr4
.LBB6_5624:                             ;   in Loop: Header=BB6_4748 Depth=3
	s_andn2_saveexec_b64 s[34:35], s[34:35]
; %bb.5625:                             ;   in Loop: Header=BB6_4748 Depth=3
	v_mov_b32_e32 v0, -1
	v_cmp_gt_i16_sdwa vcc, sext(v5), v0 src0_sel:BYTE_0 src1_sel:DWORD
	v_mov_b32_e32 v0, 0xff800000
	v_mov_b32_e32 v26, 0x7f800000
	v_cndmask_b32_e32 v0, v0, v26, vcc
	v_cmp_eq_u32_e32 vcc, 0, v4
	v_mov_b32_e32 v4, 0x7f800001
	v_cndmask_b32_e32 v0, v4, v0, vcc
; %bb.5626:                             ;   in Loop: Header=BB6_4748 Depth=3
	s_or_b64 exec, exec, s[34:35]
.LBB6_5627:                             ;   in Loop: Header=BB6_4748 Depth=3
	s_or_b64 exec, exec, s[30:31]
.LBB6_5628:                             ;   in Loop: Header=BB6_4748 Depth=3
	s_or_b64 exec, exec, s[28:29]
	v_mul_f32_e32 v26, v3, v0
	v_and_b32_e32 v30, 0x7f800000, v26
	v_mov_b32_e32 v31, v34
	v_cmp_ne_u64_e32 vcc, s[76:77], v[30:31]
	v_and_b32_e32 v3, 0x7fffff, v26
	v_mov_b32_e32 v4, v34
                                        ; implicit-def: $vgpr0
                                        ; kill: killed $vgpr0
	s_and_saveexec_b64 s[28:29], vcc
	s_xor_b64 s[30:31], exec, s[28:29]
	s_cbranch_execz .LBB6_5642
; %bb.5629:                             ;   in Loop: Header=BB6_4748 Depth=3
	v_and_b32_e32 v30, 0x7fffffff, v26
	v_mov_b32_e32 v31, v34
	v_cmp_gt_u64_e32 vcc, s[78:79], v[30:31]
	v_and_b32_sdwa v0, v26, s44 dst_sel:DWORD dst_unused:UNUSED_PAD src0_sel:BYTE_3 src1_sel:DWORD
                                        ; implicit-def: $vgpr27
                                        ; kill: killed $vgpr27
	s_and_saveexec_b64 s[28:29], vcc
	s_xor_b64 s[34:35], exec, s[28:29]
	s_cbranch_execz .LBB6_5639
; %bb.5630:                             ;   in Loop: Header=BB6_4748 Depth=3
	v_mov_b32_e32 v27, 0
	v_cmp_ne_u32_e32 vcc, 0, v26
	buffer_store_dword v27, off, s[0:3], s33 offset:376 ; 4-byte Folded Spill
	s_and_saveexec_b64 s[36:37], vcc
	s_cbranch_execz .LBB6_5638
; %bb.5631:                             ;   in Loop: Header=BB6_4748 Depth=3
	v_bfe_u32 v30, v26, 23, 8
	v_cmp_gt_u32_e64 s[28:29], s45, v30
	v_sub_u32_e32 v26, 0x71, v30
	v_cmp_eq_u32_e32 vcc, 0, v30
	v_cndmask_b32_e64 v26, 0, v26, s[28:29]
	v_mov_b32_e32 v31, 0x70
	v_cndmask_b32_e32 v31, v26, v31, vcc
	v_or_b32_e32 v27, 0x800000, v3
	v_add_u32_e32 v26, 21, v31
	v_cndmask_b32_e32 v3, v27, v3, vcc
	v_lshlrev_b64 v[26:27], v26, -1
	v_add_u32_e32 v32, 20, v31
	v_bfi_b32 v26, v26, 0, v3
	v_lshlrev_b64 v[35:36], v32, 1
	v_lshrrev_b64 v[3:4], v31, v[3:4]
	v_bfi_b32 v27, v27, 0, 0
	v_cmp_eq_u64_e64 s[28:29], v[26:27], v[35:36]
	v_mov_b32_e32 v27, v4
	v_mov_b32_e32 v26, v3
	s_and_saveexec_b64 s[38:39], s[28:29]
; %bb.5632:                             ;   in Loop: Header=BB6_4748 Depth=3
	v_bfe_u32 v4, v3, 21, 1
	v_add_co_u32_e64 v4, s[28:29], v3, v4
	v_add_co_u32_e64 v26, s[28:29], -1, v4
; %bb.5633:                             ;   in Loop: Header=BB6_4748 Depth=3
	s_or_b64 exec, exec, s[38:39]
	v_add_u32_e32 v4, 0xffffff81, v30
	v_mov_b32_e32 v27, 0xffffff82
	v_cndmask_b32_e32 v4, v4, v27, vcc
	v_lshrrev_b32_e32 v27, 23, v3
	v_add3_u32 v30, v31, v4, v27
	v_add_u32_e32 v27, 14, v30
	v_and_b32_e32 v4, 0x1fffff, v26
	v_add_u32_e32 v3, v4, v3
	v_mov_b32_e32 v4, v34
	v_cmp_ne_u32_e32 vcc, 0, v27
                                        ; implicit-def: $vgpr26
	s_and_saveexec_b64 s[28:29], vcc
	s_xor_b64 s[28:29], exec, s[28:29]
; %bb.5634:                             ;   in Loop: Header=BB6_4748 Depth=3
	v_cmp_lt_u64_e32 vcc, s[88:89], v[3:4]
	v_add_u32_e32 v26, 15, v30
	v_cndmask_b32_e32 v26, v27, v26, vcc
	v_cndmask_b32_e64 v27, 0, 1, vcc
	v_lshrrev_b64 v[3:4], v27, v[3:4]
; %bb.5635:                             ;   in Loop: Header=BB6_4748 Depth=3
	s_andn2_saveexec_b64 s[28:29], s[28:29]
; %bb.5636:                             ;   in Loop: Header=BB6_4748 Depth=3
	v_bfe_u32 v26, v3, 23, 1
; %bb.5637:                             ;   in Loop: Header=BB6_4748 Depth=3
	s_or_b64 exec, exec, s[28:29]
	v_lshrrev_b64 v[3:4], 21, v[3:4]
	v_cmp_gt_i32_e32 vcc, 32, v26
	v_cndmask_b32_e32 v4, 0, v4, vcc
	v_cndmask_b32_e32 v3, 3, v3, vcc
	v_cmp_eq_u64_e64 s[28:29], 0, v[3:4]
	v_min_i32_e32 v4, 31, v26
	v_lshlrev_b32_e32 v4, 2, v4
	v_cmp_eq_u32_e32 vcc, 0, v26
	v_and_b32_e32 v4, 0xfc, v4
	v_and_or_b32 v3, v3, 3, v4
	s_and_b64 s[28:29], vcc, s[28:29]
	v_cndmask_b32_e64 v3, v3, 0, s[28:29]
	v_or_b32_e32 v0, v3, v0
	buffer_store_dword v0, off, s[0:3], s33 offset:376 ; 4-byte Folded Spill
.LBB6_5638:                             ;   in Loop: Header=BB6_4748 Depth=3
	s_or_b64 exec, exec, s[36:37]
                                        ; implicit-def: $vgpr0
.LBB6_5639:                             ;   in Loop: Header=BB6_4748 Depth=3
	s_andn2_saveexec_b64 s[28:29], s[34:35]
	s_cbranch_execz .LBB6_5641
; %bb.5640:                             ;   in Loop: Header=BB6_4748 Depth=3
	v_or_b32_e32 v0, 0x7b, v0
	buffer_store_dword v0, off, s[0:3], s33 offset:376 ; 4-byte Folded Spill
.LBB6_5641:                             ;   in Loop: Header=BB6_4748 Depth=3
	s_or_b64 exec, exec, s[28:29]
                                        ; implicit-def: $vgpr26
                                        ; implicit-def: $vgpr3_vgpr4
.LBB6_5642:                             ;   in Loop: Header=BB6_4748 Depth=3
	s_andn2_saveexec_b64 s[28:29], s[30:31]
	s_cbranch_execz .LBB6_5648
; %bb.5643:                             ;   in Loop: Header=BB6_4748 Depth=3
	v_cmp_ne_u64_e32 vcc, 0, v[3:4]
                                        ; implicit-def: $vgpr0
                                        ; kill: killed $vgpr0
	s_and_saveexec_b64 s[30:31], vcc
	s_xor_b64 vcc, exec, s[30:31]
	s_cbranch_execz .LBB6_5645
; %bb.5644:                             ;   in Loop: Header=BB6_4748 Depth=3
	v_or_b32_sdwa v0, v26, s83 dst_sel:DWORD dst_unused:UNUSED_PAD src0_sel:BYTE_3 src1_sel:DWORD
	buffer_store_dword v0, off, s[0:3], s33 offset:376 ; 4-byte Folded Spill
                                        ; implicit-def: $vgpr26
.LBB6_5645:                             ;   in Loop: Header=BB6_4748 Depth=3
	s_andn2_saveexec_b64 s[30:31], vcc
	s_cbranch_execz .LBB6_5647
; %bb.5646:                             ;   in Loop: Header=BB6_4748 Depth=3
	v_cmp_lt_i32_e32 vcc, -1, v26
	v_bfrev_b32_e32 v0, 0.5
	v_mov_b32_e32 v3, 0x7c
	v_cndmask_b32_e32 v0, v0, v3, vcc
	buffer_store_dword v0, off, s[0:3], s33 offset:376 ; 4-byte Folded Spill
.LBB6_5647:                             ;   in Loop: Header=BB6_4748 Depth=3
	s_or_b64 exec, exec, s[30:31]
.LBB6_5648:                             ;   in Loop: Header=BB6_4748 Depth=3
	s_or_b64 exec, exec, s[28:29]
	v_lshrrev_b16_e32 v3, 8, v28
	v_cmp_ne_u16_e32 vcc, 0, v3
	v_mov_b32_e32 v0, 0
	v_mov_b32_e32 v26, 0
	s_and_saveexec_b64 s[28:29], vcc
	s_cbranch_execz .LBB6_5656
; %bb.5649:                             ;   in Loop: Header=BB6_4748 Depth=3
	v_cmp_ne_u16_e32 vcc, s44, v3
	v_bfrev_b32_e32 v26, 1
	s_and_saveexec_b64 s[30:31], vcc
	s_cbranch_execz .LBB6_5655
; %bb.5650:                             ;   in Loop: Header=BB6_4748 Depth=3
	v_and_b32_e32 v4, 0x7c, v3
	v_and_b32_e32 v27, 3, v3
	v_cmp_ne_u32_e32 vcc, s81, v4
                                        ; implicit-def: $vgpr26
	s_and_saveexec_b64 s[34:35], vcc
	s_xor_b64 s[34:35], exec, s[34:35]
	s_cbranch_execz .LBB6_5652
; %bb.5651:                             ;   in Loop: Header=BB6_4748 Depth=3
	v_ffbh_u32_e32 v30, v27
	v_min_u32_e32 v30, 32, v30
	v_mov_b32_e32 v4, v34
	v_subrev_u32_e32 v31, 29, v30
	v_bfe_u32 v26, v3, 2, 5
	v_lshlrev_b64 v[3:4], v31, v[3:4]
	v_sub_u32_e32 v4, 30, v30
	v_cmp_eq_u32_e32 vcc, 0, v26
	v_cndmask_b32_e32 v4, v26, v4, vcc
	v_lshlrev_b32_e32 v26, 16, v28
	v_and_b32_e32 v3, 3, v3
	v_and_b32_e32 v26, 0x80000000, v26
	v_cndmask_b32_e32 v3, v27, v3, vcc
	v_lshl_add_u32 v4, v4, 23, v26
	v_lshl_or_b32 v3, v3, 21, v4
	v_add_u32_e32 v26, 0x38000000, v3
                                        ; implicit-def: $vgpr27
.LBB6_5652:                             ;   in Loop: Header=BB6_4748 Depth=3
	s_andn2_saveexec_b64 s[34:35], s[34:35]
; %bb.5653:                             ;   in Loop: Header=BB6_4748 Depth=3
	v_cmp_lt_i16_e32 vcc, -1, v28
	v_mov_b32_e32 v3, 0xff800000
	v_mov_b32_e32 v4, 0x7f800000
	v_cndmask_b32_e32 v3, v3, v4, vcc
	v_cmp_eq_u32_e32 vcc, 0, v27
	v_mov_b32_e32 v4, 0x7f800001
	v_cndmask_b32_e32 v26, v4, v3, vcc
; %bb.5654:                             ;   in Loop: Header=BB6_4748 Depth=3
	s_or_b64 exec, exec, s[34:35]
.LBB6_5655:                             ;   in Loop: Header=BB6_4748 Depth=3
	s_or_b64 exec, exec, s[30:31]
.LBB6_5656:                             ;   in Loop: Header=BB6_4748 Depth=3
	s_or_b64 exec, exec, s[28:29]
	v_lshrrev_b16_e32 v3, 8, v5
	v_cmp_ne_u16_e32 vcc, 0, v3
	s_and_saveexec_b64 s[28:29], vcc
	s_cbranch_execz .LBB6_5664
; %bb.5657:                             ;   in Loop: Header=BB6_4748 Depth=3
	v_cmp_ne_u16_e32 vcc, s44, v3
	v_bfrev_b32_e32 v0, 1
	s_and_saveexec_b64 s[30:31], vcc
	s_cbranch_execz .LBB6_5663
; %bb.5658:                             ;   in Loop: Header=BB6_4748 Depth=3
	v_and_b32_e32 v0, 0x7c, v3
	v_and_b32_e32 v27, 3, v3
	v_cmp_ne_u32_e32 vcc, s81, v0
                                        ; implicit-def: $vgpr0
	s_and_saveexec_b64 s[34:35], vcc
	s_xor_b64 s[34:35], exec, s[34:35]
	s_cbranch_execz .LBB6_5660
; %bb.5659:                             ;   in Loop: Header=BB6_4748 Depth=3
	v_ffbh_u32_e32 v30, v27
	v_min_u32_e32 v30, 32, v30
	v_mov_b32_e32 v4, v34
	v_subrev_u32_e32 v31, 29, v30
	v_bfe_u32 v0, v3, 2, 5
	v_lshlrev_b64 v[3:4], v31, v[3:4]
	v_sub_u32_e32 v4, 30, v30
	v_cmp_eq_u32_e32 vcc, 0, v0
	v_cndmask_b32_e32 v0, v0, v4, vcc
	v_lshlrev_b32_e32 v4, 16, v5
	v_and_b32_e32 v3, 3, v3
	v_and_b32_e32 v4, 0x80000000, v4
	v_cndmask_b32_e32 v3, v27, v3, vcc
	v_lshl_add_u32 v0, v0, 23, v4
	v_lshl_or_b32 v0, v3, 21, v0
	v_add_u32_e32 v0, 0x38000000, v0
                                        ; implicit-def: $vgpr27
.LBB6_5660:                             ;   in Loop: Header=BB6_4748 Depth=3
	s_andn2_saveexec_b64 s[34:35], s[34:35]
; %bb.5661:                             ;   in Loop: Header=BB6_4748 Depth=3
	v_cmp_lt_i16_e32 vcc, -1, v5
	v_mov_b32_e32 v0, 0xff800000
	v_mov_b32_e32 v3, 0x7f800000
	v_cndmask_b32_e32 v0, v0, v3, vcc
	v_cmp_eq_u32_e32 vcc, 0, v27
	v_mov_b32_e32 v3, 0x7f800001
	v_cndmask_b32_e32 v0, v3, v0, vcc
; %bb.5662:                             ;   in Loop: Header=BB6_4748 Depth=3
	s_or_b64 exec, exec, s[34:35]
.LBB6_5663:                             ;   in Loop: Header=BB6_4748 Depth=3
	s_or_b64 exec, exec, s[30:31]
.LBB6_5664:                             ;   in Loop: Header=BB6_4748 Depth=3
	s_or_b64 exec, exec, s[28:29]
	v_mul_f32_e32 v26, v26, v0
	v_and_b32_e32 v30, 0x7f800000, v26
	v_mov_b32_e32 v31, v34
	v_cmp_ne_u64_e32 vcc, s[76:77], v[30:31]
	v_and_b32_e32 v3, 0x7fffff, v26
	v_mov_b32_e32 v4, v34
                                        ; implicit-def: $vgpr0
                                        ; kill: killed $vgpr0
	s_and_saveexec_b64 s[28:29], vcc
	s_xor_b64 s[30:31], exec, s[28:29]
	s_cbranch_execz .LBB6_5678
; %bb.5665:                             ;   in Loop: Header=BB6_4748 Depth=3
	v_and_b32_e32 v30, 0x7fffffff, v26
	v_mov_b32_e32 v31, v34
	v_cmp_gt_u64_e32 vcc, s[78:79], v[30:31]
	v_and_b32_sdwa v0, v26, s44 dst_sel:DWORD dst_unused:UNUSED_PAD src0_sel:BYTE_3 src1_sel:DWORD
                                        ; implicit-def: $vgpr27
                                        ; kill: killed $vgpr27
	s_and_saveexec_b64 s[28:29], vcc
	s_xor_b64 s[34:35], exec, s[28:29]
	s_cbranch_execz .LBB6_5675
; %bb.5666:                             ;   in Loop: Header=BB6_4748 Depth=3
	v_mov_b32_e32 v27, 0
	v_cmp_ne_u32_e32 vcc, 0, v26
	buffer_store_dword v27, off, s[0:3], s33 offset:384 ; 4-byte Folded Spill
	s_and_saveexec_b64 s[36:37], vcc
	s_cbranch_execz .LBB6_5674
; %bb.5667:                             ;   in Loop: Header=BB6_4748 Depth=3
	v_bfe_u32 v30, v26, 23, 8
	v_cmp_gt_u32_e64 s[28:29], s45, v30
	v_sub_u32_e32 v26, 0x71, v30
	v_cmp_eq_u32_e32 vcc, 0, v30
	v_cndmask_b32_e64 v26, 0, v26, s[28:29]
	v_mov_b32_e32 v31, 0x70
	v_cndmask_b32_e32 v31, v26, v31, vcc
	v_or_b32_e32 v27, 0x800000, v3
	v_add_u32_e32 v26, 21, v31
	v_cndmask_b32_e32 v3, v27, v3, vcc
	v_lshlrev_b64 v[26:27], v26, -1
	v_add_u32_e32 v32, 20, v31
	v_bfi_b32 v26, v26, 0, v3
	v_lshlrev_b64 v[36:37], v32, 1
	v_lshrrev_b64 v[3:4], v31, v[3:4]
	v_bfi_b32 v27, v27, 0, 0
	v_cmp_eq_u64_e64 s[28:29], v[26:27], v[36:37]
	v_mov_b32_e32 v27, v4
	v_mov_b32_e32 v26, v3
	s_and_saveexec_b64 s[38:39], s[28:29]
; %bb.5668:                             ;   in Loop: Header=BB6_4748 Depth=3
	v_bfe_u32 v4, v3, 21, 1
	v_add_co_u32_e64 v4, s[28:29], v3, v4
	v_add_co_u32_e64 v26, s[28:29], -1, v4
; %bb.5669:                             ;   in Loop: Header=BB6_4748 Depth=3
	s_or_b64 exec, exec, s[38:39]
	v_add_u32_e32 v4, 0xffffff81, v30
	v_mov_b32_e32 v27, 0xffffff82
	v_cndmask_b32_e32 v4, v4, v27, vcc
	v_lshrrev_b32_e32 v27, 23, v3
	v_add3_u32 v30, v31, v4, v27
	v_add_u32_e32 v27, 14, v30
	v_and_b32_e32 v4, 0x1fffff, v26
	v_add_u32_e32 v3, v4, v3
	v_mov_b32_e32 v4, v34
	v_cmp_ne_u32_e32 vcc, 0, v27
                                        ; implicit-def: $vgpr26
	s_and_saveexec_b64 s[28:29], vcc
	s_xor_b64 s[28:29], exec, s[28:29]
; %bb.5670:                             ;   in Loop: Header=BB6_4748 Depth=3
	v_cmp_lt_u64_e32 vcc, s[88:89], v[3:4]
	v_add_u32_e32 v26, 15, v30
	v_cndmask_b32_e32 v26, v27, v26, vcc
	v_cndmask_b32_e64 v27, 0, 1, vcc
	v_lshrrev_b64 v[3:4], v27, v[3:4]
; %bb.5671:                             ;   in Loop: Header=BB6_4748 Depth=3
	s_andn2_saveexec_b64 s[28:29], s[28:29]
; %bb.5672:                             ;   in Loop: Header=BB6_4748 Depth=3
	v_bfe_u32 v26, v3, 23, 1
; %bb.5673:                             ;   in Loop: Header=BB6_4748 Depth=3
	s_or_b64 exec, exec, s[28:29]
	v_lshrrev_b64 v[3:4], 21, v[3:4]
	v_cmp_gt_i32_e32 vcc, 32, v26
	v_cndmask_b32_e32 v4, 0, v4, vcc
	v_cndmask_b32_e32 v3, 3, v3, vcc
	v_cmp_eq_u64_e64 s[28:29], 0, v[3:4]
	v_min_i32_e32 v4, 31, v26
	v_lshlrev_b32_e32 v4, 2, v4
	v_cmp_eq_u32_e32 vcc, 0, v26
	v_and_b32_e32 v4, 0xfc, v4
	v_and_or_b32 v3, v3, 3, v4
	s_and_b64 s[28:29], vcc, s[28:29]
	v_cndmask_b32_e64 v3, v3, 0, s[28:29]
	v_or_b32_e32 v0, v3, v0
	buffer_store_dword v0, off, s[0:3], s33 offset:384 ; 4-byte Folded Spill
.LBB6_5674:                             ;   in Loop: Header=BB6_4748 Depth=3
	s_or_b64 exec, exec, s[36:37]
                                        ; implicit-def: $vgpr0
.LBB6_5675:                             ;   in Loop: Header=BB6_4748 Depth=3
	s_andn2_saveexec_b64 s[28:29], s[34:35]
	s_cbranch_execz .LBB6_5677
; %bb.5676:                             ;   in Loop: Header=BB6_4748 Depth=3
	v_or_b32_e32 v0, 0x7b, v0
	buffer_store_dword v0, off, s[0:3], s33 offset:384 ; 4-byte Folded Spill
.LBB6_5677:                             ;   in Loop: Header=BB6_4748 Depth=3
	s_or_b64 exec, exec, s[28:29]
                                        ; implicit-def: $vgpr26
                                        ; implicit-def: $vgpr3_vgpr4
.LBB6_5678:                             ;   in Loop: Header=BB6_4748 Depth=3
	s_andn2_saveexec_b64 s[28:29], s[30:31]
	s_cbranch_execz .LBB6_5684
; %bb.5679:                             ;   in Loop: Header=BB6_4748 Depth=3
	v_cmp_ne_u64_e32 vcc, 0, v[3:4]
                                        ; implicit-def: $vgpr0
                                        ; kill: killed $vgpr0
	s_and_saveexec_b64 s[30:31], vcc
	s_xor_b64 vcc, exec, s[30:31]
	s_cbranch_execz .LBB6_5681
; %bb.5680:                             ;   in Loop: Header=BB6_4748 Depth=3
	v_or_b32_sdwa v0, v26, s83 dst_sel:DWORD dst_unused:UNUSED_PAD src0_sel:BYTE_3 src1_sel:DWORD
	buffer_store_dword v0, off, s[0:3], s33 offset:384 ; 4-byte Folded Spill
                                        ; implicit-def: $vgpr26
.LBB6_5681:                             ;   in Loop: Header=BB6_4748 Depth=3
	s_andn2_saveexec_b64 s[30:31], vcc
	s_cbranch_execz .LBB6_5683
; %bb.5682:                             ;   in Loop: Header=BB6_4748 Depth=3
	v_cmp_lt_i32_e32 vcc, -1, v26
	v_bfrev_b32_e32 v0, 0.5
	v_mov_b32_e32 v3, 0x7c
	v_cndmask_b32_e32 v0, v0, v3, vcc
	buffer_store_dword v0, off, s[0:3], s33 offset:384 ; 4-byte Folded Spill
.LBB6_5683:                             ;   in Loop: Header=BB6_4748 Depth=3
	s_or_b64 exec, exec, s[30:31]
.LBB6_5684:                             ;   in Loop: Header=BB6_4748 Depth=3
	s_or_b64 exec, exec, s[28:29]
	v_lshrrev_b32_e32 v0, 16, v28
	v_cmp_ne_u16_sdwa vcc, v0, v34 src0_sel:BYTE_0 src1_sel:DWORD
	v_mov_b32_e32 v3, 0
	v_mov_b32_e32 v4, 0
	s_and_saveexec_b64 s[28:29], vcc
	s_cbranch_execz .LBB6_5692
; %bb.5685:                             ;   in Loop: Header=BB6_4748 Depth=3
	v_cmp_ne_u16_sdwa vcc, v0, s44 src0_sel:BYTE_0 src1_sel:DWORD
	v_bfrev_b32_e32 v4, 1
	s_and_saveexec_b64 s[30:31], vcc
	s_cbranch_execz .LBB6_5691
; %bb.5686:                             ;   in Loop: Header=BB6_4748 Depth=3
	v_and_b32_e32 v4, 0x7c0000, v28
	v_bfe_u32 v26, v28, 16, 2
	v_cmp_ne_u32_e32 vcc, s9, v4
                                        ; implicit-def: $vgpr4
	s_and_saveexec_b64 s[34:35], vcc
	s_xor_b64 s[34:35], exec, s[34:35]
	s_cbranch_execz .LBB6_5688
; %bb.5687:                             ;   in Loop: Header=BB6_4748 Depth=3
	v_ffbh_u32_e32 v27, v26
	v_min_u32_e32 v27, 32, v27
	v_subrev_u32_e32 v30, 29, v27
	v_lshlrev_b64 v[30:31], v30, v[0:1]
	v_bfe_u32 v4, v28, 18, 5
	v_sub_u32_e32 v0, 30, v27
	v_and_b32_e32 v27, 3, v30
	v_cmp_eq_u32_e32 vcc, 0, v4
	v_cndmask_b32_e32 v0, v4, v0, vcc
	v_cndmask_b32_e32 v4, v26, v27, vcc
	v_lshlrev_b32_e32 v26, 8, v28
	v_and_b32_e32 v26, 0x80000000, v26
	v_lshl_add_u32 v0, v0, 23, v26
	v_lshl_or_b32 v0, v4, 21, v0
	v_add_u32_e32 v4, 0x38000000, v0
                                        ; implicit-def: $vgpr26
                                        ; implicit-def: $vgpr0
.LBB6_5688:                             ;   in Loop: Header=BB6_4748 Depth=3
	s_andn2_saveexec_b64 s[34:35], s[34:35]
; %bb.5689:                             ;   in Loop: Header=BB6_4748 Depth=3
	v_mov_b32_e32 v4, -1
	v_cmp_gt_i16_sdwa vcc, sext(v0), v4 src0_sel:BYTE_0 src1_sel:DWORD
	v_mov_b32_e32 v0, 0xff800000
	v_mov_b32_e32 v4, 0x7f800000
	v_cndmask_b32_e32 v0, v0, v4, vcc
	v_cmp_eq_u32_e32 vcc, 0, v26
	v_mov_b32_e32 v4, 0x7f800001
	v_cndmask_b32_e32 v4, v4, v0, vcc
; %bb.5690:                             ;   in Loop: Header=BB6_4748 Depth=3
	s_or_b64 exec, exec, s[34:35]
.LBB6_5691:                             ;   in Loop: Header=BB6_4748 Depth=3
	s_or_b64 exec, exec, s[30:31]
.LBB6_5692:                             ;   in Loop: Header=BB6_4748 Depth=3
	s_or_b64 exec, exec, s[28:29]
	v_lshrrev_b32_e32 v0, 16, v5
	v_cmp_ne_u16_sdwa vcc, v0, v34 src0_sel:BYTE_0 src1_sel:DWORD
	s_and_saveexec_b64 s[28:29], vcc
	s_cbranch_execz .LBB6_5700
; %bb.5693:                             ;   in Loop: Header=BB6_4748 Depth=3
	v_cmp_ne_u16_sdwa vcc, v0, s44 src0_sel:BYTE_0 src1_sel:DWORD
	v_bfrev_b32_e32 v3, 1
	s_and_saveexec_b64 s[30:31], vcc
	s_cbranch_execz .LBB6_5699
; %bb.5694:                             ;   in Loop: Header=BB6_4748 Depth=3
	v_and_b32_e32 v3, 0x7c0000, v5
	v_bfe_u32 v26, v5, 16, 2
	v_cmp_ne_u32_e32 vcc, s9, v3
                                        ; implicit-def: $vgpr3
	s_and_saveexec_b64 s[34:35], vcc
	s_xor_b64 s[34:35], exec, s[34:35]
	s_cbranch_execz .LBB6_5696
; %bb.5695:                             ;   in Loop: Header=BB6_4748 Depth=3
	v_ffbh_u32_e32 v27, v26
	v_min_u32_e32 v27, 32, v27
	v_subrev_u32_e32 v30, 29, v27
	v_lshlrev_b64 v[30:31], v30, v[0:1]
	v_bfe_u32 v3, v5, 18, 5
	v_sub_u32_e32 v0, 30, v27
	v_and_b32_e32 v27, 3, v30
	v_cmp_eq_u32_e32 vcc, 0, v3
	v_cndmask_b32_e32 v0, v3, v0, vcc
	v_cndmask_b32_e32 v3, v26, v27, vcc
	v_lshlrev_b32_e32 v26, 8, v5
	v_and_b32_e32 v26, 0x80000000, v26
	v_lshl_add_u32 v0, v0, 23, v26
	v_lshl_or_b32 v0, v3, 21, v0
	v_add_u32_e32 v3, 0x38000000, v0
                                        ; implicit-def: $vgpr26
                                        ; implicit-def: $vgpr0
.LBB6_5696:                             ;   in Loop: Header=BB6_4748 Depth=3
	s_andn2_saveexec_b64 s[34:35], s[34:35]
; %bb.5697:                             ;   in Loop: Header=BB6_4748 Depth=3
	v_mov_b32_e32 v3, -1
	v_cmp_gt_i16_sdwa vcc, sext(v0), v3 src0_sel:BYTE_0 src1_sel:DWORD
	v_mov_b32_e32 v0, 0xff800000
	v_mov_b32_e32 v3, 0x7f800000
	v_cndmask_b32_e32 v0, v0, v3, vcc
	v_cmp_eq_u32_e32 vcc, 0, v26
	v_mov_b32_e32 v3, 0x7f800001
	v_cndmask_b32_e32 v3, v3, v0, vcc
; %bb.5698:                             ;   in Loop: Header=BB6_4748 Depth=3
	s_or_b64 exec, exec, s[34:35]
.LBB6_5699:                             ;   in Loop: Header=BB6_4748 Depth=3
	s_or_b64 exec, exec, s[30:31]
.LBB6_5700:                             ;   in Loop: Header=BB6_4748 Depth=3
	s_or_b64 exec, exec, s[28:29]
	v_mul_f32_e32 v26, v4, v3
	v_and_b32_e32 v30, 0x7f800000, v26
	v_mov_b32_e32 v31, v34
	v_cmp_ne_u64_e32 vcc, s[76:77], v[30:31]
	v_and_b32_e32 v3, 0x7fffff, v26
	v_mov_b32_e32 v4, v34
                                        ; implicit-def: $vgpr53
	s_and_saveexec_b64 s[28:29], vcc
	s_xor_b64 s[30:31], exec, s[28:29]
	s_cbranch_execz .LBB6_5714
; %bb.5701:                             ;   in Loop: Header=BB6_4748 Depth=3
	v_and_b32_e32 v30, 0x7fffffff, v26
	v_mov_b32_e32 v31, v34
	v_cmp_gt_u64_e32 vcc, s[78:79], v[30:31]
	v_and_b32_sdwa v0, v26, s44 dst_sel:DWORD dst_unused:UNUSED_PAD src0_sel:BYTE_3 src1_sel:DWORD
                                        ; implicit-def: $vgpr53
	s_and_saveexec_b64 s[28:29], vcc
	s_xor_b64 s[34:35], exec, s[28:29]
	s_cbranch_execz .LBB6_5711
; %bb.5702:                             ;   in Loop: Header=BB6_4748 Depth=3
	v_mov_b32_e32 v53, 0
	v_cmp_ne_u32_e32 vcc, 0, v26
	s_and_saveexec_b64 s[36:37], vcc
	s_cbranch_execz .LBB6_5710
; %bb.5703:                             ;   in Loop: Header=BB6_4748 Depth=3
	v_bfe_u32 v30, v26, 23, 8
	v_cmp_gt_u32_e64 s[28:29], s45, v30
	v_sub_u32_e32 v26, 0x71, v30
	v_cmp_eq_u32_e32 vcc, 0, v30
	v_cndmask_b32_e64 v26, 0, v26, s[28:29]
	v_mov_b32_e32 v31, 0x70
	v_cndmask_b32_e32 v31, v26, v31, vcc
	v_or_b32_e32 v27, 0x800000, v3
	v_add_u32_e32 v26, 21, v31
	v_cndmask_b32_e32 v3, v27, v3, vcc
	v_lshlrev_b64 v[26:27], v26, -1
	v_add_u32_e32 v32, 20, v31
	v_bfi_b32 v26, v26, 0, v3
	v_lshlrev_b64 v[36:37], v32, 1
	v_lshrrev_b64 v[3:4], v31, v[3:4]
	v_bfi_b32 v27, v27, 0, 0
	v_cmp_eq_u64_e64 s[28:29], v[26:27], v[36:37]
	v_mov_b32_e32 v27, v4
	v_mov_b32_e32 v26, v3
	s_and_saveexec_b64 s[38:39], s[28:29]
; %bb.5704:                             ;   in Loop: Header=BB6_4748 Depth=3
	v_bfe_u32 v4, v3, 21, 1
	v_add_co_u32_e64 v4, s[28:29], v3, v4
	v_add_co_u32_e64 v26, s[28:29], -1, v4
; %bb.5705:                             ;   in Loop: Header=BB6_4748 Depth=3
	s_or_b64 exec, exec, s[38:39]
	v_add_u32_e32 v4, 0xffffff81, v30
	v_mov_b32_e32 v27, 0xffffff82
	v_cndmask_b32_e32 v4, v4, v27, vcc
	v_lshrrev_b32_e32 v27, 23, v3
	v_add3_u32 v30, v31, v4, v27
	v_add_u32_e32 v27, 14, v30
	v_and_b32_e32 v4, 0x1fffff, v26
	v_add_u32_e32 v3, v4, v3
	v_mov_b32_e32 v4, v34
	v_cmp_ne_u32_e32 vcc, 0, v27
                                        ; implicit-def: $vgpr26
	s_and_saveexec_b64 s[28:29], vcc
	s_xor_b64 s[28:29], exec, s[28:29]
; %bb.5706:                             ;   in Loop: Header=BB6_4748 Depth=3
	v_cmp_lt_u64_e32 vcc, s[88:89], v[3:4]
	v_add_u32_e32 v26, 15, v30
	v_cndmask_b32_e32 v26, v27, v26, vcc
	v_cndmask_b32_e64 v27, 0, 1, vcc
	v_lshrrev_b64 v[3:4], v27, v[3:4]
; %bb.5707:                             ;   in Loop: Header=BB6_4748 Depth=3
	s_andn2_saveexec_b64 s[28:29], s[28:29]
; %bb.5708:                             ;   in Loop: Header=BB6_4748 Depth=3
	v_bfe_u32 v26, v3, 23, 1
; %bb.5709:                             ;   in Loop: Header=BB6_4748 Depth=3
	s_or_b64 exec, exec, s[28:29]
	v_lshrrev_b64 v[3:4], 21, v[3:4]
	v_cmp_gt_i32_e32 vcc, 32, v26
	v_cndmask_b32_e32 v4, 0, v4, vcc
	v_cndmask_b32_e32 v3, 3, v3, vcc
	v_cmp_eq_u64_e64 s[28:29], 0, v[3:4]
	v_min_i32_e32 v4, 31, v26
	v_lshlrev_b32_e32 v4, 2, v4
	v_cmp_eq_u32_e32 vcc, 0, v26
	v_and_b32_e32 v4, 0xfc, v4
	v_and_or_b32 v3, v3, 3, v4
	s_and_b64 s[28:29], vcc, s[28:29]
	v_cndmask_b32_e64 v3, v3, 0, s[28:29]
	v_or_b32_e32 v53, v3, v0
.LBB6_5710:                             ;   in Loop: Header=BB6_4748 Depth=3
	s_or_b64 exec, exec, s[36:37]
                                        ; implicit-def: $vgpr0
.LBB6_5711:                             ;   in Loop: Header=BB6_4748 Depth=3
	s_andn2_saveexec_b64 s[28:29], s[34:35]
; %bb.5712:                             ;   in Loop: Header=BB6_4748 Depth=3
	v_or_b32_e32 v53, 0x7b, v0
; %bb.5713:                             ;   in Loop: Header=BB6_4748 Depth=3
	s_or_b64 exec, exec, s[28:29]
                                        ; implicit-def: $vgpr26
                                        ; implicit-def: $vgpr3_vgpr4
.LBB6_5714:                             ;   in Loop: Header=BB6_4748 Depth=3
	s_andn2_saveexec_b64 s[28:29], s[30:31]
	s_cbranch_execz .LBB6_5720
; %bb.5715:                             ;   in Loop: Header=BB6_4748 Depth=3
	v_cmp_ne_u64_e32 vcc, 0, v[3:4]
                                        ; implicit-def: $vgpr53
	s_and_saveexec_b64 s[30:31], vcc
	s_xor_b64 vcc, exec, s[30:31]
; %bb.5716:                             ;   in Loop: Header=BB6_4748 Depth=3
	v_or_b32_sdwa v53, v26, s83 dst_sel:DWORD dst_unused:UNUSED_PAD src0_sel:BYTE_3 src1_sel:DWORD
                                        ; implicit-def: $vgpr26
; %bb.5717:                             ;   in Loop: Header=BB6_4748 Depth=3
	s_andn2_saveexec_b64 s[30:31], vcc
; %bb.5718:                             ;   in Loop: Header=BB6_4748 Depth=3
	v_cmp_lt_i32_e32 vcc, -1, v26
	v_bfrev_b32_e32 v0, 0.5
	v_mov_b32_e32 v3, 0x7c
	v_cndmask_b32_e32 v53, v0, v3, vcc
; %bb.5719:                             ;   in Loop: Header=BB6_4748 Depth=3
	s_or_b64 exec, exec, s[30:31]
.LBB6_5720:                             ;   in Loop: Header=BB6_4748 Depth=3
	s_or_b64 exec, exec, s[28:29]
	v_cmp_lt_u32_e32 vcc, s57, v28
	v_mov_b32_e32 v3, 0
	v_mov_b32_e32 v4, 0
	s_and_saveexec_b64 s[28:29], vcc
	s_cbranch_execz .LBB6_5728
; %bb.5721:                             ;   in Loop: Header=BB6_4748 Depth=3
	v_lshrrev_b32_e32 v0, 24, v28
	v_cmp_ne_u32_e32 vcc, s44, v0
	v_bfrev_b32_e32 v4, 1
	s_and_saveexec_b64 s[30:31], vcc
	s_cbranch_execz .LBB6_5727
; %bb.5722:                             ;   in Loop: Header=BB6_4748 Depth=3
	v_and_b32_e32 v4, 0x7c000000, v28
	v_bfe_u32 v26, v28, 24, 2
	v_cmp_ne_u32_e32 vcc, s8, v4
                                        ; implicit-def: $vgpr4
	s_and_saveexec_b64 s[34:35], vcc
	s_xor_b64 s[34:35], exec, s[34:35]
	s_cbranch_execz .LBB6_5724
; %bb.5723:                             ;   in Loop: Header=BB6_4748 Depth=3
	v_ffbh_u32_e32 v27, v26
	v_min_u32_e32 v27, 32, v27
	v_subrev_u32_e32 v30, 29, v27
	v_lshlrev_b64 v[30:31], v30, v[0:1]
	v_bfe_u32 v4, v28, 26, 5
	v_sub_u32_e32 v0, 30, v27
	v_and_b32_e32 v27, 3, v30
	v_cmp_eq_u32_e32 vcc, 0, v4
	v_cndmask_b32_e32 v0, v4, v0, vcc
	v_cndmask_b32_e32 v4, v26, v27, vcc
	v_and_b32_e32 v26, 0x80000000, v28
	v_lshl_add_u32 v0, v0, 23, v26
	v_lshl_or_b32 v0, v4, 21, v0
	v_add_u32_e32 v4, 0x38000000, v0
                                        ; implicit-def: $vgpr26
.LBB6_5724:                             ;   in Loop: Header=BB6_4748 Depth=3
	s_andn2_saveexec_b64 s[34:35], s[34:35]
; %bb.5725:                             ;   in Loop: Header=BB6_4748 Depth=3
	v_cmp_lt_i32_e32 vcc, -1, v28
	v_mov_b32_e32 v0, 0xff800000
	v_mov_b32_e32 v4, 0x7f800000
	v_cndmask_b32_e32 v0, v0, v4, vcc
	v_cmp_eq_u32_e32 vcc, 0, v26
	v_mov_b32_e32 v4, 0x7f800001
	v_cndmask_b32_e32 v4, v4, v0, vcc
; %bb.5726:                             ;   in Loop: Header=BB6_4748 Depth=3
	s_or_b64 exec, exec, s[34:35]
.LBB6_5727:                             ;   in Loop: Header=BB6_4748 Depth=3
	s_or_b64 exec, exec, s[30:31]
.LBB6_5728:                             ;   in Loop: Header=BB6_4748 Depth=3
	s_or_b64 exec, exec, s[28:29]
	v_cmp_lt_u32_e32 vcc, s57, v5
	s_and_saveexec_b64 s[28:29], vcc
	s_cbranch_execz .LBB6_5736
; %bb.5729:                             ;   in Loop: Header=BB6_4748 Depth=3
	v_lshrrev_b32_e32 v0, 24, v5
	v_cmp_ne_u32_e32 vcc, s44, v0
	v_bfrev_b32_e32 v3, 1
	s_and_saveexec_b64 s[30:31], vcc
	s_cbranch_execz .LBB6_5735
; %bb.5730:                             ;   in Loop: Header=BB6_4748 Depth=3
	v_and_b32_e32 v3, 0x7c000000, v5
	v_bfe_u32 v26, v5, 24, 2
	v_cmp_ne_u32_e32 vcc, s8, v3
                                        ; implicit-def: $vgpr3
	s_and_saveexec_b64 s[34:35], vcc
	s_xor_b64 s[34:35], exec, s[34:35]
	s_cbranch_execz .LBB6_5732
; %bb.5731:                             ;   in Loop: Header=BB6_4748 Depth=3
	v_ffbh_u32_e32 v27, v26
	v_min_u32_e32 v27, 32, v27
	v_subrev_u32_e32 v30, 29, v27
	v_lshlrev_b64 v[30:31], v30, v[0:1]
	v_bfe_u32 v3, v5, 26, 5
	v_sub_u32_e32 v0, 30, v27
	v_and_b32_e32 v27, 3, v30
	v_cmp_eq_u32_e32 vcc, 0, v3
	v_cndmask_b32_e32 v0, v3, v0, vcc
	v_cndmask_b32_e32 v3, v26, v27, vcc
	v_and_b32_e32 v26, 0x80000000, v5
	v_lshl_add_u32 v0, v0, 23, v26
	v_lshl_or_b32 v0, v3, 21, v0
	v_add_u32_e32 v3, 0x38000000, v0
                                        ; implicit-def: $vgpr26
.LBB6_5732:                             ;   in Loop: Header=BB6_4748 Depth=3
	s_andn2_saveexec_b64 s[34:35], s[34:35]
; %bb.5733:                             ;   in Loop: Header=BB6_4748 Depth=3
	v_cmp_lt_i32_e32 vcc, -1, v5
	v_mov_b32_e32 v0, 0xff800000
	v_mov_b32_e32 v3, 0x7f800000
	v_cndmask_b32_e32 v0, v0, v3, vcc
	v_cmp_eq_u32_e32 vcc, 0, v26
	v_mov_b32_e32 v3, 0x7f800001
	v_cndmask_b32_e32 v3, v3, v0, vcc
; %bb.5734:                             ;   in Loop: Header=BB6_4748 Depth=3
	s_or_b64 exec, exec, s[34:35]
.LBB6_5735:                             ;   in Loop: Header=BB6_4748 Depth=3
	s_or_b64 exec, exec, s[30:31]
.LBB6_5736:                             ;   in Loop: Header=BB6_4748 Depth=3
	s_or_b64 exec, exec, s[28:29]
	v_mul_f32_e32 v26, v4, v3
	v_and_b32_e32 v30, 0x7f800000, v26
	v_mov_b32_e32 v31, v34
	v_cmp_ne_u64_e32 vcc, s[76:77], v[30:31]
	v_and_b32_e32 v3, 0x7fffff, v26
	v_mov_b32_e32 v4, v34
                                        ; implicit-def: $vgpr54
	s_and_saveexec_b64 s[28:29], vcc
	s_xor_b64 s[30:31], exec, s[28:29]
	s_cbranch_execz .LBB6_5750
; %bb.5737:                             ;   in Loop: Header=BB6_4748 Depth=3
	v_and_b32_e32 v30, 0x7fffffff, v26
	v_mov_b32_e32 v31, v34
	v_cmp_gt_u64_e32 vcc, s[78:79], v[30:31]
	v_and_b32_sdwa v0, v26, s44 dst_sel:DWORD dst_unused:UNUSED_PAD src0_sel:BYTE_3 src1_sel:DWORD
                                        ; implicit-def: $vgpr54
	s_and_saveexec_b64 s[28:29], vcc
	s_xor_b64 s[34:35], exec, s[28:29]
	s_cbranch_execz .LBB6_5747
; %bb.5738:                             ;   in Loop: Header=BB6_4748 Depth=3
	v_mov_b32_e32 v54, 0
	v_cmp_ne_u32_e32 vcc, 0, v26
	s_and_saveexec_b64 s[36:37], vcc
	s_cbranch_execz .LBB6_5746
; %bb.5739:                             ;   in Loop: Header=BB6_4748 Depth=3
	v_bfe_u32 v30, v26, 23, 8
	v_cmp_gt_u32_e64 s[28:29], s45, v30
	v_sub_u32_e32 v26, 0x71, v30
	v_cmp_eq_u32_e32 vcc, 0, v30
	v_cndmask_b32_e64 v26, 0, v26, s[28:29]
	v_mov_b32_e32 v31, 0x70
	v_cndmask_b32_e32 v31, v26, v31, vcc
	v_or_b32_e32 v27, 0x800000, v3
	v_add_u32_e32 v26, 21, v31
	v_cndmask_b32_e32 v3, v27, v3, vcc
	v_lshlrev_b64 v[26:27], v26, -1
	v_add_u32_e32 v32, 20, v31
	v_bfi_b32 v26, v26, 0, v3
	v_lshlrev_b64 v[36:37], v32, 1
	v_lshrrev_b64 v[3:4], v31, v[3:4]
	v_bfi_b32 v27, v27, 0, 0
	v_cmp_eq_u64_e64 s[28:29], v[26:27], v[36:37]
	v_mov_b32_e32 v27, v4
	v_mov_b32_e32 v26, v3
	s_and_saveexec_b64 s[38:39], s[28:29]
; %bb.5740:                             ;   in Loop: Header=BB6_4748 Depth=3
	v_bfe_u32 v4, v3, 21, 1
	v_add_co_u32_e64 v4, s[28:29], v3, v4
	v_add_co_u32_e64 v26, s[28:29], -1, v4
; %bb.5741:                             ;   in Loop: Header=BB6_4748 Depth=3
	s_or_b64 exec, exec, s[38:39]
	v_add_u32_e32 v4, 0xffffff81, v30
	v_mov_b32_e32 v27, 0xffffff82
	v_cndmask_b32_e32 v4, v4, v27, vcc
	v_lshrrev_b32_e32 v27, 23, v3
	v_add3_u32 v30, v31, v4, v27
	v_add_u32_e32 v27, 14, v30
	v_and_b32_e32 v4, 0x1fffff, v26
	v_add_u32_e32 v3, v4, v3
	v_mov_b32_e32 v4, v34
	v_cmp_ne_u32_e32 vcc, 0, v27
                                        ; implicit-def: $vgpr26
	s_and_saveexec_b64 s[28:29], vcc
	s_xor_b64 s[28:29], exec, s[28:29]
; %bb.5742:                             ;   in Loop: Header=BB6_4748 Depth=3
	v_cmp_lt_u64_e32 vcc, s[88:89], v[3:4]
	v_add_u32_e32 v26, 15, v30
	v_cndmask_b32_e32 v26, v27, v26, vcc
	v_cndmask_b32_e64 v27, 0, 1, vcc
	v_lshrrev_b64 v[3:4], v27, v[3:4]
; %bb.5743:                             ;   in Loop: Header=BB6_4748 Depth=3
	s_andn2_saveexec_b64 s[28:29], s[28:29]
; %bb.5744:                             ;   in Loop: Header=BB6_4748 Depth=3
	v_bfe_u32 v26, v3, 23, 1
; %bb.5745:                             ;   in Loop: Header=BB6_4748 Depth=3
	s_or_b64 exec, exec, s[28:29]
	v_lshrrev_b64 v[3:4], 21, v[3:4]
	v_cmp_gt_i32_e32 vcc, 32, v26
	v_cndmask_b32_e32 v4, 0, v4, vcc
	v_cndmask_b32_e32 v3, 3, v3, vcc
	v_cmp_eq_u64_e64 s[28:29], 0, v[3:4]
	v_min_i32_e32 v4, 31, v26
	v_lshlrev_b32_e32 v4, 2, v4
	v_cmp_eq_u32_e32 vcc, 0, v26
	v_and_b32_e32 v4, 0xfc, v4
	v_and_or_b32 v3, v3, 3, v4
	s_and_b64 s[28:29], vcc, s[28:29]
	v_cndmask_b32_e64 v3, v3, 0, s[28:29]
	v_or_b32_e32 v54, v3, v0
.LBB6_5746:                             ;   in Loop: Header=BB6_4748 Depth=3
	s_or_b64 exec, exec, s[36:37]
                                        ; implicit-def: $vgpr0
.LBB6_5747:                             ;   in Loop: Header=BB6_4748 Depth=3
	s_andn2_saveexec_b64 s[28:29], s[34:35]
; %bb.5748:                             ;   in Loop: Header=BB6_4748 Depth=3
	v_or_b32_e32 v54, 0x7b, v0
; %bb.5749:                             ;   in Loop: Header=BB6_4748 Depth=3
	s_or_b64 exec, exec, s[28:29]
                                        ; implicit-def: $vgpr26
                                        ; implicit-def: $vgpr3_vgpr4
.LBB6_5750:                             ;   in Loop: Header=BB6_4748 Depth=3
	s_andn2_saveexec_b64 s[28:29], s[30:31]
	s_cbranch_execz .LBB6_5756
; %bb.5751:                             ;   in Loop: Header=BB6_4748 Depth=3
	v_cmp_ne_u64_e32 vcc, 0, v[3:4]
                                        ; implicit-def: $vgpr54
	s_and_saveexec_b64 s[30:31], vcc
	s_xor_b64 vcc, exec, s[30:31]
; %bb.5752:                             ;   in Loop: Header=BB6_4748 Depth=3
	v_or_b32_sdwa v54, v26, s83 dst_sel:DWORD dst_unused:UNUSED_PAD src0_sel:BYTE_3 src1_sel:DWORD
                                        ; implicit-def: $vgpr26
; %bb.5753:                             ;   in Loop: Header=BB6_4748 Depth=3
	s_andn2_saveexec_b64 s[30:31], vcc
; %bb.5754:                             ;   in Loop: Header=BB6_4748 Depth=3
	v_cmp_lt_i32_e32 vcc, -1, v26
	v_bfrev_b32_e32 v0, 0.5
	v_mov_b32_e32 v3, 0x7c
	v_cndmask_b32_e32 v54, v0, v3, vcc
; %bb.5755:                             ;   in Loop: Header=BB6_4748 Depth=3
	s_or_b64 exec, exec, s[30:31]
.LBB6_5756:                             ;   in Loop: Header=BB6_4748 Depth=3
	s_or_b64 exec, exec, s[28:29]
	v_mov_b32_e32 v3, v29
	v_mov_b32_e32 v4, v34
	v_cmp_ne_u16_sdwa vcc, v29, v34 src0_sel:BYTE_0 src1_sel:DWORD
	v_mov_b32_e32 v26, 0
	v_mov_b32_e32 v0, 0
	s_and_saveexec_b64 s[28:29], vcc
	s_cbranch_execz .LBB6_5764
; %bb.5757:                             ;   in Loop: Header=BB6_4748 Depth=3
	v_cmp_ne_u16_sdwa vcc, v29, s44 src0_sel:BYTE_0 src1_sel:DWORD
	v_bfrev_b32_e32 v0, 1
	s_and_saveexec_b64 s[30:31], vcc
	s_cbranch_execz .LBB6_5763
; %bb.5758:                             ;   in Loop: Header=BB6_4748 Depth=3
	v_and_b32_e32 v0, 0x7c, v29
	v_and_b32_e32 v27, 3, v29
	v_cmp_ne_u32_e32 vcc, s81, v0
                                        ; implicit-def: $vgpr0
	s_and_saveexec_b64 s[34:35], vcc
	s_xor_b64 s[34:35], exec, s[34:35]
	s_cbranch_execz .LBB6_5760
; %bb.5759:                             ;   in Loop: Header=BB6_4748 Depth=3
	v_ffbh_u32_e32 v30, v27
	v_min_u32_e32 v32, 32, v30
	v_subrev_u32_e32 v30, 29, v32
	v_lshlrev_b64 v[30:31], v30, v[3:4]
	v_bfe_u32 v0, v29, 2, 5
	v_sub_u32_e32 v4, 30, v32
	v_and_b32_e32 v30, 3, v30
	v_cmp_eq_u32_e32 vcc, 0, v0
	v_cndmask_b32_e32 v0, v0, v4, vcc
	v_cndmask_b32_e32 v4, v27, v30, vcc
	v_lshlrev_b32_e32 v27, 24, v29
	v_and_b32_e32 v27, 0x80000000, v27
	v_lshl_add_u32 v0, v0, 23, v27
	v_lshl_or_b32 v0, v4, 21, v0
	v_add_u32_e32 v0, 0x38000000, v0
                                        ; implicit-def: $vgpr27
.LBB6_5760:                             ;   in Loop: Header=BB6_4748 Depth=3
	s_andn2_saveexec_b64 s[34:35], s[34:35]
; %bb.5761:                             ;   in Loop: Header=BB6_4748 Depth=3
	v_mov_b32_e32 v0, -1
	v_cmp_gt_i16_sdwa vcc, sext(v29), v0 src0_sel:BYTE_0 src1_sel:DWORD
	v_mov_b32_e32 v0, 0xff800000
	v_mov_b32_e32 v4, 0x7f800000
	v_cndmask_b32_e32 v0, v0, v4, vcc
	v_cmp_eq_u32_e32 vcc, 0, v27
	v_mov_b32_e32 v4, 0x7f800001
	v_cndmask_b32_e32 v0, v4, v0, vcc
; %bb.5762:                             ;   in Loop: Header=BB6_4748 Depth=3
	s_or_b64 exec, exec, s[34:35]
.LBB6_5763:                             ;   in Loop: Header=BB6_4748 Depth=3
	s_or_b64 exec, exec, s[30:31]
.LBB6_5764:                             ;   in Loop: Header=BB6_4748 Depth=3
	s_or_b64 exec, exec, s[28:29]
	v_cmp_ne_u16_sdwa vcc, v6, v34 src0_sel:BYTE_0 src1_sel:DWORD
	s_and_saveexec_b64 s[28:29], vcc
	s_cbranch_execz .LBB6_5772
; %bb.5765:                             ;   in Loop: Header=BB6_4748 Depth=3
	v_cmp_ne_u16_sdwa vcc, v6, s44 src0_sel:BYTE_0 src1_sel:DWORD
	v_bfrev_b32_e32 v26, 1
	s_and_saveexec_b64 s[30:31], vcc
	s_cbranch_execz .LBB6_5771
; %bb.5766:                             ;   in Loop: Header=BB6_4748 Depth=3
	v_and_b32_e32 v26, 0x7c, v6
	v_and_b32_e32 v4, 3, v6
	v_cmp_ne_u32_e32 vcc, s81, v26
                                        ; implicit-def: $vgpr26
	s_and_saveexec_b64 s[34:35], vcc
	s_xor_b64 s[34:35], exec, s[34:35]
	s_cbranch_execz .LBB6_5768
; %bb.5767:                             ;   in Loop: Header=BB6_4748 Depth=3
	v_ffbh_u32_e32 v31, v4
	v_min_u32_e32 v31, 32, v31
	v_mov_b32_e32 v26, v6
	v_mov_b32_e32 v27, v34
	v_subrev_u32_e32 v32, 29, v31
	v_lshlrev_b64 v[26:27], v32, v[26:27]
	v_bfe_u32 v30, v6, 2, 5
	v_and_b32_e32 v26, 3, v26
	v_cmp_eq_u32_e32 vcc, 0, v30
	v_sub_u32_e32 v27, 30, v31
	v_cndmask_b32_e32 v4, v4, v26, vcc
	v_lshlrev_b32_e32 v26, 24, v6
	v_cndmask_b32_e32 v27, v30, v27, vcc
	v_and_b32_e32 v26, 0x80000000, v26
	v_lshl_add_u32 v26, v27, 23, v26
	v_lshl_or_b32 v4, v4, 21, v26
	v_add_u32_e32 v26, 0x38000000, v4
                                        ; implicit-def: $vgpr4
.LBB6_5768:                             ;   in Loop: Header=BB6_4748 Depth=3
	s_andn2_saveexec_b64 s[34:35], s[34:35]
; %bb.5769:                             ;   in Loop: Header=BB6_4748 Depth=3
	v_mov_b32_e32 v26, -1
	v_cmp_gt_i16_sdwa vcc, sext(v6), v26 src0_sel:BYTE_0 src1_sel:DWORD
	v_mov_b32_e32 v26, 0xff800000
	v_mov_b32_e32 v27, 0x7f800000
	v_cndmask_b32_e32 v26, v26, v27, vcc
	v_cmp_eq_u32_e32 vcc, 0, v4
	v_mov_b32_e32 v4, 0x7f800001
	v_cndmask_b32_e32 v26, v4, v26, vcc
; %bb.5770:                             ;   in Loop: Header=BB6_4748 Depth=3
	s_or_b64 exec, exec, s[34:35]
.LBB6_5771:                             ;   in Loop: Header=BB6_4748 Depth=3
	s_or_b64 exec, exec, s[30:31]
.LBB6_5772:                             ;   in Loop: Header=BB6_4748 Depth=3
	s_or_b64 exec, exec, s[28:29]
	v_mul_f32_e32 v4, v0, v26
	v_and_b32_e32 v30, 0x7f800000, v4
	v_mov_b32_e32 v31, v34
	v_cmp_ne_u64_e32 vcc, s[76:77], v[30:31]
	v_and_b32_e32 v26, 0x7fffff, v4
	v_mov_b32_e32 v27, v34
                                        ; implicit-def: $vgpr30
	s_and_saveexec_b64 s[28:29], vcc
	s_xor_b64 s[30:31], exec, s[28:29]
	s_cbranch_execz .LBB6_5786
; %bb.5773:                             ;   in Loop: Header=BB6_4748 Depth=3
	v_and_b32_e32 v30, 0x7fffffff, v4
	v_mov_b32_e32 v31, v34
	v_cmp_gt_u64_e32 vcc, s[78:79], v[30:31]
	v_and_b32_sdwa v0, v4, s44 dst_sel:DWORD dst_unused:UNUSED_PAD src0_sel:BYTE_3 src1_sel:DWORD
                                        ; implicit-def: $vgpr30
	s_and_saveexec_b64 s[28:29], vcc
	s_xor_b64 s[34:35], exec, s[28:29]
	s_cbranch_execz .LBB6_5783
; %bb.5774:                             ;   in Loop: Header=BB6_4748 Depth=3
	v_mov_b32_e32 v30, 0
	v_cmp_ne_u32_e32 vcc, 0, v4
	s_and_saveexec_b64 s[36:37], vcc
	s_cbranch_execz .LBB6_5782
; %bb.5775:                             ;   in Loop: Header=BB6_4748 Depth=3
	v_bfe_u32 v4, v4, 23, 8
	v_cmp_gt_u32_e64 s[28:29], s45, v4
	v_sub_u32_e32 v30, 0x71, v4
	v_cmp_eq_u32_e32 vcc, 0, v4
	v_cndmask_b32_e64 v30, 0, v30, s[28:29]
	v_mov_b32_e32 v32, 0x70
	v_cndmask_b32_e32 v36, v30, v32, vcc
	v_or_b32_e32 v31, 0x800000, v26
	v_add_u32_e32 v30, 21, v36
	v_cndmask_b32_e32 v26, v31, v26, vcc
	v_lshlrev_b64 v[30:31], v30, -1
	v_add_u32_e32 v32, 20, v36
	v_bfi_b32 v30, v30, 0, v26
	v_lshlrev_b64 v[37:38], v32, 1
	v_lshrrev_b64 v[26:27], v36, v[26:27]
	v_bfi_b32 v31, v31, 0, 0
	v_cmp_eq_u64_e64 s[28:29], v[30:31], v[37:38]
	v_mov_b32_e32 v31, v27
	v_mov_b32_e32 v30, v26
	s_and_saveexec_b64 s[38:39], s[28:29]
; %bb.5776:                             ;   in Loop: Header=BB6_4748 Depth=3
	v_bfe_u32 v27, v26, 21, 1
	v_add_co_u32_e64 v27, s[28:29], v26, v27
	v_add_co_u32_e64 v30, s[28:29], -1, v27
; %bb.5777:                             ;   in Loop: Header=BB6_4748 Depth=3
	s_or_b64 exec, exec, s[38:39]
	v_add_u32_e32 v4, 0xffffff81, v4
	v_mov_b32_e32 v27, 0xffffff82
	v_cndmask_b32_e32 v4, v4, v27, vcc
	v_lshrrev_b32_e32 v27, 23, v26
	v_add3_u32 v36, v36, v4, v27
	v_add_u32_e32 v31, 14, v36
	v_and_b32_e32 v4, 0x1fffff, v30
	v_add_u32_e32 v26, v4, v26
	v_mov_b32_e32 v27, v34
	v_cmp_ne_u32_e32 vcc, 0, v31
                                        ; implicit-def: $vgpr4
	s_and_saveexec_b64 s[28:29], vcc
	s_xor_b64 s[28:29], exec, s[28:29]
; %bb.5778:                             ;   in Loop: Header=BB6_4748 Depth=3
	v_cmp_lt_u64_e32 vcc, s[88:89], v[26:27]
	v_add_u32_e32 v4, 15, v36
	v_cndmask_b32_e64 v30, 0, 1, vcc
	v_lshrrev_b64 v[26:27], v30, v[26:27]
	v_cndmask_b32_e32 v4, v31, v4, vcc
; %bb.5779:                             ;   in Loop: Header=BB6_4748 Depth=3
	s_andn2_saveexec_b64 s[28:29], s[28:29]
; %bb.5780:                             ;   in Loop: Header=BB6_4748 Depth=3
	v_bfe_u32 v4, v26, 23, 1
; %bb.5781:                             ;   in Loop: Header=BB6_4748 Depth=3
	s_or_b64 exec, exec, s[28:29]
	v_lshrrev_b64 v[26:27], 21, v[26:27]
	v_cmp_gt_i32_e32 vcc, 32, v4
	v_cndmask_b32_e32 v27, 0, v27, vcc
	v_cndmask_b32_e32 v26, 3, v26, vcc
	v_cmp_eq_u32_e32 vcc, 0, v4
	v_min_i32_e32 v4, 31, v4
	v_cmp_eq_u64_e64 s[28:29], 0, v[26:27]
	v_lshlrev_b32_e32 v4, 2, v4
	v_and_b32_e32 v4, 0xfc, v4
	v_and_or_b32 v4, v26, 3, v4
	s_and_b64 s[28:29], vcc, s[28:29]
	v_cndmask_b32_e64 v4, v4, 0, s[28:29]
	v_or_b32_e32 v30, v4, v0
.LBB6_5782:                             ;   in Loop: Header=BB6_4748 Depth=3
	s_or_b64 exec, exec, s[36:37]
                                        ; implicit-def: $vgpr0
.LBB6_5783:                             ;   in Loop: Header=BB6_4748 Depth=3
	s_andn2_saveexec_b64 s[28:29], s[34:35]
; %bb.5784:                             ;   in Loop: Header=BB6_4748 Depth=3
	v_or_b32_e32 v30, 0x7b, v0
; %bb.5785:                             ;   in Loop: Header=BB6_4748 Depth=3
	s_or_b64 exec, exec, s[28:29]
                                        ; implicit-def: $vgpr4
                                        ; implicit-def: $vgpr26_vgpr27
.LBB6_5786:                             ;   in Loop: Header=BB6_4748 Depth=3
	s_andn2_saveexec_b64 s[28:29], s[30:31]
	s_cbranch_execz .LBB6_5792
; %bb.5787:                             ;   in Loop: Header=BB6_4748 Depth=3
	v_cmp_ne_u64_e32 vcc, 0, v[26:27]
                                        ; implicit-def: $vgpr30
	s_and_saveexec_b64 s[30:31], vcc
	s_xor_b64 vcc, exec, s[30:31]
; %bb.5788:                             ;   in Loop: Header=BB6_4748 Depth=3
	v_or_b32_sdwa v30, v4, s83 dst_sel:DWORD dst_unused:UNUSED_PAD src0_sel:BYTE_3 src1_sel:DWORD
                                        ; implicit-def: $vgpr4
; %bb.5789:                             ;   in Loop: Header=BB6_4748 Depth=3
	s_andn2_saveexec_b64 s[30:31], vcc
; %bb.5790:                             ;   in Loop: Header=BB6_4748 Depth=3
	v_cmp_lt_i32_e32 vcc, -1, v4
	v_bfrev_b32_e32 v0, 0.5
	v_mov_b32_e32 v4, 0x7c
	v_cndmask_b32_e32 v30, v0, v4, vcc
; %bb.5791:                             ;   in Loop: Header=BB6_4748 Depth=3
	s_or_b64 exec, exec, s[30:31]
.LBB6_5792:                             ;   in Loop: Header=BB6_4748 Depth=3
	s_or_b64 exec, exec, s[28:29]
	v_lshrrev_b16_e32 v26, 8, v3
	v_cmp_ne_u16_e32 vcc, 0, v26
	v_mov_b32_e32 v0, 0
	v_mov_b32_e32 v27, 0
	s_and_saveexec_b64 s[28:29], vcc
	s_cbranch_execz .LBB6_5800
; %bb.5793:                             ;   in Loop: Header=BB6_4748 Depth=3
	v_cmp_ne_u16_e32 vcc, s44, v26
	v_bfrev_b32_e32 v27, 1
	s_and_saveexec_b64 s[30:31], vcc
	s_cbranch_execz .LBB6_5799
; %bb.5794:                             ;   in Loop: Header=BB6_4748 Depth=3
	v_and_b32_e32 v4, 0x7c, v26
	v_and_b32_e32 v31, 3, v26
	v_cmp_ne_u32_e32 vcc, s81, v4
                                        ; implicit-def: $vgpr27
	s_and_saveexec_b64 s[34:35], vcc
	s_xor_b64 s[34:35], exec, s[34:35]
	s_cbranch_execz .LBB6_5796
; %bb.5795:                             ;   in Loop: Header=BB6_4748 Depth=3
	v_ffbh_u32_e32 v32, v31
	v_min_u32_e32 v32, 32, v32
	v_mov_b32_e32 v27, v34
	v_subrev_u32_e32 v33, 29, v32
	v_bfe_u32 v4, v26, 2, 5
	v_lshlrev_b64 v[26:27], v33, v[26:27]
	v_sub_u32_e32 v27, 30, v32
	v_cmp_eq_u32_e32 vcc, 0, v4
	v_lshlrev_b32_e32 v3, 16, v3
	v_and_b32_e32 v26, 3, v26
	v_cndmask_b32_e32 v4, v4, v27, vcc
	v_and_b32_e32 v3, 0x80000000, v3
	v_cndmask_b32_e32 v26, v31, v26, vcc
	v_lshl_add_u32 v3, v4, 23, v3
	v_lshl_or_b32 v3, v26, 21, v3
	v_add_u32_e32 v27, 0x38000000, v3
                                        ; implicit-def: $vgpr31
                                        ; implicit-def: $vgpr3_vgpr4
.LBB6_5796:                             ;   in Loop: Header=BB6_4748 Depth=3
	s_andn2_saveexec_b64 s[34:35], s[34:35]
; %bb.5797:                             ;   in Loop: Header=BB6_4748 Depth=3
	v_cmp_lt_i16_e32 vcc, -1, v3
	v_mov_b32_e32 v3, 0xff800000
	v_mov_b32_e32 v4, 0x7f800000
	v_cndmask_b32_e32 v3, v3, v4, vcc
	v_cmp_eq_u32_e32 vcc, 0, v31
	v_mov_b32_e32 v4, 0x7f800001
	v_cndmask_b32_e32 v27, v4, v3, vcc
; %bb.5798:                             ;   in Loop: Header=BB6_4748 Depth=3
	s_or_b64 exec, exec, s[34:35]
.LBB6_5799:                             ;   in Loop: Header=BB6_4748 Depth=3
	s_or_b64 exec, exec, s[30:31]
.LBB6_5800:                             ;   in Loop: Header=BB6_4748 Depth=3
	s_or_b64 exec, exec, s[28:29]
	v_lshrrev_b16_e32 v3, 8, v6
	v_cmp_ne_u16_e32 vcc, 0, v3
	s_and_saveexec_b64 s[28:29], vcc
	s_cbranch_execz .LBB6_5808
; %bb.5801:                             ;   in Loop: Header=BB6_4748 Depth=3
	v_cmp_ne_u16_e32 vcc, s44, v3
	v_bfrev_b32_e32 v0, 1
	s_and_saveexec_b64 s[30:31], vcc
	s_cbranch_execz .LBB6_5807
; %bb.5802:                             ;   in Loop: Header=BB6_4748 Depth=3
	v_and_b32_e32 v0, 0x7c, v3
	v_and_b32_e32 v26, 3, v3
	v_cmp_ne_u32_e32 vcc, s81, v0
                                        ; implicit-def: $vgpr0
	s_and_saveexec_b64 s[34:35], vcc
	s_xor_b64 s[34:35], exec, s[34:35]
	s_cbranch_execz .LBB6_5804
; %bb.5803:                             ;   in Loop: Header=BB6_4748 Depth=3
	v_ffbh_u32_e32 v31, v26
	v_min_u32_e32 v31, 32, v31
	v_mov_b32_e32 v4, v34
	v_subrev_u32_e32 v32, 29, v31
	v_bfe_u32 v0, v3, 2, 5
	v_lshlrev_b64 v[3:4], v32, v[3:4]
	v_sub_u32_e32 v4, 30, v31
	v_cmp_eq_u32_e32 vcc, 0, v0
	v_cndmask_b32_e32 v0, v0, v4, vcc
	v_lshlrev_b32_e32 v4, 16, v6
	v_and_b32_e32 v3, 3, v3
	v_and_b32_e32 v4, 0x80000000, v4
	v_cndmask_b32_e32 v3, v26, v3, vcc
	v_lshl_add_u32 v0, v0, 23, v4
	v_lshl_or_b32 v0, v3, 21, v0
	v_add_u32_e32 v0, 0x38000000, v0
                                        ; implicit-def: $vgpr26
.LBB6_5804:                             ;   in Loop: Header=BB6_4748 Depth=3
	s_andn2_saveexec_b64 s[34:35], s[34:35]
; %bb.5805:                             ;   in Loop: Header=BB6_4748 Depth=3
	v_cmp_lt_i16_e32 vcc, -1, v6
	v_mov_b32_e32 v0, 0xff800000
	v_mov_b32_e32 v3, 0x7f800000
	v_cndmask_b32_e32 v0, v0, v3, vcc
	v_cmp_eq_u32_e32 vcc, 0, v26
	v_mov_b32_e32 v3, 0x7f800001
	v_cndmask_b32_e32 v0, v3, v0, vcc
; %bb.5806:                             ;   in Loop: Header=BB6_4748 Depth=3
	s_or_b64 exec, exec, s[34:35]
.LBB6_5807:                             ;   in Loop: Header=BB6_4748 Depth=3
	s_or_b64 exec, exec, s[30:31]
.LBB6_5808:                             ;   in Loop: Header=BB6_4748 Depth=3
	s_or_b64 exec, exec, s[28:29]
	v_mul_f32_e32 v26, v27, v0
	v_and_b32_e32 v36, 0x7f800000, v26
	v_mov_b32_e32 v37, v34
	v_cmp_ne_u64_e32 vcc, s[76:77], v[36:37]
	v_and_b32_e32 v3, 0x7fffff, v26
	v_mov_b32_e32 v4, v34
                                        ; implicit-def: $vgpr31
	s_and_saveexec_b64 s[28:29], vcc
	s_xor_b64 s[30:31], exec, s[28:29]
	s_cbranch_execz .LBB6_5822
; %bb.5809:                             ;   in Loop: Header=BB6_4748 Depth=3
	v_and_b32_e32 v36, 0x7fffffff, v26
	v_mov_b32_e32 v37, v34
	v_cmp_gt_u64_e32 vcc, s[78:79], v[36:37]
	v_and_b32_sdwa v0, v26, s44 dst_sel:DWORD dst_unused:UNUSED_PAD src0_sel:BYTE_3 src1_sel:DWORD
                                        ; implicit-def: $vgpr31
	s_and_saveexec_b64 s[28:29], vcc
	s_xor_b64 s[34:35], exec, s[28:29]
	s_cbranch_execz .LBB6_5819
; %bb.5810:                             ;   in Loop: Header=BB6_4748 Depth=3
	v_mov_b32_e32 v31, 0
	v_cmp_ne_u32_e32 vcc, 0, v26
	s_and_saveexec_b64 s[36:37], vcc
	s_cbranch_execz .LBB6_5818
; %bb.5811:                             ;   in Loop: Header=BB6_4748 Depth=3
	v_bfe_u32 v31, v26, 23, 8
	v_cmp_gt_u32_e64 s[28:29], s45, v31
	v_sub_u32_e32 v26, 0x71, v31
	v_cmp_eq_u32_e32 vcc, 0, v31
	v_cndmask_b32_e64 v26, 0, v26, s[28:29]
	v_mov_b32_e32 v32, 0x70
	v_cndmask_b32_e32 v36, v26, v32, vcc
	v_or_b32_e32 v27, 0x800000, v3
	v_add_u32_e32 v26, 21, v36
	v_cndmask_b32_e32 v3, v27, v3, vcc
	v_lshlrev_b64 v[26:27], v26, -1
	v_add_u32_e32 v32, 20, v36
	v_bfi_b32 v26, v26, 0, v3
	v_lshlrev_b64 v[37:38], v32, 1
	v_lshrrev_b64 v[3:4], v36, v[3:4]
	v_bfi_b32 v27, v27, 0, 0
	v_cmp_eq_u64_e64 s[28:29], v[26:27], v[37:38]
	v_mov_b32_e32 v27, v4
	v_mov_b32_e32 v26, v3
	s_and_saveexec_b64 s[38:39], s[28:29]
; %bb.5812:                             ;   in Loop: Header=BB6_4748 Depth=3
	v_bfe_u32 v4, v3, 21, 1
	v_add_co_u32_e64 v4, s[28:29], v3, v4
	v_add_co_u32_e64 v26, s[28:29], -1, v4
; %bb.5813:                             ;   in Loop: Header=BB6_4748 Depth=3
	s_or_b64 exec, exec, s[38:39]
	v_add_u32_e32 v4, 0xffffff81, v31
	v_mov_b32_e32 v27, 0xffffff82
	v_cndmask_b32_e32 v4, v4, v27, vcc
	v_lshrrev_b32_e32 v27, 23, v3
	v_add3_u32 v31, v36, v4, v27
	v_add_u32_e32 v27, 14, v31
	v_and_b32_e32 v4, 0x1fffff, v26
	v_add_u32_e32 v3, v4, v3
	v_mov_b32_e32 v4, v34
	v_cmp_ne_u32_e32 vcc, 0, v27
                                        ; implicit-def: $vgpr26
	s_and_saveexec_b64 s[28:29], vcc
	s_xor_b64 s[28:29], exec, s[28:29]
; %bb.5814:                             ;   in Loop: Header=BB6_4748 Depth=3
	v_cmp_lt_u64_e32 vcc, s[88:89], v[3:4]
	v_add_u32_e32 v26, 15, v31
	v_cndmask_b32_e32 v26, v27, v26, vcc
	v_cndmask_b32_e64 v27, 0, 1, vcc
	v_lshrrev_b64 v[3:4], v27, v[3:4]
; %bb.5815:                             ;   in Loop: Header=BB6_4748 Depth=3
	s_andn2_saveexec_b64 s[28:29], s[28:29]
; %bb.5816:                             ;   in Loop: Header=BB6_4748 Depth=3
	v_bfe_u32 v26, v3, 23, 1
; %bb.5817:                             ;   in Loop: Header=BB6_4748 Depth=3
	s_or_b64 exec, exec, s[28:29]
	v_lshrrev_b64 v[3:4], 21, v[3:4]
	v_cmp_gt_i32_e32 vcc, 32, v26
	v_cndmask_b32_e32 v4, 0, v4, vcc
	v_cndmask_b32_e32 v3, 3, v3, vcc
	v_cmp_eq_u64_e64 s[28:29], 0, v[3:4]
	v_min_i32_e32 v4, 31, v26
	v_lshlrev_b32_e32 v4, 2, v4
	v_cmp_eq_u32_e32 vcc, 0, v26
	v_and_b32_e32 v4, 0xfc, v4
	v_and_or_b32 v3, v3, 3, v4
	s_and_b64 s[28:29], vcc, s[28:29]
	v_cndmask_b32_e64 v3, v3, 0, s[28:29]
	v_or_b32_e32 v31, v3, v0
.LBB6_5818:                             ;   in Loop: Header=BB6_4748 Depth=3
	s_or_b64 exec, exec, s[36:37]
                                        ; implicit-def: $vgpr0
.LBB6_5819:                             ;   in Loop: Header=BB6_4748 Depth=3
	s_andn2_saveexec_b64 s[28:29], s[34:35]
; %bb.5820:                             ;   in Loop: Header=BB6_4748 Depth=3
	v_or_b32_e32 v31, 0x7b, v0
; %bb.5821:                             ;   in Loop: Header=BB6_4748 Depth=3
	s_or_b64 exec, exec, s[28:29]
                                        ; implicit-def: $vgpr26
                                        ; implicit-def: $vgpr3_vgpr4
.LBB6_5822:                             ;   in Loop: Header=BB6_4748 Depth=3
	s_andn2_saveexec_b64 s[28:29], s[30:31]
	s_cbranch_execz .LBB6_5828
; %bb.5823:                             ;   in Loop: Header=BB6_4748 Depth=3
	v_cmp_ne_u64_e32 vcc, 0, v[3:4]
                                        ; implicit-def: $vgpr31
	s_and_saveexec_b64 s[30:31], vcc
	s_xor_b64 vcc, exec, s[30:31]
; %bb.5824:                             ;   in Loop: Header=BB6_4748 Depth=3
	v_or_b32_sdwa v31, v26, s83 dst_sel:DWORD dst_unused:UNUSED_PAD src0_sel:BYTE_3 src1_sel:DWORD
                                        ; implicit-def: $vgpr26
; %bb.5825:                             ;   in Loop: Header=BB6_4748 Depth=3
	s_andn2_saveexec_b64 s[30:31], vcc
; %bb.5826:                             ;   in Loop: Header=BB6_4748 Depth=3
	v_cmp_lt_i32_e32 vcc, -1, v26
	v_bfrev_b32_e32 v0, 0.5
	v_mov_b32_e32 v3, 0x7c
	v_cndmask_b32_e32 v31, v0, v3, vcc
; %bb.5827:                             ;   in Loop: Header=BB6_4748 Depth=3
	s_or_b64 exec, exec, s[30:31]
.LBB6_5828:                             ;   in Loop: Header=BB6_4748 Depth=3
	s_or_b64 exec, exec, s[28:29]
	v_lshrrev_b32_e32 v0, 16, v29
	v_cmp_ne_u16_sdwa vcc, v0, v34 src0_sel:BYTE_0 src1_sel:DWORD
	v_mov_b32_e32 v3, 0
	v_mov_b32_e32 v4, 0
	s_and_saveexec_b64 s[28:29], vcc
	s_cbranch_execz .LBB6_5836
; %bb.5829:                             ;   in Loop: Header=BB6_4748 Depth=3
	v_cmp_ne_u16_sdwa vcc, v0, s44 src0_sel:BYTE_0 src1_sel:DWORD
	v_bfrev_b32_e32 v4, 1
	s_and_saveexec_b64 s[30:31], vcc
	s_cbranch_execz .LBB6_5835
; %bb.5830:                             ;   in Loop: Header=BB6_4748 Depth=3
	v_and_b32_e32 v4, 0x7c0000, v29
	v_bfe_u32 v26, v29, 16, 2
	v_cmp_ne_u32_e32 vcc, s9, v4
                                        ; implicit-def: $vgpr4
	s_and_saveexec_b64 s[34:35], vcc
	s_xor_b64 s[34:35], exec, s[34:35]
	s_cbranch_execz .LBB6_5832
; %bb.5831:                             ;   in Loop: Header=BB6_4748 Depth=3
	v_ffbh_u32_e32 v27, v26
	v_min_u32_e32 v27, 32, v27
	v_subrev_u32_e32 v32, 29, v27
	v_lshlrev_b64 v[36:37], v32, v[0:1]
	v_bfe_u32 v4, v29, 18, 5
	v_sub_u32_e32 v0, 30, v27
	v_and_b32_e32 v27, 3, v36
	v_cmp_eq_u32_e32 vcc, 0, v4
	v_cndmask_b32_e32 v0, v4, v0, vcc
	v_cndmask_b32_e32 v4, v26, v27, vcc
	v_lshlrev_b32_e32 v26, 8, v29
	v_and_b32_e32 v26, 0x80000000, v26
	v_lshl_add_u32 v0, v0, 23, v26
	v_lshl_or_b32 v0, v4, 21, v0
	v_add_u32_e32 v4, 0x38000000, v0
                                        ; implicit-def: $vgpr26
                                        ; implicit-def: $vgpr0
.LBB6_5832:                             ;   in Loop: Header=BB6_4748 Depth=3
	s_andn2_saveexec_b64 s[34:35], s[34:35]
; %bb.5833:                             ;   in Loop: Header=BB6_4748 Depth=3
	v_mov_b32_e32 v4, -1
	v_cmp_gt_i16_sdwa vcc, sext(v0), v4 src0_sel:BYTE_0 src1_sel:DWORD
	v_mov_b32_e32 v0, 0xff800000
	v_mov_b32_e32 v4, 0x7f800000
	v_cndmask_b32_e32 v0, v0, v4, vcc
	v_cmp_eq_u32_e32 vcc, 0, v26
	v_mov_b32_e32 v4, 0x7f800001
	v_cndmask_b32_e32 v4, v4, v0, vcc
; %bb.5834:                             ;   in Loop: Header=BB6_4748 Depth=3
	s_or_b64 exec, exec, s[34:35]
.LBB6_5835:                             ;   in Loop: Header=BB6_4748 Depth=3
	s_or_b64 exec, exec, s[30:31]
.LBB6_5836:                             ;   in Loop: Header=BB6_4748 Depth=3
	s_or_b64 exec, exec, s[28:29]
	v_lshrrev_b32_e32 v0, 16, v6
	v_cmp_ne_u16_sdwa vcc, v0, v34 src0_sel:BYTE_0 src1_sel:DWORD
	s_and_saveexec_b64 s[28:29], vcc
	s_cbranch_execz .LBB6_5844
; %bb.5837:                             ;   in Loop: Header=BB6_4748 Depth=3
	v_cmp_ne_u16_sdwa vcc, v0, s44 src0_sel:BYTE_0 src1_sel:DWORD
	v_bfrev_b32_e32 v3, 1
	s_and_saveexec_b64 s[30:31], vcc
	s_cbranch_execz .LBB6_5843
; %bb.5838:                             ;   in Loop: Header=BB6_4748 Depth=3
	v_and_b32_e32 v3, 0x7c0000, v6
	v_bfe_u32 v26, v6, 16, 2
	v_cmp_ne_u32_e32 vcc, s9, v3
                                        ; implicit-def: $vgpr3
	s_and_saveexec_b64 s[34:35], vcc
	s_xor_b64 s[34:35], exec, s[34:35]
	s_cbranch_execz .LBB6_5840
; %bb.5839:                             ;   in Loop: Header=BB6_4748 Depth=3
	v_ffbh_u32_e32 v27, v26
	v_min_u32_e32 v27, 32, v27
	v_subrev_u32_e32 v32, 29, v27
	v_lshlrev_b64 v[36:37], v32, v[0:1]
	v_bfe_u32 v3, v6, 18, 5
	v_sub_u32_e32 v0, 30, v27
	v_and_b32_e32 v27, 3, v36
	v_cmp_eq_u32_e32 vcc, 0, v3
	v_cndmask_b32_e32 v0, v3, v0, vcc
	v_cndmask_b32_e32 v3, v26, v27, vcc
	v_lshlrev_b32_e32 v26, 8, v6
	v_and_b32_e32 v26, 0x80000000, v26
	v_lshl_add_u32 v0, v0, 23, v26
	v_lshl_or_b32 v0, v3, 21, v0
	v_add_u32_e32 v3, 0x38000000, v0
                                        ; implicit-def: $vgpr26
                                        ; implicit-def: $vgpr0
.LBB6_5840:                             ;   in Loop: Header=BB6_4748 Depth=3
	s_andn2_saveexec_b64 s[34:35], s[34:35]
; %bb.5841:                             ;   in Loop: Header=BB6_4748 Depth=3
	v_mov_b32_e32 v3, -1
	v_cmp_gt_i16_sdwa vcc, sext(v0), v3 src0_sel:BYTE_0 src1_sel:DWORD
	v_mov_b32_e32 v0, 0xff800000
	v_mov_b32_e32 v3, 0x7f800000
	v_cndmask_b32_e32 v0, v0, v3, vcc
	v_cmp_eq_u32_e32 vcc, 0, v26
	v_mov_b32_e32 v3, 0x7f800001
	v_cndmask_b32_e32 v3, v3, v0, vcc
; %bb.5842:                             ;   in Loop: Header=BB6_4748 Depth=3
	s_or_b64 exec, exec, s[34:35]
.LBB6_5843:                             ;   in Loop: Header=BB6_4748 Depth=3
	s_or_b64 exec, exec, s[30:31]
.LBB6_5844:                             ;   in Loop: Header=BB6_4748 Depth=3
	s_or_b64 exec, exec, s[28:29]
	v_mul_f32_e32 v27, v4, v3
	v_and_b32_e32 v36, 0x7f800000, v27
	v_mov_b32_e32 v37, v34
	v_cmp_ne_u64_e32 vcc, s[76:77], v[36:37]
	v_and_b32_e32 v3, 0x7fffff, v27
	v_mov_b32_e32 v4, v34
                                        ; implicit-def: $vgpr26
	s_and_saveexec_b64 s[28:29], vcc
	s_xor_b64 s[30:31], exec, s[28:29]
	s_cbranch_execz .LBB6_5858
; %bb.5845:                             ;   in Loop: Header=BB6_4748 Depth=3
	v_and_b32_e32 v36, 0x7fffffff, v27
	v_mov_b32_e32 v37, v34
	v_cmp_gt_u64_e32 vcc, s[78:79], v[36:37]
	v_and_b32_sdwa v0, v27, s44 dst_sel:DWORD dst_unused:UNUSED_PAD src0_sel:BYTE_3 src1_sel:DWORD
                                        ; implicit-def: $vgpr26
	s_and_saveexec_b64 s[28:29], vcc
	s_xor_b64 s[34:35], exec, s[28:29]
	s_cbranch_execz .LBB6_5855
; %bb.5846:                             ;   in Loop: Header=BB6_4748 Depth=3
	v_mov_b32_e32 v26, 0
	v_cmp_ne_u32_e32 vcc, 0, v27
	s_and_saveexec_b64 s[36:37], vcc
	s_cbranch_execz .LBB6_5854
; %bb.5847:                             ;   in Loop: Header=BB6_4748 Depth=3
	v_bfe_u32 v36, v27, 23, 8
	v_cmp_gt_u32_e64 s[28:29], s45, v36
	v_sub_u32_e32 v26, 0x71, v36
	v_cmp_eq_u32_e32 vcc, 0, v36
	v_cndmask_b32_e64 v26, 0, v26, s[28:29]
	v_mov_b32_e32 v32, 0x70
	v_cndmask_b32_e32 v37, v26, v32, vcc
	v_or_b32_e32 v27, 0x800000, v3
	v_add_u32_e32 v26, 21, v37
	v_cndmask_b32_e32 v3, v27, v3, vcc
	v_lshlrev_b64 v[26:27], v26, -1
	v_add_u32_e32 v32, 20, v37
	v_bfi_b32 v26, v26, 0, v3
	v_lshlrev_b64 v[38:39], v32, 1
	v_lshrrev_b64 v[3:4], v37, v[3:4]
	v_bfi_b32 v27, v27, 0, 0
	v_cmp_eq_u64_e64 s[28:29], v[26:27], v[38:39]
	v_mov_b32_e32 v27, v4
	v_mov_b32_e32 v26, v3
	s_and_saveexec_b64 s[38:39], s[28:29]
; %bb.5848:                             ;   in Loop: Header=BB6_4748 Depth=3
	v_bfe_u32 v4, v3, 21, 1
	v_add_co_u32_e64 v4, s[28:29], v3, v4
	v_add_co_u32_e64 v26, s[28:29], -1, v4
; %bb.5849:                             ;   in Loop: Header=BB6_4748 Depth=3
	s_or_b64 exec, exec, s[38:39]
	v_add_u32_e32 v4, 0xffffff81, v36
	v_mov_b32_e32 v27, 0xffffff82
	v_cndmask_b32_e32 v4, v4, v27, vcc
	v_lshrrev_b32_e32 v27, 23, v3
	v_add3_u32 v36, v37, v4, v27
	v_add_u32_e32 v27, 14, v36
	v_and_b32_e32 v4, 0x1fffff, v26
	v_add_u32_e32 v3, v4, v3
	v_mov_b32_e32 v4, v34
	v_cmp_ne_u32_e32 vcc, 0, v27
                                        ; implicit-def: $vgpr26
	s_and_saveexec_b64 s[28:29], vcc
	s_xor_b64 s[28:29], exec, s[28:29]
; %bb.5850:                             ;   in Loop: Header=BB6_4748 Depth=3
	v_cmp_lt_u64_e32 vcc, s[88:89], v[3:4]
	v_add_u32_e32 v26, 15, v36
	v_cndmask_b32_e32 v26, v27, v26, vcc
	v_cndmask_b32_e64 v27, 0, 1, vcc
	v_lshrrev_b64 v[3:4], v27, v[3:4]
; %bb.5851:                             ;   in Loop: Header=BB6_4748 Depth=3
	s_andn2_saveexec_b64 s[28:29], s[28:29]
; %bb.5852:                             ;   in Loop: Header=BB6_4748 Depth=3
	v_bfe_u32 v26, v3, 23, 1
; %bb.5853:                             ;   in Loop: Header=BB6_4748 Depth=3
	s_or_b64 exec, exec, s[28:29]
	v_lshrrev_b64 v[3:4], 21, v[3:4]
	v_cmp_gt_i32_e32 vcc, 32, v26
	v_cndmask_b32_e32 v4, 0, v4, vcc
	v_cndmask_b32_e32 v3, 3, v3, vcc
	v_cmp_eq_u64_e64 s[28:29], 0, v[3:4]
	v_min_i32_e32 v4, 31, v26
	v_lshlrev_b32_e32 v4, 2, v4
	v_cmp_eq_u32_e32 vcc, 0, v26
	v_and_b32_e32 v4, 0xfc, v4
	v_and_or_b32 v3, v3, 3, v4
	s_and_b64 s[28:29], vcc, s[28:29]
	v_cndmask_b32_e64 v3, v3, 0, s[28:29]
	v_or_b32_e32 v26, v3, v0
.LBB6_5854:                             ;   in Loop: Header=BB6_4748 Depth=3
	s_or_b64 exec, exec, s[36:37]
                                        ; implicit-def: $vgpr0
.LBB6_5855:                             ;   in Loop: Header=BB6_4748 Depth=3
	s_andn2_saveexec_b64 s[28:29], s[34:35]
; %bb.5856:                             ;   in Loop: Header=BB6_4748 Depth=3
	v_or_b32_e32 v26, 0x7b, v0
; %bb.5857:                             ;   in Loop: Header=BB6_4748 Depth=3
	s_or_b64 exec, exec, s[28:29]
                                        ; implicit-def: $vgpr27
                                        ; implicit-def: $vgpr3_vgpr4
.LBB6_5858:                             ;   in Loop: Header=BB6_4748 Depth=3
	s_andn2_saveexec_b64 s[28:29], s[30:31]
	s_cbranch_execz .LBB6_5864
; %bb.5859:                             ;   in Loop: Header=BB6_4748 Depth=3
	v_cmp_ne_u64_e32 vcc, 0, v[3:4]
                                        ; implicit-def: $vgpr26
	s_and_saveexec_b64 s[30:31], vcc
	s_xor_b64 vcc, exec, s[30:31]
; %bb.5860:                             ;   in Loop: Header=BB6_4748 Depth=3
	v_or_b32_sdwa v26, v27, s83 dst_sel:DWORD dst_unused:UNUSED_PAD src0_sel:BYTE_3 src1_sel:DWORD
                                        ; implicit-def: $vgpr27
; %bb.5861:                             ;   in Loop: Header=BB6_4748 Depth=3
	s_andn2_saveexec_b64 s[30:31], vcc
; %bb.5862:                             ;   in Loop: Header=BB6_4748 Depth=3
	v_cmp_lt_i32_e32 vcc, -1, v27
	v_bfrev_b32_e32 v0, 0.5
	v_mov_b32_e32 v3, 0x7c
	v_cndmask_b32_e32 v26, v0, v3, vcc
; %bb.5863:                             ;   in Loop: Header=BB6_4748 Depth=3
	s_or_b64 exec, exec, s[30:31]
.LBB6_5864:                             ;   in Loop: Header=BB6_4748 Depth=3
	s_or_b64 exec, exec, s[28:29]
	v_cmp_lt_u64_e32 vcc, s[56:57], v[28:29]
	v_mov_b32_e32 v3, 0
	v_mov_b32_e32 v4, 0
	s_and_saveexec_b64 s[28:29], vcc
	s_cbranch_execz .LBB6_5872
; %bb.5865:                             ;   in Loop: Header=BB6_4748 Depth=3
	v_lshrrev_b32_e32 v0, 24, v29
	v_cmp_ne_u32_e32 vcc, s44, v0
	v_bfrev_b32_e32 v4, 1
	s_and_saveexec_b64 s[30:31], vcc
	s_cbranch_execz .LBB6_5871
; %bb.5866:                             ;   in Loop: Header=BB6_4748 Depth=3
	v_and_b32_e32 v4, 0x7c000000, v29
	v_bfe_u32 v27, v29, 24, 2
	v_cmp_ne_u32_e32 vcc, s8, v4
                                        ; implicit-def: $vgpr4
	s_and_saveexec_b64 s[34:35], vcc
	s_xor_b64 s[34:35], exec, s[34:35]
	s_cbranch_execz .LBB6_5868
; %bb.5867:                             ;   in Loop: Header=BB6_4748 Depth=3
	v_ffbh_u32_e32 v28, v27
	v_min_u32_e32 v28, 32, v28
	v_subrev_u32_e32 v32, 29, v28
	v_lshlrev_b64 v[36:37], v32, v[0:1]
	v_bfe_u32 v4, v29, 26, 5
	v_sub_u32_e32 v0, 30, v28
	v_and_b32_e32 v28, 3, v36
	v_cmp_eq_u32_e32 vcc, 0, v4
	v_cndmask_b32_e32 v0, v4, v0, vcc
	v_cndmask_b32_e32 v4, v27, v28, vcc
	v_and_b32_e32 v27, 0x80000000, v29
	v_lshl_add_u32 v0, v0, 23, v27
	v_lshl_or_b32 v0, v4, 21, v0
	v_add_u32_e32 v4, 0x38000000, v0
                                        ; implicit-def: $vgpr27
                                        ; implicit-def: $vgpr28_vgpr29
.LBB6_5868:                             ;   in Loop: Header=BB6_4748 Depth=3
	s_andn2_saveexec_b64 s[34:35], s[34:35]
; %bb.5869:                             ;   in Loop: Header=BB6_4748 Depth=3
	v_cmp_lt_i64_e32 vcc, -1, v[28:29]
	v_mov_b32_e32 v0, 0xff800000
	v_mov_b32_e32 v4, 0x7f800000
	v_cndmask_b32_e32 v0, v0, v4, vcc
	v_cmp_eq_u32_e32 vcc, 0, v27
	v_mov_b32_e32 v4, 0x7f800001
	v_cndmask_b32_e32 v4, v4, v0, vcc
; %bb.5870:                             ;   in Loop: Header=BB6_4748 Depth=3
	s_or_b64 exec, exec, s[34:35]
.LBB6_5871:                             ;   in Loop: Header=BB6_4748 Depth=3
	s_or_b64 exec, exec, s[30:31]
.LBB6_5872:                             ;   in Loop: Header=BB6_4748 Depth=3
	s_or_b64 exec, exec, s[28:29]
	v_cmp_lt_u64_e32 vcc, s[56:57], v[5:6]
	s_and_saveexec_b64 s[28:29], vcc
	s_cbranch_execz .LBB6_5880
; %bb.5873:                             ;   in Loop: Header=BB6_4748 Depth=3
	v_lshrrev_b32_e32 v0, 24, v6
	v_cmp_ne_u32_e32 vcc, s44, v0
	v_bfrev_b32_e32 v3, 1
	s_and_saveexec_b64 s[30:31], vcc
	s_cbranch_execz .LBB6_5879
; %bb.5874:                             ;   in Loop: Header=BB6_4748 Depth=3
	v_and_b32_e32 v3, 0x7c000000, v6
	v_bfe_u32 v27, v6, 24, 2
	v_cmp_ne_u32_e32 vcc, s8, v3
                                        ; implicit-def: $vgpr3
	s_and_saveexec_b64 s[34:35], vcc
	s_xor_b64 s[34:35], exec, s[34:35]
	s_cbranch_execz .LBB6_5876
; %bb.5875:                             ;   in Loop: Header=BB6_4748 Depth=3
	v_ffbh_u32_e32 v5, v27
	v_min_u32_e32 v5, 32, v5
	v_subrev_u32_e32 v28, 29, v5
	v_lshlrev_b64 v[28:29], v28, v[0:1]
	v_bfe_u32 v3, v6, 26, 5
	v_sub_u32_e32 v0, 30, v5
	v_and_b32_e32 v5, 3, v28
	v_cmp_eq_u32_e32 vcc, 0, v3
	v_cndmask_b32_e32 v0, v3, v0, vcc
	v_cndmask_b32_e32 v3, v27, v5, vcc
	v_and_b32_e32 v5, 0x80000000, v6
	v_lshl_add_u32 v0, v0, 23, v5
	v_lshl_or_b32 v0, v3, 21, v0
	v_add_u32_e32 v3, 0x38000000, v0
                                        ; implicit-def: $vgpr27
                                        ; implicit-def: $vgpr5_vgpr6
.LBB6_5876:                             ;   in Loop: Header=BB6_4748 Depth=3
	s_andn2_saveexec_b64 s[34:35], s[34:35]
; %bb.5877:                             ;   in Loop: Header=BB6_4748 Depth=3
	v_cmp_lt_i64_e32 vcc, -1, v[5:6]
	v_mov_b32_e32 v0, 0xff800000
	v_mov_b32_e32 v3, 0x7f800000
	v_cndmask_b32_e32 v0, v0, v3, vcc
	v_cmp_eq_u32_e32 vcc, 0, v27
	v_mov_b32_e32 v3, 0x7f800001
	v_cndmask_b32_e32 v3, v3, v0, vcc
; %bb.5878:                             ;   in Loop: Header=BB6_4748 Depth=3
	s_or_b64 exec, exec, s[34:35]
.LBB6_5879:                             ;   in Loop: Header=BB6_4748 Depth=3
	s_or_b64 exec, exec, s[30:31]
.LBB6_5880:                             ;   in Loop: Header=BB6_4748 Depth=3
	s_or_b64 exec, exec, s[28:29]
	v_mul_f32_e32 v5, v4, v3
	v_and_b32_e32 v27, 0x7f800000, v5
	v_mov_b32_e32 v28, v34
	v_cmp_ne_u64_e32 vcc, s[76:77], v[27:28]
	v_and_b32_e32 v3, 0x7fffff, v5
	v_mov_b32_e32 v4, v34
                                        ; implicit-def: $vgpr27
	s_and_saveexec_b64 s[28:29], vcc
	s_xor_b64 s[30:31], exec, s[28:29]
	s_cbranch_execz .LBB6_5894
; %bb.5881:                             ;   in Loop: Header=BB6_4748 Depth=3
	v_and_b32_e32 v27, 0x7fffffff, v5
	v_mov_b32_e32 v28, v34
	v_cmp_gt_u64_e32 vcc, s[78:79], v[27:28]
	v_and_b32_sdwa v0, v5, s44 dst_sel:DWORD dst_unused:UNUSED_PAD src0_sel:BYTE_3 src1_sel:DWORD
                                        ; implicit-def: $vgpr27
	s_and_saveexec_b64 s[28:29], vcc
	s_xor_b64 s[34:35], exec, s[28:29]
	s_cbranch_execz .LBB6_5891
; %bb.5882:                             ;   in Loop: Header=BB6_4748 Depth=3
	v_mov_b32_e32 v27, 0
	v_cmp_ne_u32_e32 vcc, 0, v5
	s_and_saveexec_b64 s[36:37], vcc
	s_cbranch_execz .LBB6_5890
; %bb.5883:                             ;   in Loop: Header=BB6_4748 Depth=3
	v_bfe_u32 v6, v5, 23, 8
	v_cmp_gt_u32_e64 s[28:29], s45, v6
	v_sub_u32_e32 v5, 0x71, v6
	v_cmp_eq_u32_e32 vcc, 0, v6
	v_cndmask_b32_e64 v5, 0, v5, s[28:29]
	v_mov_b32_e32 v27, 0x70
	v_cndmask_b32_e32 v27, v5, v27, vcc
	v_or_b32_e32 v28, 0x800000, v3
	v_add_u32_e32 v5, 21, v27
	v_cndmask_b32_e32 v3, v28, v3, vcc
	v_lshlrev_b64 v[28:29], v5, -1
	v_add_u32_e32 v5, 20, v27
	v_bfi_b32 v28, v28, 0, v3
	v_lshlrev_b64 v[36:37], v5, 1
	v_lshrrev_b64 v[3:4], v27, v[3:4]
	v_bfi_b32 v29, v29, 0, 0
	v_cmp_eq_u64_e64 s[28:29], v[28:29], v[36:37]
	v_mov_b32_e32 v5, v4
	v_mov_b32_e32 v4, v3
	s_and_saveexec_b64 s[38:39], s[28:29]
; %bb.5884:                             ;   in Loop: Header=BB6_4748 Depth=3
	v_bfe_u32 v4, v3, 21, 1
	v_add_co_u32_e64 v4, s[28:29], v3, v4
	v_add_co_u32_e64 v4, s[28:29], -1, v4
; %bb.5885:                             ;   in Loop: Header=BB6_4748 Depth=3
	s_or_b64 exec, exec, s[38:39]
	v_add_u32_e32 v5, 0xffffff81, v6
	v_mov_b32_e32 v6, 0xffffff82
	v_cndmask_b32_e32 v5, v5, v6, vcc
	v_lshrrev_b32_e32 v6, 23, v3
	v_add3_u32 v27, v27, v5, v6
	v_add_u32_e32 v6, 14, v27
	v_and_b32_e32 v4, 0x1fffff, v4
	v_add_u32_e32 v3, v4, v3
	v_mov_b32_e32 v4, v34
	v_cmp_ne_u32_e32 vcc, 0, v6
                                        ; implicit-def: $vgpr5
	s_and_saveexec_b64 s[28:29], vcc
	s_xor_b64 s[28:29], exec, s[28:29]
; %bb.5886:                             ;   in Loop: Header=BB6_4748 Depth=3
	v_cmp_lt_u64_e32 vcc, s[88:89], v[3:4]
	v_add_u32_e32 v5, 15, v27
	v_cndmask_b32_e32 v5, v6, v5, vcc
	v_cndmask_b32_e64 v6, 0, 1, vcc
	v_lshrrev_b64 v[3:4], v6, v[3:4]
; %bb.5887:                             ;   in Loop: Header=BB6_4748 Depth=3
	s_andn2_saveexec_b64 s[28:29], s[28:29]
; %bb.5888:                             ;   in Loop: Header=BB6_4748 Depth=3
	v_bfe_u32 v5, v3, 23, 1
; %bb.5889:                             ;   in Loop: Header=BB6_4748 Depth=3
	s_or_b64 exec, exec, s[28:29]
	v_lshrrev_b64 v[3:4], 21, v[3:4]
	v_cmp_gt_i32_e32 vcc, 32, v5
	v_cndmask_b32_e32 v4, 0, v4, vcc
	v_cndmask_b32_e32 v3, 3, v3, vcc
	v_cmp_eq_u64_e64 s[28:29], 0, v[3:4]
	v_min_i32_e32 v4, 31, v5
	v_lshlrev_b32_e32 v4, 2, v4
	v_cmp_eq_u32_e32 vcc, 0, v5
	v_and_b32_e32 v4, 0xfc, v4
	v_and_or_b32 v3, v3, 3, v4
	s_and_b64 s[28:29], vcc, s[28:29]
	v_cndmask_b32_e64 v3, v3, 0, s[28:29]
	v_or_b32_e32 v27, v3, v0
.LBB6_5890:                             ;   in Loop: Header=BB6_4748 Depth=3
	s_or_b64 exec, exec, s[36:37]
                                        ; implicit-def: $vgpr0
.LBB6_5891:                             ;   in Loop: Header=BB6_4748 Depth=3
	s_andn2_saveexec_b64 s[28:29], s[34:35]
; %bb.5892:                             ;   in Loop: Header=BB6_4748 Depth=3
	v_or_b32_e32 v27, 0x7b, v0
; %bb.5893:                             ;   in Loop: Header=BB6_4748 Depth=3
	s_or_b64 exec, exec, s[28:29]
                                        ; implicit-def: $vgpr5
                                        ; implicit-def: $vgpr3_vgpr4
.LBB6_5894:                             ;   in Loop: Header=BB6_4748 Depth=3
	s_andn2_saveexec_b64 s[28:29], s[30:31]
	s_cbranch_execz .LBB6_5900
; %bb.5895:                             ;   in Loop: Header=BB6_4748 Depth=3
	v_cmp_ne_u64_e32 vcc, 0, v[3:4]
                                        ; implicit-def: $vgpr27
	s_and_saveexec_b64 s[30:31], vcc
	s_xor_b64 vcc, exec, s[30:31]
; %bb.5896:                             ;   in Loop: Header=BB6_4748 Depth=3
	v_or_b32_sdwa v27, v5, s83 dst_sel:DWORD dst_unused:UNUSED_PAD src0_sel:BYTE_3 src1_sel:DWORD
                                        ; implicit-def: $vgpr5
; %bb.5897:                             ;   in Loop: Header=BB6_4748 Depth=3
	s_andn2_saveexec_b64 s[30:31], vcc
; %bb.5898:                             ;   in Loop: Header=BB6_4748 Depth=3
	v_cmp_lt_i32_e32 vcc, -1, v5
	v_bfrev_b32_e32 v0, 0.5
	v_mov_b32_e32 v3, 0x7c
	v_cndmask_b32_e32 v27, v0, v3, vcc
; %bb.5899:                             ;   in Loop: Header=BB6_4748 Depth=3
	s_or_b64 exec, exec, s[30:31]
.LBB6_5900:                             ;   in Loop: Header=BB6_4748 Depth=3
	s_or_b64 exec, exec, s[28:29]
	v_cmp_ne_u16_sdwa vcc, v20, v34 src0_sel:BYTE_0 src1_sel:DWORD
	v_mov_b32_e32 v0, 0
	v_mov_b32_e32 v3, 0
	s_and_saveexec_b64 s[28:29], vcc
	s_cbranch_execz .LBB6_5908
; %bb.5901:                             ;   in Loop: Header=BB6_4748 Depth=3
	v_cmp_ne_u16_sdwa vcc, sext(v20), s80 src0_sel:BYTE_0 src1_sel:DWORD
	v_bfrev_b32_e32 v3, 1
	s_and_saveexec_b64 s[30:31], vcc
	s_cbranch_execz .LBB6_5907
; %bb.5902:                             ;   in Loop: Header=BB6_4748 Depth=3
	v_and_b32_e32 v3, 0x7c, v20
	v_and_b32_e32 v4, 3, v20
	v_cmp_ne_u32_e32 vcc, s81, v3
                                        ; implicit-def: $vgpr3
	s_and_saveexec_b64 s[34:35], vcc
	s_xor_b64 s[34:35], exec, s[34:35]
	s_cbranch_execz .LBB6_5904
; %bb.5903:                             ;   in Loop: Header=BB6_4748 Depth=3
	v_ffbh_u32_e32 v5, v4
	v_min_u32_e32 v28, 32, v5
	v_subrev_u32_e32 v5, 29, v28
	v_lshlrev_b64 v[5:6], v5, v[20:21]
	v_bfe_u32 v3, v20, 2, 5
	v_and_b32_e32 v5, 3, v5
	v_cmp_eq_u32_e32 vcc, 0, v3
	v_sub_u32_e32 v6, 30, v28
	v_cndmask_b32_e32 v4, v4, v5, vcc
	v_lshlrev_b32_e32 v5, 24, v20
	v_cndmask_b32_e32 v3, v3, v6, vcc
	v_and_b32_e32 v5, 0x80000000, v5
	v_lshl_add_u32 v3, v3, 23, v5
	v_lshl_or_b32 v3, v4, 21, v3
	v_add_u32_e32 v3, 0x38000000, v3
                                        ; implicit-def: $vgpr4
.LBB6_5904:                             ;   in Loop: Header=BB6_4748 Depth=3
	s_andn2_saveexec_b64 s[34:35], s[34:35]
; %bb.5905:                             ;   in Loop: Header=BB6_4748 Depth=3
	v_mov_b32_e32 v3, -1
	v_cmp_gt_i16_sdwa vcc, sext(v20), v3 src0_sel:BYTE_0 src1_sel:DWORD
	v_mov_b32_e32 v3, 0xff800000
	v_mov_b32_e32 v5, 0x7f800000
	v_cndmask_b32_e32 v3, v3, v5, vcc
	v_cmp_eq_u32_e32 vcc, 0, v4
	v_mov_b32_e32 v4, 0x7f800001
	v_cndmask_b32_e32 v3, v4, v3, vcc
; %bb.5906:                             ;   in Loop: Header=BB6_4748 Depth=3
	s_or_b64 exec, exec, s[34:35]
.LBB6_5907:                             ;   in Loop: Header=BB6_4748 Depth=3
	s_or_b64 exec, exec, s[30:31]
.LBB6_5908:                             ;   in Loop: Header=BB6_4748 Depth=3
	s_or_b64 exec, exec, s[28:29]
	s_waitcnt vmcnt(1)
	v_cmp_ne_u16_sdwa vcc, v16, v34 src0_sel:BYTE_0 src1_sel:DWORD
	s_and_saveexec_b64 s[28:29], vcc
	s_cbranch_execz .LBB6_5916
; %bb.5909:                             ;   in Loop: Header=BB6_4748 Depth=3
	v_cmp_ne_u16_sdwa vcc, sext(v16), s80 src0_sel:BYTE_0 src1_sel:DWORD
	v_bfrev_b32_e32 v0, 1
	s_and_saveexec_b64 s[30:31], vcc
	s_cbranch_execz .LBB6_5915
; %bb.5910:                             ;   in Loop: Header=BB6_4748 Depth=3
	v_and_b32_e32 v0, 0x7c, v16
	v_and_b32_e32 v4, 3, v16
	v_cmp_ne_u32_e32 vcc, s81, v0
                                        ; implicit-def: $vgpr0
	s_and_saveexec_b64 s[34:35], vcc
	s_xor_b64 s[34:35], exec, s[34:35]
	s_cbranch_execz .LBB6_5912
; %bb.5911:                             ;   in Loop: Header=BB6_4748 Depth=3
	v_ffbh_u32_e32 v5, v4
	v_min_u32_e32 v28, 32, v5
	v_subrev_u32_e32 v5, 29, v28
	v_lshlrev_b64 v[5:6], v5, v[16:17]
	v_bfe_u32 v0, v16, 2, 5
	v_and_b32_e32 v5, 3, v5
	v_cmp_eq_u32_e32 vcc, 0, v0
	v_sub_u32_e32 v6, 30, v28
	v_cndmask_b32_e32 v4, v4, v5, vcc
	v_lshlrev_b32_e32 v5, 24, v16
	v_cndmask_b32_e32 v0, v0, v6, vcc
	v_and_b32_e32 v5, 0x80000000, v5
	v_lshl_add_u32 v0, v0, 23, v5
	v_lshl_or_b32 v0, v4, 21, v0
	v_add_u32_e32 v0, 0x38000000, v0
                                        ; implicit-def: $vgpr4
.LBB6_5912:                             ;   in Loop: Header=BB6_4748 Depth=3
	s_andn2_saveexec_b64 s[34:35], s[34:35]
; %bb.5913:                             ;   in Loop: Header=BB6_4748 Depth=3
	v_mov_b32_e32 v0, -1
	v_cmp_gt_i16_sdwa vcc, sext(v16), v0 src0_sel:BYTE_0 src1_sel:DWORD
	v_mov_b32_e32 v0, 0xff800000
	v_mov_b32_e32 v5, 0x7f800000
	v_cndmask_b32_e32 v0, v0, v5, vcc
	v_cmp_eq_u32_e32 vcc, 0, v4
	v_mov_b32_e32 v4, 0x7f800001
	v_cndmask_b32_e32 v0, v4, v0, vcc
; %bb.5914:                             ;   in Loop: Header=BB6_4748 Depth=3
	s_or_b64 exec, exec, s[34:35]
.LBB6_5915:                             ;   in Loop: Header=BB6_4748 Depth=3
	s_or_b64 exec, exec, s[30:31]
.LBB6_5916:                             ;   in Loop: Header=BB6_4748 Depth=3
	s_or_b64 exec, exec, s[28:29]
	v_mul_f32_e32 v5, v3, v0
	v_and_b32_e32 v28, 0x7f800000, v5
	v_mov_b32_e32 v29, v34
	v_cmp_ne_u64_e32 vcc, s[76:77], v[28:29]
	v_and_b32_e32 v3, 0x7fffff, v5
	v_mov_b32_e32 v4, v34
                                        ; implicit-def: $vgpr28
	s_and_saveexec_b64 s[28:29], vcc
	s_xor_b64 s[30:31], exec, s[28:29]
	s_cbranch_execz .LBB6_5930
; %bb.5917:                             ;   in Loop: Header=BB6_4748 Depth=3
	v_and_b32_e32 v28, 0x7fffffff, v5
	v_mov_b32_e32 v29, v34
	v_cmp_gt_u64_e32 vcc, s[78:79], v[28:29]
	v_and_b32_sdwa v0, v5, s44 dst_sel:DWORD dst_unused:UNUSED_PAD src0_sel:BYTE_3 src1_sel:DWORD
                                        ; implicit-def: $vgpr28
	s_and_saveexec_b64 s[28:29], vcc
	s_xor_b64 s[34:35], exec, s[28:29]
	s_cbranch_execz .LBB6_5927
; %bb.5918:                             ;   in Loop: Header=BB6_4748 Depth=3
	v_mov_b32_e32 v28, 0
	v_cmp_ne_u32_e32 vcc, 0, v5
	s_and_saveexec_b64 s[36:37], vcc
	s_cbranch_execz .LBB6_5926
; %bb.5919:                             ;   in Loop: Header=BB6_4748 Depth=3
	v_bfe_u32 v6, v5, 23, 8
	v_cmp_gt_u32_e64 s[28:29], s45, v6
	v_sub_u32_e32 v5, 0x71, v6
	v_cmp_eq_u32_e32 vcc, 0, v6
	v_cndmask_b32_e64 v5, 0, v5, s[28:29]
	v_mov_b32_e32 v28, 0x70
	v_cndmask_b32_e32 v28, v5, v28, vcc
	v_add_u32_e32 v5, 21, v28
	v_or_b32_e32 v29, 0x800000, v3
	v_lshlrev_b64 v[36:37], v5, -1
	v_cndmask_b32_e32 v3, v29, v3, vcc
	v_add_u32_e32 v5, 20, v28
	v_bfi_b32 v36, v36, 0, v3
	v_lshlrev_b64 v[38:39], v5, 1
	v_lshrrev_b64 v[3:4], v28, v[3:4]
	v_bfi_b32 v37, v37, 0, 0
	v_cmp_eq_u64_e64 s[28:29], v[36:37], v[38:39]
	v_mov_b32_e32 v5, v4
	v_mov_b32_e32 v4, v3
	s_and_saveexec_b64 s[38:39], s[28:29]
; %bb.5920:                             ;   in Loop: Header=BB6_4748 Depth=3
	v_bfe_u32 v4, v3, 21, 1
	v_add_co_u32_e64 v4, s[28:29], v3, v4
	v_add_co_u32_e64 v4, s[28:29], -1, v4
; %bb.5921:                             ;   in Loop: Header=BB6_4748 Depth=3
	s_or_b64 exec, exec, s[38:39]
	v_add_u32_e32 v5, 0xffffff81, v6
	v_mov_b32_e32 v6, 0xffffff82
	v_cndmask_b32_e32 v5, v5, v6, vcc
	v_lshrrev_b32_e32 v6, 23, v3
	v_add3_u32 v28, v28, v5, v6
	v_add_u32_e32 v6, 14, v28
	v_and_b32_e32 v4, 0x1fffff, v4
	v_add_u32_e32 v3, v4, v3
	v_mov_b32_e32 v4, v34
	v_cmp_ne_u32_e32 vcc, 0, v6
                                        ; implicit-def: $vgpr5
	s_and_saveexec_b64 s[28:29], vcc
	s_xor_b64 s[28:29], exec, s[28:29]
; %bb.5922:                             ;   in Loop: Header=BB6_4748 Depth=3
	v_cmp_lt_u64_e32 vcc, s[88:89], v[3:4]
	v_add_u32_e32 v5, 15, v28
	v_cndmask_b32_e32 v5, v6, v5, vcc
	v_cndmask_b32_e64 v6, 0, 1, vcc
	v_lshrrev_b64 v[3:4], v6, v[3:4]
; %bb.5923:                             ;   in Loop: Header=BB6_4748 Depth=3
	s_andn2_saveexec_b64 s[28:29], s[28:29]
; %bb.5924:                             ;   in Loop: Header=BB6_4748 Depth=3
	v_bfe_u32 v5, v3, 23, 1
; %bb.5925:                             ;   in Loop: Header=BB6_4748 Depth=3
	s_or_b64 exec, exec, s[28:29]
	v_lshrrev_b64 v[3:4], 21, v[3:4]
	v_cmp_gt_i32_e32 vcc, 32, v5
	v_cndmask_b32_e32 v4, 0, v4, vcc
	v_cndmask_b32_e32 v3, 3, v3, vcc
	v_cmp_eq_u64_e64 s[28:29], 0, v[3:4]
	v_min_i32_e32 v4, 31, v5
	v_lshlrev_b32_e32 v4, 2, v4
	v_cmp_eq_u32_e32 vcc, 0, v5
	v_and_b32_e32 v4, 0xfc, v4
	v_and_or_b32 v3, v3, 3, v4
	s_and_b64 s[28:29], vcc, s[28:29]
	v_cndmask_b32_e64 v3, v3, 0, s[28:29]
	v_or_b32_e32 v28, v3, v0
.LBB6_5926:                             ;   in Loop: Header=BB6_4748 Depth=3
	s_or_b64 exec, exec, s[36:37]
                                        ; implicit-def: $vgpr0
.LBB6_5927:                             ;   in Loop: Header=BB6_4748 Depth=3
	s_andn2_saveexec_b64 s[28:29], s[34:35]
; %bb.5928:                             ;   in Loop: Header=BB6_4748 Depth=3
	v_or_b32_e32 v28, 0x7b, v0
; %bb.5929:                             ;   in Loop: Header=BB6_4748 Depth=3
	s_or_b64 exec, exec, s[28:29]
                                        ; implicit-def: $vgpr5
                                        ; implicit-def: $vgpr3_vgpr4
.LBB6_5930:                             ;   in Loop: Header=BB6_4748 Depth=3
	s_andn2_saveexec_b64 s[28:29], s[30:31]
	s_cbranch_execz .LBB6_5936
; %bb.5931:                             ;   in Loop: Header=BB6_4748 Depth=3
	v_cmp_ne_u64_e32 vcc, 0, v[3:4]
                                        ; implicit-def: $vgpr28
	s_and_saveexec_b64 s[30:31], vcc
	s_xor_b64 vcc, exec, s[30:31]
; %bb.5932:                             ;   in Loop: Header=BB6_4748 Depth=3
	v_or_b32_sdwa v28, v5, s83 dst_sel:DWORD dst_unused:UNUSED_PAD src0_sel:BYTE_3 src1_sel:DWORD
                                        ; implicit-def: $vgpr5
; %bb.5933:                             ;   in Loop: Header=BB6_4748 Depth=3
	s_andn2_saveexec_b64 s[30:31], vcc
; %bb.5934:                             ;   in Loop: Header=BB6_4748 Depth=3
	v_cmp_lt_i32_e32 vcc, -1, v5
	v_bfrev_b32_e32 v0, 0.5
	v_mov_b32_e32 v3, 0x7c
	v_cndmask_b32_e32 v28, v0, v3, vcc
; %bb.5935:                             ;   in Loop: Header=BB6_4748 Depth=3
	s_or_b64 exec, exec, s[30:31]
.LBB6_5936:                             ;   in Loop: Header=BB6_4748 Depth=3
	s_or_b64 exec, exec, s[28:29]
	v_lshrrev_b16_e32 v3, 8, v20
	v_cmp_ne_u16_e32 vcc, 0, v3
	v_mov_b32_e32 v0, 0
	v_mov_b32_e32 v5, 0
	s_and_saveexec_b64 s[28:29], vcc
	s_cbranch_execz .LBB6_5944
; %bb.5937:                             ;   in Loop: Header=BB6_4748 Depth=3
	v_cmp_ne_u16_e32 vcc, s44, v3
	v_bfrev_b32_e32 v5, 1
	s_and_saveexec_b64 s[30:31], vcc
	s_cbranch_execz .LBB6_5943
; %bb.5938:                             ;   in Loop: Header=BB6_4748 Depth=3
	v_and_b32_e32 v4, 0x7c, v3
	v_and_b32_e32 v6, 3, v3
	v_cmp_ne_u32_e32 vcc, s81, v4
                                        ; implicit-def: $vgpr5
	s_and_saveexec_b64 s[34:35], vcc
	s_xor_b64 s[34:35], exec, s[34:35]
	s_cbranch_execz .LBB6_5940
; %bb.5939:                             ;   in Loop: Header=BB6_4748 Depth=3
	v_ffbh_u32_e32 v29, v6
	v_min_u32_e32 v29, 32, v29
	v_mov_b32_e32 v4, v34
	v_subrev_u32_e32 v32, 29, v29
	v_bfe_u32 v5, v3, 2, 5
	v_lshlrev_b64 v[3:4], v32, v[3:4]
	v_sub_u32_e32 v4, 30, v29
	v_cmp_eq_u32_e32 vcc, 0, v5
	v_cndmask_b32_e32 v4, v5, v4, vcc
	v_lshlrev_b32_e32 v5, 16, v20
	v_and_b32_e32 v3, 3, v3
	v_and_b32_e32 v5, 0x80000000, v5
	v_cndmask_b32_e32 v3, v6, v3, vcc
	v_lshl_add_u32 v4, v4, 23, v5
	v_lshl_or_b32 v3, v3, 21, v4
	v_add_u32_e32 v5, 0x38000000, v3
                                        ; implicit-def: $vgpr6
.LBB6_5940:                             ;   in Loop: Header=BB6_4748 Depth=3
	s_andn2_saveexec_b64 s[34:35], s[34:35]
; %bb.5941:                             ;   in Loop: Header=BB6_4748 Depth=3
	v_cmp_lt_i16_e32 vcc, -1, v20
	v_mov_b32_e32 v3, 0xff800000
	v_mov_b32_e32 v4, 0x7f800000
	v_cndmask_b32_e32 v3, v3, v4, vcc
	v_cmp_eq_u32_e32 vcc, 0, v6
	v_mov_b32_e32 v4, 0x7f800001
	v_cndmask_b32_e32 v5, v4, v3, vcc
; %bb.5942:                             ;   in Loop: Header=BB6_4748 Depth=3
	s_or_b64 exec, exec, s[34:35]
.LBB6_5943:                             ;   in Loop: Header=BB6_4748 Depth=3
	s_or_b64 exec, exec, s[30:31]
.LBB6_5944:                             ;   in Loop: Header=BB6_4748 Depth=3
	s_or_b64 exec, exec, s[28:29]
	v_lshrrev_b16_e32 v3, 8, v16
	v_cmp_ne_u16_e32 vcc, 0, v3
	s_and_saveexec_b64 s[28:29], vcc
	s_cbranch_execz .LBB6_5952
; %bb.5945:                             ;   in Loop: Header=BB6_4748 Depth=3
	v_cmp_ne_u16_e32 vcc, s44, v3
	v_bfrev_b32_e32 v0, 1
	s_and_saveexec_b64 s[30:31], vcc
	s_cbranch_execz .LBB6_5951
; %bb.5946:                             ;   in Loop: Header=BB6_4748 Depth=3
	v_and_b32_e32 v0, 0x7c, v3
	v_and_b32_e32 v6, 3, v3
	v_cmp_ne_u32_e32 vcc, s81, v0
                                        ; implicit-def: $vgpr0
	s_and_saveexec_b64 s[34:35], vcc
	s_xor_b64 s[34:35], exec, s[34:35]
	s_cbranch_execz .LBB6_5948
; %bb.5947:                             ;   in Loop: Header=BB6_4748 Depth=3
	v_ffbh_u32_e32 v29, v6
	v_min_u32_e32 v29, 32, v29
	v_mov_b32_e32 v4, v34
	v_subrev_u32_e32 v32, 29, v29
	v_bfe_u32 v0, v3, 2, 5
	v_lshlrev_b64 v[3:4], v32, v[3:4]
	v_sub_u32_e32 v4, 30, v29
	v_cmp_eq_u32_e32 vcc, 0, v0
	v_cndmask_b32_e32 v0, v0, v4, vcc
	v_lshlrev_b32_e32 v4, 16, v16
	v_and_b32_e32 v3, 3, v3
	v_and_b32_e32 v4, 0x80000000, v4
	v_cndmask_b32_e32 v3, v6, v3, vcc
	v_lshl_add_u32 v0, v0, 23, v4
	v_lshl_or_b32 v0, v3, 21, v0
	v_add_u32_e32 v0, 0x38000000, v0
                                        ; implicit-def: $vgpr6
.LBB6_5948:                             ;   in Loop: Header=BB6_4748 Depth=3
	s_andn2_saveexec_b64 s[34:35], s[34:35]
; %bb.5949:                             ;   in Loop: Header=BB6_4748 Depth=3
	v_cmp_lt_i16_e32 vcc, -1, v16
	v_mov_b32_e32 v0, 0xff800000
	v_mov_b32_e32 v3, 0x7f800000
	v_cndmask_b32_e32 v0, v0, v3, vcc
	v_cmp_eq_u32_e32 vcc, 0, v6
	v_mov_b32_e32 v3, 0x7f800001
	v_cndmask_b32_e32 v0, v3, v0, vcc
; %bb.5950:                             ;   in Loop: Header=BB6_4748 Depth=3
	s_or_b64 exec, exec, s[34:35]
.LBB6_5951:                             ;   in Loop: Header=BB6_4748 Depth=3
	s_or_b64 exec, exec, s[30:31]
.LBB6_5952:                             ;   in Loop: Header=BB6_4748 Depth=3
	s_or_b64 exec, exec, s[28:29]
	v_mul_f32_e32 v5, v5, v0
	v_and_b32_e32 v36, 0x7f800000, v5
	v_mov_b32_e32 v37, v34
	v_cmp_ne_u64_e32 vcc, s[76:77], v[36:37]
	v_and_b32_e32 v3, 0x7fffff, v5
	v_mov_b32_e32 v4, v34
                                        ; implicit-def: $vgpr29
	s_and_saveexec_b64 s[28:29], vcc
	s_xor_b64 s[30:31], exec, s[28:29]
	s_cbranch_execz .LBB6_5966
; %bb.5953:                             ;   in Loop: Header=BB6_4748 Depth=3
	v_and_b32_e32 v36, 0x7fffffff, v5
	v_mov_b32_e32 v37, v34
	v_cmp_gt_u64_e32 vcc, s[78:79], v[36:37]
	v_and_b32_sdwa v0, v5, s44 dst_sel:DWORD dst_unused:UNUSED_PAD src0_sel:BYTE_3 src1_sel:DWORD
                                        ; implicit-def: $vgpr29
	s_and_saveexec_b64 s[28:29], vcc
	s_xor_b64 s[34:35], exec, s[28:29]
	s_cbranch_execz .LBB6_5963
; %bb.5954:                             ;   in Loop: Header=BB6_4748 Depth=3
	v_mov_b32_e32 v29, 0
	v_cmp_ne_u32_e32 vcc, 0, v5
	s_and_saveexec_b64 s[36:37], vcc
	s_cbranch_execz .LBB6_5962
; %bb.5955:                             ;   in Loop: Header=BB6_4748 Depth=3
	v_bfe_u32 v6, v5, 23, 8
	v_cmp_gt_u32_e64 s[28:29], s45, v6
	v_sub_u32_e32 v5, 0x71, v6
	v_cmp_eq_u32_e32 vcc, 0, v6
	v_cndmask_b32_e64 v5, 0, v5, s[28:29]
	v_mov_b32_e32 v29, 0x70
	v_cndmask_b32_e32 v29, v5, v29, vcc
	v_add_u32_e32 v5, 21, v29
	v_or_b32_e32 v32, 0x800000, v3
	v_lshlrev_b64 v[36:37], v5, -1
	v_cndmask_b32_e32 v3, v32, v3, vcc
	v_add_u32_e32 v5, 20, v29
	v_bfi_b32 v36, v36, 0, v3
	v_lshlrev_b64 v[38:39], v5, 1
	v_lshrrev_b64 v[3:4], v29, v[3:4]
	v_bfi_b32 v37, v37, 0, 0
	v_cmp_eq_u64_e64 s[28:29], v[36:37], v[38:39]
	v_mov_b32_e32 v5, v4
	v_mov_b32_e32 v4, v3
	s_and_saveexec_b64 s[38:39], s[28:29]
; %bb.5956:                             ;   in Loop: Header=BB6_4748 Depth=3
	v_bfe_u32 v4, v3, 21, 1
	v_add_co_u32_e64 v4, s[28:29], v3, v4
	v_add_co_u32_e64 v4, s[28:29], -1, v4
; %bb.5957:                             ;   in Loop: Header=BB6_4748 Depth=3
	s_or_b64 exec, exec, s[38:39]
	v_add_u32_e32 v5, 0xffffff81, v6
	v_mov_b32_e32 v6, 0xffffff82
	v_cndmask_b32_e32 v5, v5, v6, vcc
	v_lshrrev_b32_e32 v6, 23, v3
	v_add3_u32 v29, v29, v5, v6
	v_add_u32_e32 v6, 14, v29
	v_and_b32_e32 v4, 0x1fffff, v4
	v_add_u32_e32 v3, v4, v3
	v_mov_b32_e32 v4, v34
	v_cmp_ne_u32_e32 vcc, 0, v6
                                        ; implicit-def: $vgpr5
	s_and_saveexec_b64 s[28:29], vcc
	s_xor_b64 s[28:29], exec, s[28:29]
; %bb.5958:                             ;   in Loop: Header=BB6_4748 Depth=3
	v_cmp_lt_u64_e32 vcc, s[88:89], v[3:4]
	v_add_u32_e32 v5, 15, v29
	v_cndmask_b32_e32 v5, v6, v5, vcc
	v_cndmask_b32_e64 v6, 0, 1, vcc
	v_lshrrev_b64 v[3:4], v6, v[3:4]
; %bb.5959:                             ;   in Loop: Header=BB6_4748 Depth=3
	s_andn2_saveexec_b64 s[28:29], s[28:29]
; %bb.5960:                             ;   in Loop: Header=BB6_4748 Depth=3
	v_bfe_u32 v5, v3, 23, 1
; %bb.5961:                             ;   in Loop: Header=BB6_4748 Depth=3
	s_or_b64 exec, exec, s[28:29]
	v_lshrrev_b64 v[3:4], 21, v[3:4]
	v_cmp_gt_i32_e32 vcc, 32, v5
	v_cndmask_b32_e32 v4, 0, v4, vcc
	v_cndmask_b32_e32 v3, 3, v3, vcc
	v_cmp_eq_u64_e64 s[28:29], 0, v[3:4]
	v_min_i32_e32 v4, 31, v5
	v_lshlrev_b32_e32 v4, 2, v4
	v_cmp_eq_u32_e32 vcc, 0, v5
	v_and_b32_e32 v4, 0xfc, v4
	v_and_or_b32 v3, v3, 3, v4
	s_and_b64 s[28:29], vcc, s[28:29]
	v_cndmask_b32_e64 v3, v3, 0, s[28:29]
	v_or_b32_e32 v29, v3, v0
.LBB6_5962:                             ;   in Loop: Header=BB6_4748 Depth=3
	s_or_b64 exec, exec, s[36:37]
                                        ; implicit-def: $vgpr0
.LBB6_5963:                             ;   in Loop: Header=BB6_4748 Depth=3
	s_andn2_saveexec_b64 s[28:29], s[34:35]
; %bb.5964:                             ;   in Loop: Header=BB6_4748 Depth=3
	v_or_b32_e32 v29, 0x7b, v0
; %bb.5965:                             ;   in Loop: Header=BB6_4748 Depth=3
	s_or_b64 exec, exec, s[28:29]
                                        ; implicit-def: $vgpr5
                                        ; implicit-def: $vgpr3_vgpr4
.LBB6_5966:                             ;   in Loop: Header=BB6_4748 Depth=3
	s_andn2_saveexec_b64 s[28:29], s[30:31]
	s_cbranch_execz .LBB6_5972
; %bb.5967:                             ;   in Loop: Header=BB6_4748 Depth=3
	v_cmp_ne_u64_e32 vcc, 0, v[3:4]
                                        ; implicit-def: $vgpr29
	s_and_saveexec_b64 s[30:31], vcc
	s_xor_b64 vcc, exec, s[30:31]
; %bb.5968:                             ;   in Loop: Header=BB6_4748 Depth=3
	v_or_b32_sdwa v29, v5, s83 dst_sel:DWORD dst_unused:UNUSED_PAD src0_sel:BYTE_3 src1_sel:DWORD
                                        ; implicit-def: $vgpr5
; %bb.5969:                             ;   in Loop: Header=BB6_4748 Depth=3
	s_andn2_saveexec_b64 s[30:31], vcc
; %bb.5970:                             ;   in Loop: Header=BB6_4748 Depth=3
	v_cmp_lt_i32_e32 vcc, -1, v5
	v_bfrev_b32_e32 v0, 0.5
	v_mov_b32_e32 v3, 0x7c
	v_cndmask_b32_e32 v29, v0, v3, vcc
; %bb.5971:                             ;   in Loop: Header=BB6_4748 Depth=3
	s_or_b64 exec, exec, s[30:31]
.LBB6_5972:                             ;   in Loop: Header=BB6_4748 Depth=3
	s_or_b64 exec, exec, s[28:29]
	v_lshrrev_b32_e32 v0, 16, v20
	v_cmp_ne_u16_sdwa vcc, v0, v34 src0_sel:BYTE_0 src1_sel:DWORD
	v_mov_b32_e32 v3, 0
	v_mov_b32_e32 v4, 0
	s_and_saveexec_b64 s[28:29], vcc
	s_cbranch_execz .LBB6_5980
; %bb.5973:                             ;   in Loop: Header=BB6_4748 Depth=3
	v_cmp_ne_u16_sdwa vcc, v0, s44 src0_sel:BYTE_0 src1_sel:DWORD
	v_bfrev_b32_e32 v4, 1
	s_and_saveexec_b64 s[30:31], vcc
	s_cbranch_execz .LBB6_5979
; %bb.5974:                             ;   in Loop: Header=BB6_4748 Depth=3
	v_and_b32_e32 v4, 0x7c0000, v20
	v_bfe_u32 v5, v20, 16, 2
	v_cmp_ne_u32_e32 vcc, s9, v4
                                        ; implicit-def: $vgpr4
	s_and_saveexec_b64 s[34:35], vcc
	s_xor_b64 s[34:35], exec, s[34:35]
	s_cbranch_execz .LBB6_5976
; %bb.5975:                             ;   in Loop: Header=BB6_4748 Depth=3
	v_ffbh_u32_e32 v6, v5
	v_min_u32_e32 v6, 32, v6
	v_subrev_u32_e32 v32, 29, v6
	v_lshlrev_b64 v[36:37], v32, v[0:1]
	v_bfe_u32 v4, v20, 18, 5
	v_sub_u32_e32 v0, 30, v6
	v_and_b32_e32 v6, 3, v36
	v_cmp_eq_u32_e32 vcc, 0, v4
	v_cndmask_b32_e32 v0, v4, v0, vcc
	v_cndmask_b32_e32 v4, v5, v6, vcc
	v_lshlrev_b32_e32 v5, 8, v20
	v_and_b32_e32 v5, 0x80000000, v5
	v_lshl_add_u32 v0, v0, 23, v5
	v_lshl_or_b32 v0, v4, 21, v0
	v_add_u32_e32 v4, 0x38000000, v0
                                        ; implicit-def: $vgpr5
                                        ; implicit-def: $vgpr0
.LBB6_5976:                             ;   in Loop: Header=BB6_4748 Depth=3
	s_andn2_saveexec_b64 s[34:35], s[34:35]
; %bb.5977:                             ;   in Loop: Header=BB6_4748 Depth=3
	v_mov_b32_e32 v4, -1
	v_cmp_gt_i16_sdwa vcc, sext(v0), v4 src0_sel:BYTE_0 src1_sel:DWORD
	v_mov_b32_e32 v0, 0xff800000
	v_mov_b32_e32 v4, 0x7f800000
	v_cndmask_b32_e32 v0, v0, v4, vcc
	v_cmp_eq_u32_e32 vcc, 0, v5
	v_mov_b32_e32 v4, 0x7f800001
	v_cndmask_b32_e32 v4, v4, v0, vcc
; %bb.5978:                             ;   in Loop: Header=BB6_4748 Depth=3
	s_or_b64 exec, exec, s[34:35]
.LBB6_5979:                             ;   in Loop: Header=BB6_4748 Depth=3
	s_or_b64 exec, exec, s[30:31]
.LBB6_5980:                             ;   in Loop: Header=BB6_4748 Depth=3
	s_or_b64 exec, exec, s[28:29]
	v_lshrrev_b32_e32 v0, 16, v16
	v_cmp_ne_u16_sdwa vcc, v0, v34 src0_sel:BYTE_0 src1_sel:DWORD
	s_and_saveexec_b64 s[28:29], vcc
	s_cbranch_execz .LBB6_5988
; %bb.5981:                             ;   in Loop: Header=BB6_4748 Depth=3
	v_cmp_ne_u16_sdwa vcc, v0, s44 src0_sel:BYTE_0 src1_sel:DWORD
	v_bfrev_b32_e32 v3, 1
	s_and_saveexec_b64 s[30:31], vcc
	s_cbranch_execz .LBB6_5987
; %bb.5982:                             ;   in Loop: Header=BB6_4748 Depth=3
	v_and_b32_e32 v3, 0x7c0000, v16
	v_bfe_u32 v5, v16, 16, 2
	v_cmp_ne_u32_e32 vcc, s9, v3
                                        ; implicit-def: $vgpr3
	s_and_saveexec_b64 s[34:35], vcc
	s_xor_b64 s[34:35], exec, s[34:35]
	s_cbranch_execz .LBB6_5984
; %bb.5983:                             ;   in Loop: Header=BB6_4748 Depth=3
	v_ffbh_u32_e32 v6, v5
	v_min_u32_e32 v6, 32, v6
	v_subrev_u32_e32 v32, 29, v6
	v_lshlrev_b64 v[36:37], v32, v[0:1]
	v_bfe_u32 v3, v16, 18, 5
	v_sub_u32_e32 v0, 30, v6
	v_and_b32_e32 v6, 3, v36
	v_cmp_eq_u32_e32 vcc, 0, v3
	v_cndmask_b32_e32 v0, v3, v0, vcc
	v_cndmask_b32_e32 v3, v5, v6, vcc
	v_lshlrev_b32_e32 v5, 8, v16
	v_and_b32_e32 v5, 0x80000000, v5
	v_lshl_add_u32 v0, v0, 23, v5
	v_lshl_or_b32 v0, v3, 21, v0
	v_add_u32_e32 v3, 0x38000000, v0
                                        ; implicit-def: $vgpr5
                                        ; implicit-def: $vgpr0
.LBB6_5984:                             ;   in Loop: Header=BB6_4748 Depth=3
	s_andn2_saveexec_b64 s[34:35], s[34:35]
; %bb.5985:                             ;   in Loop: Header=BB6_4748 Depth=3
	v_mov_b32_e32 v3, -1
	v_cmp_gt_i16_sdwa vcc, sext(v0), v3 src0_sel:BYTE_0 src1_sel:DWORD
	v_mov_b32_e32 v0, 0xff800000
	v_mov_b32_e32 v3, 0x7f800000
	v_cndmask_b32_e32 v0, v0, v3, vcc
	v_cmp_eq_u32_e32 vcc, 0, v5
	v_mov_b32_e32 v3, 0x7f800001
	v_cndmask_b32_e32 v3, v3, v0, vcc
; %bb.5986:                             ;   in Loop: Header=BB6_4748 Depth=3
	s_or_b64 exec, exec, s[34:35]
.LBB6_5987:                             ;   in Loop: Header=BB6_4748 Depth=3
	s_or_b64 exec, exec, s[30:31]
.LBB6_5988:                             ;   in Loop: Header=BB6_4748 Depth=3
	s_or_b64 exec, exec, s[28:29]
	v_mul_f32_e32 v5, v4, v3
	v_and_b32_e32 v36, 0x7f800000, v5
	v_mov_b32_e32 v37, v34
	v_cmp_ne_u64_e32 vcc, s[76:77], v[36:37]
	v_and_b32_e32 v3, 0x7fffff, v5
	v_mov_b32_e32 v4, v34
                                        ; implicit-def: $vgpr55
	s_and_saveexec_b64 s[28:29], vcc
	s_xor_b64 s[30:31], exec, s[28:29]
	s_cbranch_execz .LBB6_6002
; %bb.5989:                             ;   in Loop: Header=BB6_4748 Depth=3
	v_and_b32_e32 v36, 0x7fffffff, v5
	v_mov_b32_e32 v37, v34
	v_cmp_gt_u64_e32 vcc, s[78:79], v[36:37]
	v_and_b32_sdwa v0, v5, s44 dst_sel:DWORD dst_unused:UNUSED_PAD src0_sel:BYTE_3 src1_sel:DWORD
                                        ; implicit-def: $vgpr55
	s_and_saveexec_b64 s[28:29], vcc
	s_xor_b64 s[34:35], exec, s[28:29]
	s_cbranch_execz .LBB6_5999
; %bb.5990:                             ;   in Loop: Header=BB6_4748 Depth=3
	v_mov_b32_e32 v55, 0
	v_cmp_ne_u32_e32 vcc, 0, v5
	s_and_saveexec_b64 s[36:37], vcc
	s_cbranch_execz .LBB6_5998
; %bb.5991:                             ;   in Loop: Header=BB6_4748 Depth=3
	v_bfe_u32 v6, v5, 23, 8
	v_cmp_gt_u32_e64 s[28:29], s45, v6
	v_sub_u32_e32 v5, 0x71, v6
	v_cmp_eq_u32_e32 vcc, 0, v6
	v_cndmask_b32_e64 v5, 0, v5, s[28:29]
	v_mov_b32_e32 v33, 0x70
	v_cndmask_b32_e32 v36, v5, v33, vcc
	v_add_u32_e32 v5, 21, v36
	v_or_b32_e32 v32, 0x800000, v3
	v_lshlrev_b64 v[37:38], v5, -1
	v_cndmask_b32_e32 v3, v32, v3, vcc
	v_add_u32_e32 v5, 20, v36
	v_bfi_b32 v37, v37, 0, v3
	v_lshlrev_b64 v[48:49], v5, 1
	v_lshrrev_b64 v[3:4], v36, v[3:4]
	v_bfi_b32 v38, v38, 0, 0
	v_cmp_eq_u64_e64 s[28:29], v[37:38], v[48:49]
	v_mov_b32_e32 v5, v4
	v_mov_b32_e32 v4, v3
	s_and_saveexec_b64 s[38:39], s[28:29]
; %bb.5992:                             ;   in Loop: Header=BB6_4748 Depth=3
	v_bfe_u32 v4, v3, 21, 1
	v_add_co_u32_e64 v4, s[28:29], v3, v4
	v_add_co_u32_e64 v4, s[28:29], -1, v4
; %bb.5993:                             ;   in Loop: Header=BB6_4748 Depth=3
	s_or_b64 exec, exec, s[38:39]
	v_add_u32_e32 v5, 0xffffff81, v6
	v_mov_b32_e32 v6, 0xffffff82
	v_cndmask_b32_e32 v5, v5, v6, vcc
	v_lshrrev_b32_e32 v6, 23, v3
	v_add3_u32 v36, v36, v5, v6
	v_add_u32_e32 v6, 14, v36
	v_and_b32_e32 v4, 0x1fffff, v4
	v_add_u32_e32 v3, v4, v3
	v_mov_b32_e32 v4, v34
	v_cmp_ne_u32_e32 vcc, 0, v6
                                        ; implicit-def: $vgpr5
	s_and_saveexec_b64 s[28:29], vcc
	s_xor_b64 s[28:29], exec, s[28:29]
; %bb.5994:                             ;   in Loop: Header=BB6_4748 Depth=3
	v_cmp_lt_u64_e32 vcc, s[88:89], v[3:4]
	v_add_u32_e32 v5, 15, v36
	v_cndmask_b32_e32 v5, v6, v5, vcc
	v_cndmask_b32_e64 v6, 0, 1, vcc
	v_lshrrev_b64 v[3:4], v6, v[3:4]
; %bb.5995:                             ;   in Loop: Header=BB6_4748 Depth=3
	s_andn2_saveexec_b64 s[28:29], s[28:29]
; %bb.5996:                             ;   in Loop: Header=BB6_4748 Depth=3
	v_bfe_u32 v5, v3, 23, 1
; %bb.5997:                             ;   in Loop: Header=BB6_4748 Depth=3
	s_or_b64 exec, exec, s[28:29]
	v_lshrrev_b64 v[3:4], 21, v[3:4]
	v_cmp_gt_i32_e32 vcc, 32, v5
	v_cndmask_b32_e32 v4, 0, v4, vcc
	v_cndmask_b32_e32 v3, 3, v3, vcc
	v_cmp_eq_u64_e64 s[28:29], 0, v[3:4]
	v_min_i32_e32 v4, 31, v5
	v_lshlrev_b32_e32 v4, 2, v4
	v_cmp_eq_u32_e32 vcc, 0, v5
	v_and_b32_e32 v4, 0xfc, v4
	v_and_or_b32 v3, v3, 3, v4
	s_and_b64 s[28:29], vcc, s[28:29]
	v_cndmask_b32_e64 v3, v3, 0, s[28:29]
	v_or_b32_e32 v55, v3, v0
.LBB6_5998:                             ;   in Loop: Header=BB6_4748 Depth=3
	s_or_b64 exec, exec, s[36:37]
                                        ; implicit-def: $vgpr0
.LBB6_5999:                             ;   in Loop: Header=BB6_4748 Depth=3
	s_andn2_saveexec_b64 s[28:29], s[34:35]
; %bb.6000:                             ;   in Loop: Header=BB6_4748 Depth=3
	v_or_b32_e32 v55, 0x7b, v0
; %bb.6001:                             ;   in Loop: Header=BB6_4748 Depth=3
	s_or_b64 exec, exec, s[28:29]
                                        ; implicit-def: $vgpr5
                                        ; implicit-def: $vgpr3_vgpr4
.LBB6_6002:                             ;   in Loop: Header=BB6_4748 Depth=3
	s_andn2_saveexec_b64 s[28:29], s[30:31]
	s_cbranch_execz .LBB6_6008
; %bb.6003:                             ;   in Loop: Header=BB6_4748 Depth=3
	v_cmp_ne_u64_e32 vcc, 0, v[3:4]
                                        ; implicit-def: $vgpr55
	s_and_saveexec_b64 s[30:31], vcc
	s_xor_b64 vcc, exec, s[30:31]
; %bb.6004:                             ;   in Loop: Header=BB6_4748 Depth=3
	v_or_b32_sdwa v55, v5, s83 dst_sel:DWORD dst_unused:UNUSED_PAD src0_sel:BYTE_3 src1_sel:DWORD
                                        ; implicit-def: $vgpr5
; %bb.6005:                             ;   in Loop: Header=BB6_4748 Depth=3
	s_andn2_saveexec_b64 s[30:31], vcc
; %bb.6006:                             ;   in Loop: Header=BB6_4748 Depth=3
	v_cmp_lt_i32_e32 vcc, -1, v5
	v_bfrev_b32_e32 v0, 0.5
	v_mov_b32_e32 v3, 0x7c
	v_cndmask_b32_e32 v55, v0, v3, vcc
; %bb.6007:                             ;   in Loop: Header=BB6_4748 Depth=3
	s_or_b64 exec, exec, s[30:31]
.LBB6_6008:                             ;   in Loop: Header=BB6_4748 Depth=3
	s_or_b64 exec, exec, s[28:29]
	v_cmp_lt_u32_e32 vcc, s57, v20
	v_mov_b32_e32 v3, 0
	v_mov_b32_e32 v4, 0
	s_and_saveexec_b64 s[28:29], vcc
	s_cbranch_execz .LBB6_6016
; %bb.6009:                             ;   in Loop: Header=BB6_4748 Depth=3
	v_lshrrev_b32_e32 v0, 24, v20
	v_cmp_ne_u32_e32 vcc, s44, v0
	v_bfrev_b32_e32 v4, 1
	s_and_saveexec_b64 s[30:31], vcc
	s_cbranch_execz .LBB6_6015
; %bb.6010:                             ;   in Loop: Header=BB6_4748 Depth=3
	v_and_b32_e32 v4, 0x7c000000, v20
	v_bfe_u32 v5, v20, 24, 2
	v_cmp_ne_u32_e32 vcc, s8, v4
                                        ; implicit-def: $vgpr4
	s_and_saveexec_b64 s[34:35], vcc
	s_xor_b64 s[34:35], exec, s[34:35]
	s_cbranch_execz .LBB6_6012
; %bb.6011:                             ;   in Loop: Header=BB6_4748 Depth=3
	v_ffbh_u32_e32 v6, v5
	v_min_u32_e32 v6, 32, v6
	v_subrev_u32_e32 v32, 29, v6
	v_lshlrev_b64 v[36:37], v32, v[0:1]
	v_bfe_u32 v4, v20, 26, 5
	v_sub_u32_e32 v0, 30, v6
	v_and_b32_e32 v6, 3, v36
	v_cmp_eq_u32_e32 vcc, 0, v4
	v_cndmask_b32_e32 v0, v4, v0, vcc
	v_cndmask_b32_e32 v4, v5, v6, vcc
	v_and_b32_e32 v5, 0x80000000, v20
	v_lshl_add_u32 v0, v0, 23, v5
	v_lshl_or_b32 v0, v4, 21, v0
	v_add_u32_e32 v4, 0x38000000, v0
                                        ; implicit-def: $vgpr5
.LBB6_6012:                             ;   in Loop: Header=BB6_4748 Depth=3
	s_andn2_saveexec_b64 s[34:35], s[34:35]
; %bb.6013:                             ;   in Loop: Header=BB6_4748 Depth=3
	v_cmp_lt_i32_e32 vcc, -1, v20
	v_mov_b32_e32 v0, 0xff800000
	v_mov_b32_e32 v4, 0x7f800000
	v_cndmask_b32_e32 v0, v0, v4, vcc
	v_cmp_eq_u32_e32 vcc, 0, v5
	v_mov_b32_e32 v4, 0x7f800001
	v_cndmask_b32_e32 v4, v4, v0, vcc
; %bb.6014:                             ;   in Loop: Header=BB6_4748 Depth=3
	s_or_b64 exec, exec, s[34:35]
.LBB6_6015:                             ;   in Loop: Header=BB6_4748 Depth=3
	s_or_b64 exec, exec, s[30:31]
.LBB6_6016:                             ;   in Loop: Header=BB6_4748 Depth=3
	s_or_b64 exec, exec, s[28:29]
	v_cmp_lt_u32_e32 vcc, s57, v16
	s_and_saveexec_b64 s[28:29], vcc
	s_cbranch_execz .LBB6_6024
; %bb.6017:                             ;   in Loop: Header=BB6_4748 Depth=3
	v_lshrrev_b32_e32 v0, 24, v16
	v_cmp_ne_u32_e32 vcc, s44, v0
	v_bfrev_b32_e32 v3, 1
	s_and_saveexec_b64 s[30:31], vcc
	s_cbranch_execz .LBB6_6023
; %bb.6018:                             ;   in Loop: Header=BB6_4748 Depth=3
	v_and_b32_e32 v3, 0x7c000000, v16
	v_bfe_u32 v5, v16, 24, 2
	v_cmp_ne_u32_e32 vcc, s8, v3
                                        ; implicit-def: $vgpr3
	s_and_saveexec_b64 s[34:35], vcc
	s_xor_b64 s[34:35], exec, s[34:35]
	s_cbranch_execz .LBB6_6020
; %bb.6019:                             ;   in Loop: Header=BB6_4748 Depth=3
	v_ffbh_u32_e32 v6, v5
	v_min_u32_e32 v6, 32, v6
	v_subrev_u32_e32 v32, 29, v6
	v_lshlrev_b64 v[36:37], v32, v[0:1]
	v_bfe_u32 v3, v16, 26, 5
	v_sub_u32_e32 v0, 30, v6
	v_and_b32_e32 v6, 3, v36
	v_cmp_eq_u32_e32 vcc, 0, v3
	v_cndmask_b32_e32 v0, v3, v0, vcc
	v_cndmask_b32_e32 v3, v5, v6, vcc
	v_and_b32_e32 v5, 0x80000000, v16
	v_lshl_add_u32 v0, v0, 23, v5
	v_lshl_or_b32 v0, v3, 21, v0
	v_add_u32_e32 v3, 0x38000000, v0
                                        ; implicit-def: $vgpr5
.LBB6_6020:                             ;   in Loop: Header=BB6_4748 Depth=3
	s_andn2_saveexec_b64 s[34:35], s[34:35]
; %bb.6021:                             ;   in Loop: Header=BB6_4748 Depth=3
	v_cmp_lt_i32_e32 vcc, -1, v16
	v_mov_b32_e32 v0, 0xff800000
	v_mov_b32_e32 v3, 0x7f800000
	v_cndmask_b32_e32 v0, v0, v3, vcc
	v_cmp_eq_u32_e32 vcc, 0, v5
	v_mov_b32_e32 v3, 0x7f800001
	v_cndmask_b32_e32 v3, v3, v0, vcc
; %bb.6022:                             ;   in Loop: Header=BB6_4748 Depth=3
	s_or_b64 exec, exec, s[34:35]
.LBB6_6023:                             ;   in Loop: Header=BB6_4748 Depth=3
	s_or_b64 exec, exec, s[30:31]
.LBB6_6024:                             ;   in Loop: Header=BB6_4748 Depth=3
	s_or_b64 exec, exec, s[28:29]
	v_mul_f32_e32 v5, v4, v3
	v_and_b32_e32 v36, 0x7f800000, v5
	v_mov_b32_e32 v37, v34
	v_cmp_ne_u64_e32 vcc, s[76:77], v[36:37]
	v_and_b32_e32 v3, 0x7fffff, v5
	v_mov_b32_e32 v4, v34
                                        ; implicit-def: $vgpr40
	s_and_saveexec_b64 s[28:29], vcc
	s_xor_b64 s[30:31], exec, s[28:29]
	s_cbranch_execz .LBB6_6038
; %bb.6025:                             ;   in Loop: Header=BB6_4748 Depth=3
	v_and_b32_e32 v36, 0x7fffffff, v5
	v_mov_b32_e32 v37, v34
	v_cmp_gt_u64_e32 vcc, s[78:79], v[36:37]
	v_and_b32_sdwa v0, v5, s44 dst_sel:DWORD dst_unused:UNUSED_PAD src0_sel:BYTE_3 src1_sel:DWORD
                                        ; implicit-def: $vgpr40
	s_and_saveexec_b64 s[28:29], vcc
	s_xor_b64 s[34:35], exec, s[28:29]
	s_cbranch_execz .LBB6_6035
; %bb.6026:                             ;   in Loop: Header=BB6_4748 Depth=3
	v_mov_b32_e32 v40, 0
	v_cmp_ne_u32_e32 vcc, 0, v5
	s_and_saveexec_b64 s[36:37], vcc
	s_cbranch_execz .LBB6_6034
; %bb.6027:                             ;   in Loop: Header=BB6_4748 Depth=3
	v_bfe_u32 v6, v5, 23, 8
	v_cmp_gt_u32_e64 s[28:29], s45, v6
	v_sub_u32_e32 v5, 0x71, v6
	v_cmp_eq_u32_e32 vcc, 0, v6
	v_cndmask_b32_e64 v5, 0, v5, s[28:29]
	v_mov_b32_e32 v33, 0x70
	v_cndmask_b32_e32 v36, v5, v33, vcc
	v_add_u32_e32 v5, 21, v36
	v_or_b32_e32 v32, 0x800000, v3
	v_lshlrev_b64 v[37:38], v5, -1
	v_cndmask_b32_e32 v3, v32, v3, vcc
	v_add_u32_e32 v5, 20, v36
	v_bfi_b32 v37, v37, 0, v3
	v_lshlrev_b64 v[48:49], v5, 1
	v_lshrrev_b64 v[3:4], v36, v[3:4]
	v_bfi_b32 v38, v38, 0, 0
	v_cmp_eq_u64_e64 s[28:29], v[37:38], v[48:49]
	v_mov_b32_e32 v5, v4
	v_mov_b32_e32 v4, v3
	s_and_saveexec_b64 s[38:39], s[28:29]
; %bb.6028:                             ;   in Loop: Header=BB6_4748 Depth=3
	v_bfe_u32 v4, v3, 21, 1
	v_add_co_u32_e64 v4, s[28:29], v3, v4
	v_add_co_u32_e64 v4, s[28:29], -1, v4
; %bb.6029:                             ;   in Loop: Header=BB6_4748 Depth=3
	s_or_b64 exec, exec, s[38:39]
	v_add_u32_e32 v5, 0xffffff81, v6
	v_mov_b32_e32 v6, 0xffffff82
	v_cndmask_b32_e32 v5, v5, v6, vcc
	v_lshrrev_b32_e32 v6, 23, v3
	v_add3_u32 v36, v36, v5, v6
	v_add_u32_e32 v6, 14, v36
	v_and_b32_e32 v4, 0x1fffff, v4
	v_add_u32_e32 v3, v4, v3
	v_mov_b32_e32 v4, v34
	v_cmp_ne_u32_e32 vcc, 0, v6
                                        ; implicit-def: $vgpr5
	s_and_saveexec_b64 s[28:29], vcc
	s_xor_b64 s[28:29], exec, s[28:29]
; %bb.6030:                             ;   in Loop: Header=BB6_4748 Depth=3
	v_cmp_lt_u64_e32 vcc, s[88:89], v[3:4]
	v_add_u32_e32 v5, 15, v36
	v_cndmask_b32_e32 v5, v6, v5, vcc
	v_cndmask_b32_e64 v6, 0, 1, vcc
	v_lshrrev_b64 v[3:4], v6, v[3:4]
; %bb.6031:                             ;   in Loop: Header=BB6_4748 Depth=3
	s_andn2_saveexec_b64 s[28:29], s[28:29]
; %bb.6032:                             ;   in Loop: Header=BB6_4748 Depth=3
	v_bfe_u32 v5, v3, 23, 1
; %bb.6033:                             ;   in Loop: Header=BB6_4748 Depth=3
	s_or_b64 exec, exec, s[28:29]
	v_lshrrev_b64 v[3:4], 21, v[3:4]
	v_cmp_gt_i32_e32 vcc, 32, v5
	v_cndmask_b32_e32 v4, 0, v4, vcc
	v_cndmask_b32_e32 v3, 3, v3, vcc
	v_cmp_eq_u64_e64 s[28:29], 0, v[3:4]
	v_min_i32_e32 v4, 31, v5
	v_lshlrev_b32_e32 v4, 2, v4
	v_cmp_eq_u32_e32 vcc, 0, v5
	v_and_b32_e32 v4, 0xfc, v4
	v_and_or_b32 v3, v3, 3, v4
	s_and_b64 s[28:29], vcc, s[28:29]
	v_cndmask_b32_e64 v3, v3, 0, s[28:29]
	v_or_b32_e32 v40, v3, v0
.LBB6_6034:                             ;   in Loop: Header=BB6_4748 Depth=3
	s_or_b64 exec, exec, s[36:37]
                                        ; implicit-def: $vgpr0
.LBB6_6035:                             ;   in Loop: Header=BB6_4748 Depth=3
	s_andn2_saveexec_b64 s[28:29], s[34:35]
; %bb.6036:                             ;   in Loop: Header=BB6_4748 Depth=3
	v_or_b32_e32 v40, 0x7b, v0
; %bb.6037:                             ;   in Loop: Header=BB6_4748 Depth=3
	s_or_b64 exec, exec, s[28:29]
                                        ; implicit-def: $vgpr5
                                        ; implicit-def: $vgpr3_vgpr4
.LBB6_6038:                             ;   in Loop: Header=BB6_4748 Depth=3
	s_andn2_saveexec_b64 s[28:29], s[30:31]
	s_cbranch_execz .LBB6_6044
; %bb.6039:                             ;   in Loop: Header=BB6_4748 Depth=3
	v_cmp_ne_u64_e32 vcc, 0, v[3:4]
                                        ; implicit-def: $vgpr40
	s_and_saveexec_b64 s[30:31], vcc
	s_xor_b64 vcc, exec, s[30:31]
; %bb.6040:                             ;   in Loop: Header=BB6_4748 Depth=3
	v_or_b32_sdwa v40, v5, s83 dst_sel:DWORD dst_unused:UNUSED_PAD src0_sel:BYTE_3 src1_sel:DWORD
                                        ; implicit-def: $vgpr5
; %bb.6041:                             ;   in Loop: Header=BB6_4748 Depth=3
	s_andn2_saveexec_b64 s[30:31], vcc
; %bb.6042:                             ;   in Loop: Header=BB6_4748 Depth=3
	v_cmp_lt_i32_e32 vcc, -1, v5
	v_bfrev_b32_e32 v0, 0.5
	v_mov_b32_e32 v3, 0x7c
	v_cndmask_b32_e32 v40, v0, v3, vcc
; %bb.6043:                             ;   in Loop: Header=BB6_4748 Depth=3
	s_or_b64 exec, exec, s[30:31]
.LBB6_6044:                             ;   in Loop: Header=BB6_4748 Depth=3
	s_or_b64 exec, exec, s[28:29]
	v_mov_b32_e32 v3, v21
	v_mov_b32_e32 v4, v34
	v_cmp_ne_u16_sdwa vcc, v21, v34 src0_sel:BYTE_0 src1_sel:DWORD
	v_mov_b32_e32 v5, 0
	v_mov_b32_e32 v0, 0
	s_and_saveexec_b64 s[28:29], vcc
	s_cbranch_execz .LBB6_6052
; %bb.6045:                             ;   in Loop: Header=BB6_4748 Depth=3
	v_cmp_ne_u16_sdwa vcc, v21, s44 src0_sel:BYTE_0 src1_sel:DWORD
	v_bfrev_b32_e32 v0, 1
	s_and_saveexec_b64 s[30:31], vcc
	s_cbranch_execz .LBB6_6051
; %bb.6046:                             ;   in Loop: Header=BB6_4748 Depth=3
	v_and_b32_e32 v0, 0x7c, v21
	v_and_b32_e32 v6, 3, v21
	v_cmp_ne_u32_e32 vcc, s81, v0
                                        ; implicit-def: $vgpr0
	s_and_saveexec_b64 s[34:35], vcc
	s_xor_b64 s[34:35], exec, s[34:35]
	s_cbranch_execz .LBB6_6048
; %bb.6047:                             ;   in Loop: Header=BB6_4748 Depth=3
	v_ffbh_u32_e32 v32, v6
	v_min_u32_e32 v32, 32, v32
	v_subrev_u32_e32 v33, 29, v32
	v_lshlrev_b64 v[36:37], v33, v[3:4]
	v_bfe_u32 v0, v21, 2, 5
	v_sub_u32_e32 v4, 30, v32
	v_and_b32_e32 v32, 3, v36
	v_cmp_eq_u32_e32 vcc, 0, v0
	v_cndmask_b32_e32 v0, v0, v4, vcc
	v_cndmask_b32_e32 v4, v6, v32, vcc
	v_lshlrev_b32_e32 v6, 24, v21
	v_and_b32_e32 v6, 0x80000000, v6
	v_lshl_add_u32 v0, v0, 23, v6
	v_lshl_or_b32 v0, v4, 21, v0
	v_add_u32_e32 v0, 0x38000000, v0
                                        ; implicit-def: $vgpr6
.LBB6_6048:                             ;   in Loop: Header=BB6_4748 Depth=3
	s_andn2_saveexec_b64 s[34:35], s[34:35]
; %bb.6049:                             ;   in Loop: Header=BB6_4748 Depth=3
	v_mov_b32_e32 v0, -1
	v_cmp_gt_i16_sdwa vcc, sext(v21), v0 src0_sel:BYTE_0 src1_sel:DWORD
	v_mov_b32_e32 v0, 0xff800000
	v_mov_b32_e32 v4, 0x7f800000
	v_cndmask_b32_e32 v0, v0, v4, vcc
	v_cmp_eq_u32_e32 vcc, 0, v6
	v_mov_b32_e32 v4, 0x7f800001
	v_cndmask_b32_e32 v0, v4, v0, vcc
; %bb.6050:                             ;   in Loop: Header=BB6_4748 Depth=3
	s_or_b64 exec, exec, s[34:35]
.LBB6_6051:                             ;   in Loop: Header=BB6_4748 Depth=3
	s_or_b64 exec, exec, s[30:31]
.LBB6_6052:                             ;   in Loop: Header=BB6_4748 Depth=3
	s_or_b64 exec, exec, s[28:29]
	v_cmp_ne_u16_sdwa vcc, v17, v34 src0_sel:BYTE_0 src1_sel:DWORD
	s_and_saveexec_b64 s[28:29], vcc
	s_cbranch_execz .LBB6_6060
; %bb.6053:                             ;   in Loop: Header=BB6_4748 Depth=3
	v_cmp_ne_u16_sdwa vcc, v17, s44 src0_sel:BYTE_0 src1_sel:DWORD
	v_bfrev_b32_e32 v5, 1
	s_and_saveexec_b64 s[30:31], vcc
	s_cbranch_execz .LBB6_6059
; %bb.6054:                             ;   in Loop: Header=BB6_4748 Depth=3
	v_and_b32_e32 v5, 0x7c, v17
	v_and_b32_e32 v4, 3, v17
	v_cmp_ne_u32_e32 vcc, s81, v5
                                        ; implicit-def: $vgpr5
	s_and_saveexec_b64 s[34:35], vcc
	s_xor_b64 s[34:35], exec, s[34:35]
	s_cbranch_execz .LBB6_6056
; %bb.6055:                             ;   in Loop: Header=BB6_4748 Depth=3
	v_ffbh_u32_e32 v33, v4
	v_min_u32_e32 v33, 32, v33
	v_mov_b32_e32 v5, v17
	v_mov_b32_e32 v6, v34
	v_subrev_u32_e32 v36, 29, v33
	v_lshlrev_b64 v[5:6], v36, v[5:6]
	v_bfe_u32 v32, v17, 2, 5
	v_and_b32_e32 v5, 3, v5
	v_cmp_eq_u32_e32 vcc, 0, v32
	v_sub_u32_e32 v6, 30, v33
	v_cndmask_b32_e32 v4, v4, v5, vcc
	v_lshlrev_b32_e32 v5, 24, v17
	v_cndmask_b32_e32 v6, v32, v6, vcc
	v_and_b32_e32 v5, 0x80000000, v5
	v_lshl_add_u32 v5, v6, 23, v5
	v_lshl_or_b32 v4, v4, 21, v5
	v_add_u32_e32 v5, 0x38000000, v4
                                        ; implicit-def: $vgpr4
.LBB6_6056:                             ;   in Loop: Header=BB6_4748 Depth=3
	s_andn2_saveexec_b64 s[34:35], s[34:35]
; %bb.6057:                             ;   in Loop: Header=BB6_4748 Depth=3
	v_mov_b32_e32 v5, -1
	v_cmp_gt_i16_sdwa vcc, sext(v17), v5 src0_sel:BYTE_0 src1_sel:DWORD
	v_mov_b32_e32 v5, 0xff800000
	v_mov_b32_e32 v6, 0x7f800000
	v_cndmask_b32_e32 v5, v5, v6, vcc
	v_cmp_eq_u32_e32 vcc, 0, v4
	v_mov_b32_e32 v4, 0x7f800001
	v_cndmask_b32_e32 v5, v4, v5, vcc
; %bb.6058:                             ;   in Loop: Header=BB6_4748 Depth=3
	s_or_b64 exec, exec, s[34:35]
.LBB6_6059:                             ;   in Loop: Header=BB6_4748 Depth=3
	s_or_b64 exec, exec, s[30:31]
.LBB6_6060:                             ;   in Loop: Header=BB6_4748 Depth=3
	s_or_b64 exec, exec, s[28:29]
	v_mul_f32_e32 v6, v0, v5
	v_and_b32_e32 v36, 0x7f800000, v6
	v_mov_b32_e32 v37, v34
	v_cmp_ne_u64_e32 vcc, s[76:77], v[36:37]
	v_and_b32_e32 v4, 0x7fffff, v6
	v_mov_b32_e32 v5, v34
                                        ; implicit-def: $vgpr41
	s_and_saveexec_b64 s[28:29], vcc
	s_xor_b64 s[30:31], exec, s[28:29]
	s_cbranch_execz .LBB6_6074
; %bb.6061:                             ;   in Loop: Header=BB6_4748 Depth=3
	v_and_b32_e32 v36, 0x7fffffff, v6
	v_mov_b32_e32 v37, v34
	v_cmp_gt_u64_e32 vcc, s[78:79], v[36:37]
	v_and_b32_sdwa v0, v6, s44 dst_sel:DWORD dst_unused:UNUSED_PAD src0_sel:BYTE_3 src1_sel:DWORD
                                        ; implicit-def: $vgpr41
	s_and_saveexec_b64 s[28:29], vcc
	s_xor_b64 s[34:35], exec, s[28:29]
	s_cbranch_execz .LBB6_6071
; %bb.6062:                             ;   in Loop: Header=BB6_4748 Depth=3
	v_mov_b32_e32 v41, 0
	v_cmp_ne_u32_e32 vcc, 0, v6
	s_and_saveexec_b64 s[36:37], vcc
	s_cbranch_execz .LBB6_6070
; %bb.6063:                             ;   in Loop: Header=BB6_4748 Depth=3
	v_bfe_u32 v36, v6, 23, 8
	v_cmp_gt_u32_e64 s[28:29], s45, v36
	v_sub_u32_e32 v6, 0x71, v36
	v_cmp_eq_u32_e32 vcc, 0, v36
	v_cndmask_b32_e64 v6, 0, v6, s[28:29]
	v_mov_b32_e32 v33, 0x70
	v_cndmask_b32_e32 v37, v6, v33, vcc
	v_add_u32_e32 v6, 21, v37
	v_or_b32_e32 v32, 0x800000, v4
	v_lshlrev_b64 v[38:39], v6, -1
	v_cndmask_b32_e32 v4, v32, v4, vcc
	v_add_u32_e32 v6, 20, v37
	v_bfi_b32 v38, v38, 0, v4
	v_lshlrev_b64 v[48:49], v6, 1
	v_lshrrev_b64 v[4:5], v37, v[4:5]
	v_bfi_b32 v39, v39, 0, 0
	v_cmp_eq_u64_e64 s[28:29], v[38:39], v[48:49]
	v_mov_b32_e32 v6, v5
	v_mov_b32_e32 v5, v4
	s_and_saveexec_b64 s[38:39], s[28:29]
; %bb.6064:                             ;   in Loop: Header=BB6_4748 Depth=3
	v_bfe_u32 v5, v4, 21, 1
	v_add_co_u32_e64 v5, s[28:29], v4, v5
	v_add_co_u32_e64 v5, s[28:29], -1, v5
; %bb.6065:                             ;   in Loop: Header=BB6_4748 Depth=3
	s_or_b64 exec, exec, s[38:39]
	v_add_u32_e32 v6, 0xffffff81, v36
	v_mov_b32_e32 v32, 0xffffff82
	v_cndmask_b32_e32 v6, v6, v32, vcc
	v_lshrrev_b32_e32 v32, 23, v4
	v_add3_u32 v37, v37, v6, v32
	v_add_u32_e32 v36, 14, v37
	v_and_b32_e32 v5, 0x1fffff, v5
	v_add_u32_e32 v4, v5, v4
	v_mov_b32_e32 v5, v34
	v_cmp_ne_u32_e32 vcc, 0, v36
                                        ; implicit-def: $vgpr6
	s_and_saveexec_b64 s[28:29], vcc
	s_xor_b64 s[28:29], exec, s[28:29]
; %bb.6066:                             ;   in Loop: Header=BB6_4748 Depth=3
	v_cmp_lt_u64_e32 vcc, s[88:89], v[4:5]
	v_add_u32_e32 v6, 15, v37
	v_cndmask_b32_e64 v32, 0, 1, vcc
	v_lshrrev_b64 v[4:5], v32, v[4:5]
	v_cndmask_b32_e32 v6, v36, v6, vcc
; %bb.6067:                             ;   in Loop: Header=BB6_4748 Depth=3
	s_andn2_saveexec_b64 s[28:29], s[28:29]
; %bb.6068:                             ;   in Loop: Header=BB6_4748 Depth=3
	v_bfe_u32 v6, v4, 23, 1
; %bb.6069:                             ;   in Loop: Header=BB6_4748 Depth=3
	s_or_b64 exec, exec, s[28:29]
	v_lshrrev_b64 v[4:5], 21, v[4:5]
	v_cmp_gt_i32_e32 vcc, 32, v6
	v_cndmask_b32_e32 v5, 0, v5, vcc
	v_cndmask_b32_e32 v4, 3, v4, vcc
	v_cmp_eq_u64_e64 s[28:29], 0, v[4:5]
	v_min_i32_e32 v5, 31, v6
	v_lshlrev_b32_e32 v5, 2, v5
	v_cmp_eq_u32_e32 vcc, 0, v6
	v_and_b32_e32 v5, 0xfc, v5
	v_and_or_b32 v4, v4, 3, v5
	s_and_b64 s[28:29], vcc, s[28:29]
	v_cndmask_b32_e64 v4, v4, 0, s[28:29]
	v_or_b32_e32 v41, v4, v0
.LBB6_6070:                             ;   in Loop: Header=BB6_4748 Depth=3
	s_or_b64 exec, exec, s[36:37]
                                        ; implicit-def: $vgpr0
.LBB6_6071:                             ;   in Loop: Header=BB6_4748 Depth=3
	s_andn2_saveexec_b64 s[28:29], s[34:35]
; %bb.6072:                             ;   in Loop: Header=BB6_4748 Depth=3
	v_or_b32_e32 v41, 0x7b, v0
; %bb.6073:                             ;   in Loop: Header=BB6_4748 Depth=3
	s_or_b64 exec, exec, s[28:29]
                                        ; implicit-def: $vgpr6
                                        ; implicit-def: $vgpr4_vgpr5
.LBB6_6074:                             ;   in Loop: Header=BB6_4748 Depth=3
	s_andn2_saveexec_b64 s[28:29], s[30:31]
	s_cbranch_execz .LBB6_6080
; %bb.6075:                             ;   in Loop: Header=BB6_4748 Depth=3
	v_cmp_ne_u64_e32 vcc, 0, v[4:5]
                                        ; implicit-def: $vgpr41
	s_and_saveexec_b64 s[30:31], vcc
	s_xor_b64 vcc, exec, s[30:31]
; %bb.6076:                             ;   in Loop: Header=BB6_4748 Depth=3
	v_or_b32_sdwa v41, v6, s83 dst_sel:DWORD dst_unused:UNUSED_PAD src0_sel:BYTE_3 src1_sel:DWORD
                                        ; implicit-def: $vgpr6
; %bb.6077:                             ;   in Loop: Header=BB6_4748 Depth=3
	s_andn2_saveexec_b64 s[30:31], vcc
; %bb.6078:                             ;   in Loop: Header=BB6_4748 Depth=3
	v_cmp_lt_i32_e32 vcc, -1, v6
	v_bfrev_b32_e32 v0, 0.5
	v_mov_b32_e32 v4, 0x7c
	v_cndmask_b32_e32 v41, v0, v4, vcc
; %bb.6079:                             ;   in Loop: Header=BB6_4748 Depth=3
	s_or_b64 exec, exec, s[30:31]
.LBB6_6080:                             ;   in Loop: Header=BB6_4748 Depth=3
	s_or_b64 exec, exec, s[28:29]
	v_lshrrev_b16_e32 v4, 8, v3
	v_cmp_ne_u16_e32 vcc, 0, v4
	v_mov_b32_e32 v0, 0
	v_mov_b32_e32 v5, 0
	s_and_saveexec_b64 s[28:29], vcc
	s_cbranch_execz .LBB6_6088
; %bb.6081:                             ;   in Loop: Header=BB6_4748 Depth=3
	v_cmp_ne_u16_e32 vcc, s44, v4
	v_bfrev_b32_e32 v5, 1
	s_and_saveexec_b64 s[30:31], vcc
	s_cbranch_execz .LBB6_6087
; %bb.6082:                             ;   in Loop: Header=BB6_4748 Depth=3
	v_and_b32_e32 v5, 0x7c, v4
	v_and_b32_e32 v6, 3, v4
	v_cmp_ne_u32_e32 vcc, s81, v5
                                        ; implicit-def: $vgpr5
	s_and_saveexec_b64 s[34:35], vcc
	s_xor_b64 s[34:35], exec, s[34:35]
	s_cbranch_execz .LBB6_6084
; %bb.6083:                             ;   in Loop: Header=BB6_4748 Depth=3
	v_ffbh_u32_e32 v33, v6
	v_min_u32_e32 v33, 32, v33
	v_mov_b32_e32 v5, v34
	v_subrev_u32_e32 v36, 29, v33
	v_bfe_u32 v32, v4, 2, 5
	v_lshlrev_b64 v[4:5], v36, v[4:5]
	v_sub_u32_e32 v5, 30, v33
	v_cmp_eq_u32_e32 vcc, 0, v32
	v_lshlrev_b32_e32 v3, 16, v3
	v_and_b32_e32 v4, 3, v4
	v_cndmask_b32_e32 v5, v32, v5, vcc
	v_and_b32_e32 v3, 0x80000000, v3
	v_cndmask_b32_e32 v4, v6, v4, vcc
	v_lshl_add_u32 v3, v5, 23, v3
	v_lshl_or_b32 v3, v4, 21, v3
	v_add_u32_e32 v5, 0x38000000, v3
                                        ; implicit-def: $vgpr6
                                        ; implicit-def: $vgpr3_vgpr4
.LBB6_6084:                             ;   in Loop: Header=BB6_4748 Depth=3
	s_andn2_saveexec_b64 s[34:35], s[34:35]
; %bb.6085:                             ;   in Loop: Header=BB6_4748 Depth=3
	v_cmp_lt_i16_e32 vcc, -1, v3
	v_mov_b32_e32 v3, 0xff800000
	v_mov_b32_e32 v4, 0x7f800000
	v_cndmask_b32_e32 v3, v3, v4, vcc
	v_cmp_eq_u32_e32 vcc, 0, v6
	v_mov_b32_e32 v4, 0x7f800001
	v_cndmask_b32_e32 v5, v4, v3, vcc
; %bb.6086:                             ;   in Loop: Header=BB6_4748 Depth=3
	s_or_b64 exec, exec, s[34:35]
.LBB6_6087:                             ;   in Loop: Header=BB6_4748 Depth=3
	s_or_b64 exec, exec, s[30:31]
.LBB6_6088:                             ;   in Loop: Header=BB6_4748 Depth=3
	s_or_b64 exec, exec, s[28:29]
	v_lshrrev_b16_e32 v3, 8, v17
	v_cmp_ne_u16_e32 vcc, 0, v3
	s_and_saveexec_b64 s[28:29], vcc
	s_cbranch_execz .LBB6_6096
; %bb.6089:                             ;   in Loop: Header=BB6_4748 Depth=3
	v_cmp_ne_u16_e32 vcc, s44, v3
	v_bfrev_b32_e32 v0, 1
	s_and_saveexec_b64 s[30:31], vcc
	s_cbranch_execz .LBB6_6095
; %bb.6090:                             ;   in Loop: Header=BB6_4748 Depth=3
	v_and_b32_e32 v0, 0x7c, v3
	v_and_b32_e32 v6, 3, v3
	v_cmp_ne_u32_e32 vcc, s81, v0
                                        ; implicit-def: $vgpr0
	s_and_saveexec_b64 s[34:35], vcc
	s_xor_b64 s[34:35], exec, s[34:35]
	s_cbranch_execz .LBB6_6092
; %bb.6091:                             ;   in Loop: Header=BB6_4748 Depth=3
	v_ffbh_u32_e32 v32, v6
	v_min_u32_e32 v32, 32, v32
	v_mov_b32_e32 v4, v34
	v_subrev_u32_e32 v33, 29, v32
	v_bfe_u32 v0, v3, 2, 5
	v_lshlrev_b64 v[3:4], v33, v[3:4]
	v_sub_u32_e32 v4, 30, v32
	v_cmp_eq_u32_e32 vcc, 0, v0
	v_cndmask_b32_e32 v0, v0, v4, vcc
	v_lshlrev_b32_e32 v4, 16, v17
	v_and_b32_e32 v3, 3, v3
	v_and_b32_e32 v4, 0x80000000, v4
	v_cndmask_b32_e32 v3, v6, v3, vcc
	v_lshl_add_u32 v0, v0, 23, v4
	v_lshl_or_b32 v0, v3, 21, v0
	v_add_u32_e32 v0, 0x38000000, v0
                                        ; implicit-def: $vgpr6
.LBB6_6092:                             ;   in Loop: Header=BB6_4748 Depth=3
	s_andn2_saveexec_b64 s[34:35], s[34:35]
; %bb.6093:                             ;   in Loop: Header=BB6_4748 Depth=3
	v_cmp_lt_i16_e32 vcc, -1, v17
	v_mov_b32_e32 v0, 0xff800000
	v_mov_b32_e32 v3, 0x7f800000
	v_cndmask_b32_e32 v0, v0, v3, vcc
	v_cmp_eq_u32_e32 vcc, 0, v6
	v_mov_b32_e32 v3, 0x7f800001
	v_cndmask_b32_e32 v0, v3, v0, vcc
; %bb.6094:                             ;   in Loop: Header=BB6_4748 Depth=3
	s_or_b64 exec, exec, s[34:35]
.LBB6_6095:                             ;   in Loop: Header=BB6_4748 Depth=3
	s_or_b64 exec, exec, s[30:31]
.LBB6_6096:                             ;   in Loop: Header=BB6_4748 Depth=3
	s_or_b64 exec, exec, s[28:29]
	v_mul_f32_e32 v5, v5, v0
	v_and_b32_e32 v36, 0x7f800000, v5
	v_mov_b32_e32 v37, v34
	v_cmp_ne_u64_e32 vcc, s[76:77], v[36:37]
	v_and_b32_e32 v3, 0x7fffff, v5
	v_mov_b32_e32 v4, v34
                                        ; implicit-def: $vgpr42
	s_and_saveexec_b64 s[28:29], vcc
	s_xor_b64 s[30:31], exec, s[28:29]
	s_cbranch_execz .LBB6_6110
; %bb.6097:                             ;   in Loop: Header=BB6_4748 Depth=3
	v_and_b32_e32 v36, 0x7fffffff, v5
	v_mov_b32_e32 v37, v34
	v_cmp_gt_u64_e32 vcc, s[78:79], v[36:37]
	v_and_b32_sdwa v0, v5, s44 dst_sel:DWORD dst_unused:UNUSED_PAD src0_sel:BYTE_3 src1_sel:DWORD
                                        ; implicit-def: $vgpr42
	s_and_saveexec_b64 s[28:29], vcc
	s_xor_b64 s[34:35], exec, s[28:29]
	s_cbranch_execz .LBB6_6107
; %bb.6098:                             ;   in Loop: Header=BB6_4748 Depth=3
	v_mov_b32_e32 v42, 0
	v_cmp_ne_u32_e32 vcc, 0, v5
	s_and_saveexec_b64 s[36:37], vcc
	s_cbranch_execz .LBB6_6106
; %bb.6099:                             ;   in Loop: Header=BB6_4748 Depth=3
	v_bfe_u32 v6, v5, 23, 8
	v_cmp_gt_u32_e64 s[28:29], s45, v6
	v_sub_u32_e32 v5, 0x71, v6
	v_cmp_eq_u32_e32 vcc, 0, v6
	v_cndmask_b32_e64 v5, 0, v5, s[28:29]
	v_mov_b32_e32 v33, 0x70
	v_cndmask_b32_e32 v36, v5, v33, vcc
	v_add_u32_e32 v5, 21, v36
	v_or_b32_e32 v32, 0x800000, v3
	v_lshlrev_b64 v[37:38], v5, -1
	v_cndmask_b32_e32 v3, v32, v3, vcc
	v_add_u32_e32 v5, 20, v36
	v_bfi_b32 v37, v37, 0, v3
	v_lshlrev_b64 v[48:49], v5, 1
	v_lshrrev_b64 v[3:4], v36, v[3:4]
	v_bfi_b32 v38, v38, 0, 0
	v_cmp_eq_u64_e64 s[28:29], v[37:38], v[48:49]
	v_mov_b32_e32 v5, v4
	v_mov_b32_e32 v4, v3
	s_and_saveexec_b64 s[38:39], s[28:29]
; %bb.6100:                             ;   in Loop: Header=BB6_4748 Depth=3
	v_bfe_u32 v4, v3, 21, 1
	v_add_co_u32_e64 v4, s[28:29], v3, v4
	v_add_co_u32_e64 v4, s[28:29], -1, v4
; %bb.6101:                             ;   in Loop: Header=BB6_4748 Depth=3
	s_or_b64 exec, exec, s[38:39]
	v_add_u32_e32 v5, 0xffffff81, v6
	v_mov_b32_e32 v6, 0xffffff82
	v_cndmask_b32_e32 v5, v5, v6, vcc
	v_lshrrev_b32_e32 v6, 23, v3
	v_add3_u32 v36, v36, v5, v6
	v_add_u32_e32 v6, 14, v36
	v_and_b32_e32 v4, 0x1fffff, v4
	v_add_u32_e32 v3, v4, v3
	v_mov_b32_e32 v4, v34
	v_cmp_ne_u32_e32 vcc, 0, v6
                                        ; implicit-def: $vgpr5
	s_and_saveexec_b64 s[28:29], vcc
	s_xor_b64 s[28:29], exec, s[28:29]
; %bb.6102:                             ;   in Loop: Header=BB6_4748 Depth=3
	v_cmp_lt_u64_e32 vcc, s[88:89], v[3:4]
	v_add_u32_e32 v5, 15, v36
	v_cndmask_b32_e32 v5, v6, v5, vcc
	v_cndmask_b32_e64 v6, 0, 1, vcc
	v_lshrrev_b64 v[3:4], v6, v[3:4]
; %bb.6103:                             ;   in Loop: Header=BB6_4748 Depth=3
	s_andn2_saveexec_b64 s[28:29], s[28:29]
; %bb.6104:                             ;   in Loop: Header=BB6_4748 Depth=3
	v_bfe_u32 v5, v3, 23, 1
; %bb.6105:                             ;   in Loop: Header=BB6_4748 Depth=3
	s_or_b64 exec, exec, s[28:29]
	v_lshrrev_b64 v[3:4], 21, v[3:4]
	v_cmp_gt_i32_e32 vcc, 32, v5
	v_cndmask_b32_e32 v4, 0, v4, vcc
	v_cndmask_b32_e32 v3, 3, v3, vcc
	v_cmp_eq_u64_e64 s[28:29], 0, v[3:4]
	v_min_i32_e32 v4, 31, v5
	v_lshlrev_b32_e32 v4, 2, v4
	v_cmp_eq_u32_e32 vcc, 0, v5
	v_and_b32_e32 v4, 0xfc, v4
	v_and_or_b32 v3, v3, 3, v4
	s_and_b64 s[28:29], vcc, s[28:29]
	v_cndmask_b32_e64 v3, v3, 0, s[28:29]
	v_or_b32_e32 v42, v3, v0
.LBB6_6106:                             ;   in Loop: Header=BB6_4748 Depth=3
	s_or_b64 exec, exec, s[36:37]
                                        ; implicit-def: $vgpr0
.LBB6_6107:                             ;   in Loop: Header=BB6_4748 Depth=3
	s_andn2_saveexec_b64 s[28:29], s[34:35]
; %bb.6108:                             ;   in Loop: Header=BB6_4748 Depth=3
	v_or_b32_e32 v42, 0x7b, v0
; %bb.6109:                             ;   in Loop: Header=BB6_4748 Depth=3
	s_or_b64 exec, exec, s[28:29]
                                        ; implicit-def: $vgpr5
                                        ; implicit-def: $vgpr3_vgpr4
.LBB6_6110:                             ;   in Loop: Header=BB6_4748 Depth=3
	s_andn2_saveexec_b64 s[28:29], s[30:31]
	s_cbranch_execz .LBB6_6116
; %bb.6111:                             ;   in Loop: Header=BB6_4748 Depth=3
	v_cmp_ne_u64_e32 vcc, 0, v[3:4]
                                        ; implicit-def: $vgpr42
	s_and_saveexec_b64 s[30:31], vcc
	s_xor_b64 vcc, exec, s[30:31]
; %bb.6112:                             ;   in Loop: Header=BB6_4748 Depth=3
	v_or_b32_sdwa v42, v5, s83 dst_sel:DWORD dst_unused:UNUSED_PAD src0_sel:BYTE_3 src1_sel:DWORD
                                        ; implicit-def: $vgpr5
; %bb.6113:                             ;   in Loop: Header=BB6_4748 Depth=3
	s_andn2_saveexec_b64 s[30:31], vcc
; %bb.6114:                             ;   in Loop: Header=BB6_4748 Depth=3
	v_cmp_lt_i32_e32 vcc, -1, v5
	v_bfrev_b32_e32 v0, 0.5
	v_mov_b32_e32 v3, 0x7c
	v_cndmask_b32_e32 v42, v0, v3, vcc
; %bb.6115:                             ;   in Loop: Header=BB6_4748 Depth=3
	s_or_b64 exec, exec, s[30:31]
.LBB6_6116:                             ;   in Loop: Header=BB6_4748 Depth=3
	s_or_b64 exec, exec, s[28:29]
	v_lshrrev_b32_e32 v0, 16, v21
	v_cmp_ne_u16_sdwa vcc, v0, v34 src0_sel:BYTE_0 src1_sel:DWORD
	v_mov_b32_e32 v3, 0
	v_mov_b32_e32 v4, 0
	s_and_saveexec_b64 s[28:29], vcc
	s_cbranch_execz .LBB6_6124
; %bb.6117:                             ;   in Loop: Header=BB6_4748 Depth=3
	v_cmp_ne_u16_sdwa vcc, v0, s44 src0_sel:BYTE_0 src1_sel:DWORD
	v_bfrev_b32_e32 v4, 1
	s_and_saveexec_b64 s[30:31], vcc
	s_cbranch_execz .LBB6_6123
; %bb.6118:                             ;   in Loop: Header=BB6_4748 Depth=3
	v_and_b32_e32 v4, 0x7c0000, v21
	v_bfe_u32 v5, v21, 16, 2
	v_cmp_ne_u32_e32 vcc, s9, v4
                                        ; implicit-def: $vgpr4
	s_and_saveexec_b64 s[34:35], vcc
	s_xor_b64 s[34:35], exec, s[34:35]
	s_cbranch_execz .LBB6_6120
; %bb.6119:                             ;   in Loop: Header=BB6_4748 Depth=3
	v_ffbh_u32_e32 v6, v5
	v_min_u32_e32 v6, 32, v6
	v_subrev_u32_e32 v32, 29, v6
	v_lshlrev_b64 v[36:37], v32, v[0:1]
	v_bfe_u32 v4, v21, 18, 5
	v_sub_u32_e32 v0, 30, v6
	v_and_b32_e32 v6, 3, v36
	v_cmp_eq_u32_e32 vcc, 0, v4
	v_cndmask_b32_e32 v0, v4, v0, vcc
	v_cndmask_b32_e32 v4, v5, v6, vcc
	v_lshlrev_b32_e32 v5, 8, v21
	v_and_b32_e32 v5, 0x80000000, v5
	v_lshl_add_u32 v0, v0, 23, v5
	v_lshl_or_b32 v0, v4, 21, v0
	v_add_u32_e32 v4, 0x38000000, v0
                                        ; implicit-def: $vgpr5
                                        ; implicit-def: $vgpr0
.LBB6_6120:                             ;   in Loop: Header=BB6_4748 Depth=3
	s_andn2_saveexec_b64 s[34:35], s[34:35]
; %bb.6121:                             ;   in Loop: Header=BB6_4748 Depth=3
	v_mov_b32_e32 v4, -1
	v_cmp_gt_i16_sdwa vcc, sext(v0), v4 src0_sel:BYTE_0 src1_sel:DWORD
	v_mov_b32_e32 v0, 0xff800000
	v_mov_b32_e32 v4, 0x7f800000
	v_cndmask_b32_e32 v0, v0, v4, vcc
	v_cmp_eq_u32_e32 vcc, 0, v5
	v_mov_b32_e32 v4, 0x7f800001
	v_cndmask_b32_e32 v4, v4, v0, vcc
; %bb.6122:                             ;   in Loop: Header=BB6_4748 Depth=3
	s_or_b64 exec, exec, s[34:35]
.LBB6_6123:                             ;   in Loop: Header=BB6_4748 Depth=3
	s_or_b64 exec, exec, s[30:31]
.LBB6_6124:                             ;   in Loop: Header=BB6_4748 Depth=3
	s_or_b64 exec, exec, s[28:29]
	v_lshrrev_b32_e32 v0, 16, v17
	v_cmp_ne_u16_sdwa vcc, v0, v34 src0_sel:BYTE_0 src1_sel:DWORD
	s_and_saveexec_b64 s[28:29], vcc
	s_cbranch_execz .LBB6_6132
; %bb.6125:                             ;   in Loop: Header=BB6_4748 Depth=3
	v_cmp_ne_u16_sdwa vcc, v0, s44 src0_sel:BYTE_0 src1_sel:DWORD
	v_bfrev_b32_e32 v3, 1
	s_and_saveexec_b64 s[30:31], vcc
	s_cbranch_execz .LBB6_6131
; %bb.6126:                             ;   in Loop: Header=BB6_4748 Depth=3
	v_and_b32_e32 v3, 0x7c0000, v17
	v_bfe_u32 v5, v17, 16, 2
	v_cmp_ne_u32_e32 vcc, s9, v3
                                        ; implicit-def: $vgpr3
	s_and_saveexec_b64 s[34:35], vcc
	s_xor_b64 s[34:35], exec, s[34:35]
	s_cbranch_execz .LBB6_6128
; %bb.6127:                             ;   in Loop: Header=BB6_4748 Depth=3
	v_ffbh_u32_e32 v6, v5
	v_min_u32_e32 v6, 32, v6
	v_subrev_u32_e32 v32, 29, v6
	v_lshlrev_b64 v[36:37], v32, v[0:1]
	v_bfe_u32 v3, v17, 18, 5
	v_sub_u32_e32 v0, 30, v6
	v_and_b32_e32 v6, 3, v36
	v_cmp_eq_u32_e32 vcc, 0, v3
	v_cndmask_b32_e32 v0, v3, v0, vcc
	v_cndmask_b32_e32 v3, v5, v6, vcc
	v_lshlrev_b32_e32 v5, 8, v17
	v_and_b32_e32 v5, 0x80000000, v5
	v_lshl_add_u32 v0, v0, 23, v5
	v_lshl_or_b32 v0, v3, 21, v0
	v_add_u32_e32 v3, 0x38000000, v0
                                        ; implicit-def: $vgpr5
                                        ; implicit-def: $vgpr0
.LBB6_6128:                             ;   in Loop: Header=BB6_4748 Depth=3
	s_andn2_saveexec_b64 s[34:35], s[34:35]
; %bb.6129:                             ;   in Loop: Header=BB6_4748 Depth=3
	v_mov_b32_e32 v3, -1
	v_cmp_gt_i16_sdwa vcc, sext(v0), v3 src0_sel:BYTE_0 src1_sel:DWORD
	v_mov_b32_e32 v0, 0xff800000
	v_mov_b32_e32 v3, 0x7f800000
	v_cndmask_b32_e32 v0, v0, v3, vcc
	v_cmp_eq_u32_e32 vcc, 0, v5
	v_mov_b32_e32 v3, 0x7f800001
	v_cndmask_b32_e32 v3, v3, v0, vcc
; %bb.6130:                             ;   in Loop: Header=BB6_4748 Depth=3
	s_or_b64 exec, exec, s[34:35]
.LBB6_6131:                             ;   in Loop: Header=BB6_4748 Depth=3
	s_or_b64 exec, exec, s[30:31]
.LBB6_6132:                             ;   in Loop: Header=BB6_4748 Depth=3
	s_or_b64 exec, exec, s[28:29]
	v_mul_f32_e32 v5, v4, v3
	v_and_b32_e32 v36, 0x7f800000, v5
	v_mov_b32_e32 v37, v34
	v_cmp_ne_u64_e32 vcc, s[76:77], v[36:37]
	v_and_b32_e32 v3, 0x7fffff, v5
	v_mov_b32_e32 v4, v34
                                        ; implicit-def: $vgpr36
	s_and_saveexec_b64 s[28:29], vcc
	s_xor_b64 s[30:31], exec, s[28:29]
	s_cbranch_execz .LBB6_6146
; %bb.6133:                             ;   in Loop: Header=BB6_4748 Depth=3
	v_and_b32_e32 v36, 0x7fffffff, v5
	v_mov_b32_e32 v37, v34
	v_cmp_gt_u64_e32 vcc, s[78:79], v[36:37]
	v_and_b32_sdwa v0, v5, s44 dst_sel:DWORD dst_unused:UNUSED_PAD src0_sel:BYTE_3 src1_sel:DWORD
                                        ; implicit-def: $vgpr36
	s_and_saveexec_b64 s[28:29], vcc
	s_xor_b64 s[34:35], exec, s[28:29]
	s_cbranch_execz .LBB6_6143
; %bb.6134:                             ;   in Loop: Header=BB6_4748 Depth=3
	v_mov_b32_e32 v36, 0
	v_cmp_ne_u32_e32 vcc, 0, v5
	s_and_saveexec_b64 s[36:37], vcc
	s_cbranch_execz .LBB6_6142
; %bb.6135:                             ;   in Loop: Header=BB6_4748 Depth=3
	v_bfe_u32 v6, v5, 23, 8
	v_cmp_gt_u32_e64 s[28:29], s45, v6
	v_sub_u32_e32 v5, 0x71, v6
	v_cmp_eq_u32_e32 vcc, 0, v6
	v_cndmask_b32_e64 v5, 0, v5, s[28:29]
	v_mov_b32_e32 v33, 0x70
	v_cndmask_b32_e32 v36, v5, v33, vcc
	v_add_u32_e32 v5, 21, v36
	v_or_b32_e32 v32, 0x800000, v3
	v_lshlrev_b64 v[37:38], v5, -1
	v_cndmask_b32_e32 v3, v32, v3, vcc
	v_add_u32_e32 v5, 20, v36
	v_bfi_b32 v37, v37, 0, v3
	v_lshlrev_b64 v[48:49], v5, 1
	v_lshrrev_b64 v[3:4], v36, v[3:4]
	v_bfi_b32 v38, v38, 0, 0
	v_cmp_eq_u64_e64 s[28:29], v[37:38], v[48:49]
	v_mov_b32_e32 v5, v4
	v_mov_b32_e32 v4, v3
	s_and_saveexec_b64 s[38:39], s[28:29]
; %bb.6136:                             ;   in Loop: Header=BB6_4748 Depth=3
	v_bfe_u32 v4, v3, 21, 1
	v_add_co_u32_e64 v4, s[28:29], v3, v4
	v_add_co_u32_e64 v4, s[28:29], -1, v4
; %bb.6137:                             ;   in Loop: Header=BB6_4748 Depth=3
	s_or_b64 exec, exec, s[38:39]
	v_add_u32_e32 v5, 0xffffff81, v6
	v_mov_b32_e32 v6, 0xffffff82
	v_cndmask_b32_e32 v5, v5, v6, vcc
	v_lshrrev_b32_e32 v6, 23, v3
	v_add3_u32 v36, v36, v5, v6
	v_add_u32_e32 v6, 14, v36
	v_and_b32_e32 v4, 0x1fffff, v4
	v_add_u32_e32 v3, v4, v3
	v_mov_b32_e32 v4, v34
	v_cmp_ne_u32_e32 vcc, 0, v6
                                        ; implicit-def: $vgpr5
	s_and_saveexec_b64 s[28:29], vcc
	s_xor_b64 s[28:29], exec, s[28:29]
; %bb.6138:                             ;   in Loop: Header=BB6_4748 Depth=3
	v_cmp_lt_u64_e32 vcc, s[88:89], v[3:4]
	v_add_u32_e32 v5, 15, v36
	v_cndmask_b32_e32 v5, v6, v5, vcc
	v_cndmask_b32_e64 v6, 0, 1, vcc
	v_lshrrev_b64 v[3:4], v6, v[3:4]
; %bb.6139:                             ;   in Loop: Header=BB6_4748 Depth=3
	s_andn2_saveexec_b64 s[28:29], s[28:29]
; %bb.6140:                             ;   in Loop: Header=BB6_4748 Depth=3
	v_bfe_u32 v5, v3, 23, 1
; %bb.6141:                             ;   in Loop: Header=BB6_4748 Depth=3
	s_or_b64 exec, exec, s[28:29]
	v_lshrrev_b64 v[3:4], 21, v[3:4]
	v_cmp_gt_i32_e32 vcc, 32, v5
	v_cndmask_b32_e32 v4, 0, v4, vcc
	v_cndmask_b32_e32 v3, 3, v3, vcc
	v_cmp_eq_u64_e64 s[28:29], 0, v[3:4]
	v_min_i32_e32 v4, 31, v5
	v_lshlrev_b32_e32 v4, 2, v4
	v_cmp_eq_u32_e32 vcc, 0, v5
	v_and_b32_e32 v4, 0xfc, v4
	v_and_or_b32 v3, v3, 3, v4
	s_and_b64 s[28:29], vcc, s[28:29]
	v_cndmask_b32_e64 v3, v3, 0, s[28:29]
	v_or_b32_e32 v36, v3, v0
.LBB6_6142:                             ;   in Loop: Header=BB6_4748 Depth=3
	s_or_b64 exec, exec, s[36:37]
                                        ; implicit-def: $vgpr0
.LBB6_6143:                             ;   in Loop: Header=BB6_4748 Depth=3
	s_andn2_saveexec_b64 s[28:29], s[34:35]
; %bb.6144:                             ;   in Loop: Header=BB6_4748 Depth=3
	v_or_b32_e32 v36, 0x7b, v0
; %bb.6145:                             ;   in Loop: Header=BB6_4748 Depth=3
	s_or_b64 exec, exec, s[28:29]
                                        ; implicit-def: $vgpr5
                                        ; implicit-def: $vgpr3_vgpr4
.LBB6_6146:                             ;   in Loop: Header=BB6_4748 Depth=3
	s_andn2_saveexec_b64 s[28:29], s[30:31]
	s_cbranch_execz .LBB6_6152
; %bb.6147:                             ;   in Loop: Header=BB6_4748 Depth=3
	v_cmp_ne_u64_e32 vcc, 0, v[3:4]
                                        ; implicit-def: $vgpr36
	s_and_saveexec_b64 s[30:31], vcc
	s_xor_b64 vcc, exec, s[30:31]
; %bb.6148:                             ;   in Loop: Header=BB6_4748 Depth=3
	v_or_b32_sdwa v36, v5, s83 dst_sel:DWORD dst_unused:UNUSED_PAD src0_sel:BYTE_3 src1_sel:DWORD
                                        ; implicit-def: $vgpr5
; %bb.6149:                             ;   in Loop: Header=BB6_4748 Depth=3
	s_andn2_saveexec_b64 s[30:31], vcc
; %bb.6150:                             ;   in Loop: Header=BB6_4748 Depth=3
	v_cmp_lt_i32_e32 vcc, -1, v5
	v_bfrev_b32_e32 v0, 0.5
	v_mov_b32_e32 v3, 0x7c
	v_cndmask_b32_e32 v36, v0, v3, vcc
; %bb.6151:                             ;   in Loop: Header=BB6_4748 Depth=3
	s_or_b64 exec, exec, s[30:31]
.LBB6_6152:                             ;   in Loop: Header=BB6_4748 Depth=3
	s_or_b64 exec, exec, s[28:29]
	v_cmp_lt_u64_e32 vcc, s[56:57], v[20:21]
	v_mov_b32_e32 v3, 0
	v_mov_b32_e32 v4, 0
	s_and_saveexec_b64 s[28:29], vcc
	s_cbranch_execz .LBB6_6160
; %bb.6153:                             ;   in Loop: Header=BB6_4748 Depth=3
	v_lshrrev_b32_e32 v0, 24, v21
	v_cmp_ne_u32_e32 vcc, s44, v0
	v_bfrev_b32_e32 v4, 1
	s_and_saveexec_b64 s[30:31], vcc
	s_cbranch_execz .LBB6_6159
; %bb.6154:                             ;   in Loop: Header=BB6_4748 Depth=3
	v_and_b32_e32 v4, 0x7c000000, v21
	v_bfe_u32 v5, v21, 24, 2
	v_cmp_ne_u32_e32 vcc, s8, v4
                                        ; implicit-def: $vgpr4
	s_and_saveexec_b64 s[34:35], vcc
	s_xor_b64 s[34:35], exec, s[34:35]
	s_cbranch_execz .LBB6_6156
; %bb.6155:                             ;   in Loop: Header=BB6_4748 Depth=3
	v_ffbh_u32_e32 v6, v5
	v_min_u32_e32 v6, 32, v6
	v_subrev_u32_e32 v32, 29, v6
	v_lshlrev_b64 v[37:38], v32, v[0:1]
	v_bfe_u32 v4, v21, 26, 5
	v_sub_u32_e32 v0, 30, v6
	v_and_b32_e32 v6, 3, v37
	v_cmp_eq_u32_e32 vcc, 0, v4
	v_cndmask_b32_e32 v0, v4, v0, vcc
	v_cndmask_b32_e32 v4, v5, v6, vcc
	v_and_b32_e32 v5, 0x80000000, v21
	v_lshl_add_u32 v0, v0, 23, v5
	v_lshl_or_b32 v0, v4, 21, v0
	v_add_u32_e32 v4, 0x38000000, v0
                                        ; implicit-def: $vgpr5
.LBB6_6156:                             ;   in Loop: Header=BB6_4748 Depth=3
	s_andn2_saveexec_b64 s[34:35], s[34:35]
; %bb.6157:                             ;   in Loop: Header=BB6_4748 Depth=3
	v_cmp_lt_i64_e32 vcc, -1, v[20:21]
	v_mov_b32_e32 v0, 0xff800000
	v_mov_b32_e32 v4, 0x7f800000
	v_cndmask_b32_e32 v0, v0, v4, vcc
	v_cmp_eq_u32_e32 vcc, 0, v5
	v_mov_b32_e32 v4, 0x7f800001
	v_cndmask_b32_e32 v4, v4, v0, vcc
; %bb.6158:                             ;   in Loop: Header=BB6_4748 Depth=3
	s_or_b64 exec, exec, s[34:35]
.LBB6_6159:                             ;   in Loop: Header=BB6_4748 Depth=3
	s_or_b64 exec, exec, s[30:31]
.LBB6_6160:                             ;   in Loop: Header=BB6_4748 Depth=3
	s_or_b64 exec, exec, s[28:29]
	v_cmp_lt_u64_e32 vcc, s[56:57], v[16:17]
	s_and_saveexec_b64 s[28:29], vcc
	s_cbranch_execz .LBB6_6168
; %bb.6161:                             ;   in Loop: Header=BB6_4748 Depth=3
	v_lshrrev_b32_e32 v0, 24, v17
	v_cmp_ne_u32_e32 vcc, s44, v0
	v_bfrev_b32_e32 v3, 1
	s_and_saveexec_b64 s[30:31], vcc
	s_cbranch_execz .LBB6_6167
; %bb.6162:                             ;   in Loop: Header=BB6_4748 Depth=3
	v_and_b32_e32 v3, 0x7c000000, v17
	v_bfe_u32 v5, v17, 24, 2
	v_cmp_ne_u32_e32 vcc, s8, v3
                                        ; implicit-def: $vgpr3
	s_and_saveexec_b64 s[34:35], vcc
	s_xor_b64 s[34:35], exec, s[34:35]
	s_cbranch_execz .LBB6_6164
; %bb.6163:                             ;   in Loop: Header=BB6_4748 Depth=3
	v_ffbh_u32_e32 v6, v5
	v_min_u32_e32 v6, 32, v6
	v_subrev_u32_e32 v20, 29, v6
	v_lshlrev_b64 v[20:21], v20, v[0:1]
	v_bfe_u32 v3, v17, 26, 5
	v_sub_u32_e32 v0, 30, v6
	v_and_b32_e32 v6, 3, v20
	v_cmp_eq_u32_e32 vcc, 0, v3
	v_cndmask_b32_e32 v0, v3, v0, vcc
	v_cndmask_b32_e32 v3, v5, v6, vcc
	v_and_b32_e32 v5, 0x80000000, v17
	v_lshl_add_u32 v0, v0, 23, v5
	v_lshl_or_b32 v0, v3, 21, v0
	v_add_u32_e32 v3, 0x38000000, v0
                                        ; implicit-def: $vgpr5
.LBB6_6164:                             ;   in Loop: Header=BB6_4748 Depth=3
	s_andn2_saveexec_b64 s[34:35], s[34:35]
; %bb.6165:                             ;   in Loop: Header=BB6_4748 Depth=3
	v_cmp_lt_i64_e32 vcc, -1, v[16:17]
	v_mov_b32_e32 v0, 0xff800000
	v_mov_b32_e32 v3, 0x7f800000
	v_cndmask_b32_e32 v0, v0, v3, vcc
	v_cmp_eq_u32_e32 vcc, 0, v5
	v_mov_b32_e32 v3, 0x7f800001
	v_cndmask_b32_e32 v3, v3, v0, vcc
; %bb.6166:                             ;   in Loop: Header=BB6_4748 Depth=3
	s_or_b64 exec, exec, s[34:35]
.LBB6_6167:                             ;   in Loop: Header=BB6_4748 Depth=3
	s_or_b64 exec, exec, s[30:31]
.LBB6_6168:                             ;   in Loop: Header=BB6_4748 Depth=3
	s_or_b64 exec, exec, s[28:29]
	v_mul_f32_e32 v5, v4, v3
	v_and_b32_e32 v16, 0x7f800000, v5
	v_mov_b32_e32 v17, v34
	v_cmp_ne_u64_e32 vcc, s[76:77], v[16:17]
	v_and_b32_e32 v3, 0x7fffff, v5
	v_mov_b32_e32 v4, v34
                                        ; implicit-def: $vgpr16
	s_and_saveexec_b64 s[28:29], vcc
	s_xor_b64 s[30:31], exec, s[28:29]
	s_cbranch_execz .LBB6_6182
; %bb.6169:                             ;   in Loop: Header=BB6_4748 Depth=3
	v_and_b32_e32 v16, 0x7fffffff, v5
	v_mov_b32_e32 v17, v34
	v_cmp_gt_u64_e32 vcc, s[78:79], v[16:17]
	v_and_b32_sdwa v0, v5, s44 dst_sel:DWORD dst_unused:UNUSED_PAD src0_sel:BYTE_3 src1_sel:DWORD
                                        ; implicit-def: $vgpr16
	s_and_saveexec_b64 s[28:29], vcc
	s_xor_b64 s[34:35], exec, s[28:29]
	s_cbranch_execz .LBB6_6179
; %bb.6170:                             ;   in Loop: Header=BB6_4748 Depth=3
	v_mov_b32_e32 v16, 0
	v_cmp_ne_u32_e32 vcc, 0, v5
	s_and_saveexec_b64 s[36:37], vcc
	s_cbranch_execz .LBB6_6178
; %bb.6171:                             ;   in Loop: Header=BB6_4748 Depth=3
	v_bfe_u32 v6, v5, 23, 8
	v_cmp_gt_u32_e64 s[28:29], s45, v6
	v_sub_u32_e32 v5, 0x71, v6
	v_cmp_eq_u32_e32 vcc, 0, v6
	v_cndmask_b32_e64 v5, 0, v5, s[28:29]
	v_mov_b32_e32 v16, 0x70
	v_cndmask_b32_e32 v16, v5, v16, vcc
	v_add_u32_e32 v5, 21, v16
	v_or_b32_e32 v17, 0x800000, v3
	v_lshlrev_b64 v[20:21], v5, -1
	v_cndmask_b32_e32 v3, v17, v3, vcc
	v_add_u32_e32 v5, 20, v16
	v_bfi_b32 v20, v20, 0, v3
	v_lshlrev_b64 v[37:38], v5, 1
	v_lshrrev_b64 v[3:4], v16, v[3:4]
	v_bfi_b32 v21, v21, 0, 0
	v_cmp_eq_u64_e64 s[28:29], v[20:21], v[37:38]
	v_mov_b32_e32 v5, v4
	v_mov_b32_e32 v4, v3
	s_and_saveexec_b64 s[38:39], s[28:29]
; %bb.6172:                             ;   in Loop: Header=BB6_4748 Depth=3
	v_bfe_u32 v4, v3, 21, 1
	v_add_co_u32_e64 v4, s[28:29], v3, v4
	v_add_co_u32_e64 v4, s[28:29], -1, v4
; %bb.6173:                             ;   in Loop: Header=BB6_4748 Depth=3
	s_or_b64 exec, exec, s[38:39]
	v_add_u32_e32 v5, 0xffffff81, v6
	v_mov_b32_e32 v6, 0xffffff82
	v_cndmask_b32_e32 v5, v5, v6, vcc
	v_lshrrev_b32_e32 v6, 23, v3
	v_add3_u32 v16, v16, v5, v6
	v_add_u32_e32 v6, 14, v16
	v_and_b32_e32 v4, 0x1fffff, v4
	v_add_u32_e32 v3, v4, v3
	v_mov_b32_e32 v4, v34
	v_cmp_ne_u32_e32 vcc, 0, v6
                                        ; implicit-def: $vgpr5
	s_and_saveexec_b64 s[28:29], vcc
	s_xor_b64 s[28:29], exec, s[28:29]
; %bb.6174:                             ;   in Loop: Header=BB6_4748 Depth=3
	v_cmp_lt_u64_e32 vcc, s[88:89], v[3:4]
	v_add_u32_e32 v5, 15, v16
	v_cndmask_b32_e32 v5, v6, v5, vcc
	v_cndmask_b32_e64 v6, 0, 1, vcc
	v_lshrrev_b64 v[3:4], v6, v[3:4]
; %bb.6175:                             ;   in Loop: Header=BB6_4748 Depth=3
	s_andn2_saveexec_b64 s[28:29], s[28:29]
; %bb.6176:                             ;   in Loop: Header=BB6_4748 Depth=3
	v_bfe_u32 v5, v3, 23, 1
; %bb.6177:                             ;   in Loop: Header=BB6_4748 Depth=3
	s_or_b64 exec, exec, s[28:29]
	v_lshrrev_b64 v[3:4], 21, v[3:4]
	v_cmp_gt_i32_e32 vcc, 32, v5
	v_cndmask_b32_e32 v4, 0, v4, vcc
	v_cndmask_b32_e32 v3, 3, v3, vcc
	v_cmp_eq_u64_e64 s[28:29], 0, v[3:4]
	v_min_i32_e32 v4, 31, v5
	v_lshlrev_b32_e32 v4, 2, v4
	v_cmp_eq_u32_e32 vcc, 0, v5
	v_and_b32_e32 v4, 0xfc, v4
	v_and_or_b32 v3, v3, 3, v4
	s_and_b64 s[28:29], vcc, s[28:29]
	v_cndmask_b32_e64 v3, v3, 0, s[28:29]
	v_or_b32_e32 v16, v3, v0
.LBB6_6178:                             ;   in Loop: Header=BB6_4748 Depth=3
	s_or_b64 exec, exec, s[36:37]
                                        ; implicit-def: $vgpr0
.LBB6_6179:                             ;   in Loop: Header=BB6_4748 Depth=3
	s_andn2_saveexec_b64 s[28:29], s[34:35]
; %bb.6180:                             ;   in Loop: Header=BB6_4748 Depth=3
	v_or_b32_e32 v16, 0x7b, v0
; %bb.6181:                             ;   in Loop: Header=BB6_4748 Depth=3
	s_or_b64 exec, exec, s[28:29]
                                        ; implicit-def: $vgpr5
                                        ; implicit-def: $vgpr3_vgpr4
.LBB6_6182:                             ;   in Loop: Header=BB6_4748 Depth=3
	s_andn2_saveexec_b64 s[28:29], s[30:31]
	s_cbranch_execz .LBB6_6188
; %bb.6183:                             ;   in Loop: Header=BB6_4748 Depth=3
	v_cmp_ne_u64_e32 vcc, 0, v[3:4]
                                        ; implicit-def: $vgpr16
	s_and_saveexec_b64 s[30:31], vcc
	s_xor_b64 vcc, exec, s[30:31]
; %bb.6184:                             ;   in Loop: Header=BB6_4748 Depth=3
	v_or_b32_sdwa v16, v5, s83 dst_sel:DWORD dst_unused:UNUSED_PAD src0_sel:BYTE_3 src1_sel:DWORD
                                        ; implicit-def: $vgpr5
; %bb.6185:                             ;   in Loop: Header=BB6_4748 Depth=3
	s_andn2_saveexec_b64 s[30:31], vcc
; %bb.6186:                             ;   in Loop: Header=BB6_4748 Depth=3
	v_cmp_lt_i32_e32 vcc, -1, v5
	v_bfrev_b32_e32 v0, 0.5
	v_mov_b32_e32 v3, 0x7c
	v_cndmask_b32_e32 v16, v0, v3, vcc
; %bb.6187:                             ;   in Loop: Header=BB6_4748 Depth=3
	s_or_b64 exec, exec, s[30:31]
.LBB6_6188:                             ;   in Loop: Header=BB6_4748 Depth=3
	s_or_b64 exec, exec, s[28:29]
	v_cmp_ne_u16_sdwa vcc, v22, v34 src0_sel:BYTE_0 src1_sel:DWORD
	v_mov_b32_e32 v0, 0
	v_mov_b32_e32 v3, 0
	s_and_saveexec_b64 s[28:29], vcc
	s_cbranch_execz .LBB6_6196
; %bb.6189:                             ;   in Loop: Header=BB6_4748 Depth=3
	v_cmp_ne_u16_sdwa vcc, sext(v22), s80 src0_sel:BYTE_0 src1_sel:DWORD
	v_bfrev_b32_e32 v3, 1
	s_and_saveexec_b64 s[30:31], vcc
	s_cbranch_execz .LBB6_6195
; %bb.6190:                             ;   in Loop: Header=BB6_4748 Depth=3
	v_and_b32_e32 v3, 0x7c, v22
	v_and_b32_e32 v4, 3, v22
	v_cmp_ne_u32_e32 vcc, s81, v3
                                        ; implicit-def: $vgpr3
	s_and_saveexec_b64 s[34:35], vcc
	s_xor_b64 s[34:35], exec, s[34:35]
	s_cbranch_execz .LBB6_6192
; %bb.6191:                             ;   in Loop: Header=BB6_4748 Depth=3
	v_ffbh_u32_e32 v5, v4
	v_min_u32_e32 v17, 32, v5
	v_subrev_u32_e32 v5, 29, v17
	v_lshlrev_b64 v[5:6], v5, v[22:23]
	v_bfe_u32 v3, v22, 2, 5
	v_and_b32_e32 v5, 3, v5
	v_cmp_eq_u32_e32 vcc, 0, v3
	v_sub_u32_e32 v6, 30, v17
	v_cndmask_b32_e32 v4, v4, v5, vcc
	v_lshlrev_b32_e32 v5, 24, v22
	v_cndmask_b32_e32 v3, v3, v6, vcc
	v_and_b32_e32 v5, 0x80000000, v5
	v_lshl_add_u32 v3, v3, 23, v5
	v_lshl_or_b32 v3, v4, 21, v3
	v_add_u32_e32 v3, 0x38000000, v3
                                        ; implicit-def: $vgpr4
.LBB6_6192:                             ;   in Loop: Header=BB6_4748 Depth=3
	s_andn2_saveexec_b64 s[34:35], s[34:35]
; %bb.6193:                             ;   in Loop: Header=BB6_4748 Depth=3
	v_mov_b32_e32 v3, -1
	v_cmp_gt_i16_sdwa vcc, sext(v22), v3 src0_sel:BYTE_0 src1_sel:DWORD
	v_mov_b32_e32 v3, 0xff800000
	v_mov_b32_e32 v5, 0x7f800000
	v_cndmask_b32_e32 v3, v3, v5, vcc
	v_cmp_eq_u32_e32 vcc, 0, v4
	v_mov_b32_e32 v4, 0x7f800001
	v_cndmask_b32_e32 v3, v4, v3, vcc
; %bb.6194:                             ;   in Loop: Header=BB6_4748 Depth=3
	s_or_b64 exec, exec, s[34:35]
.LBB6_6195:                             ;   in Loop: Header=BB6_4748 Depth=3
	s_or_b64 exec, exec, s[30:31]
.LBB6_6196:                             ;   in Loop: Header=BB6_4748 Depth=3
	s_or_b64 exec, exec, s[28:29]
	v_cmp_ne_u16_sdwa vcc, v18, v34 src0_sel:BYTE_0 src1_sel:DWORD
	s_and_saveexec_b64 s[28:29], vcc
	s_cbranch_execz .LBB6_6204
; %bb.6197:                             ;   in Loop: Header=BB6_4748 Depth=3
	v_cmp_ne_u16_sdwa vcc, sext(v18), s80 src0_sel:BYTE_0 src1_sel:DWORD
	v_bfrev_b32_e32 v0, 1
	s_and_saveexec_b64 s[30:31], vcc
	s_cbranch_execz .LBB6_6203
; %bb.6198:                             ;   in Loop: Header=BB6_4748 Depth=3
	v_and_b32_e32 v0, 0x7c, v18
	v_and_b32_e32 v4, 3, v18
	v_cmp_ne_u32_e32 vcc, s81, v0
                                        ; implicit-def: $vgpr0
	s_and_saveexec_b64 s[34:35], vcc
	s_xor_b64 s[34:35], exec, s[34:35]
	s_cbranch_execz .LBB6_6200
; %bb.6199:                             ;   in Loop: Header=BB6_4748 Depth=3
	v_ffbh_u32_e32 v5, v4
	v_min_u32_e32 v17, 32, v5
	v_subrev_u32_e32 v5, 29, v17
	v_lshlrev_b64 v[5:6], v5, v[18:19]
	v_bfe_u32 v0, v18, 2, 5
	v_and_b32_e32 v5, 3, v5
	v_cmp_eq_u32_e32 vcc, 0, v0
	v_sub_u32_e32 v6, 30, v17
	v_cndmask_b32_e32 v4, v4, v5, vcc
	v_lshlrev_b32_e32 v5, 24, v18
	v_cndmask_b32_e32 v0, v0, v6, vcc
	v_and_b32_e32 v5, 0x80000000, v5
	v_lshl_add_u32 v0, v0, 23, v5
	v_lshl_or_b32 v0, v4, 21, v0
	v_add_u32_e32 v0, 0x38000000, v0
                                        ; implicit-def: $vgpr4
.LBB6_6200:                             ;   in Loop: Header=BB6_4748 Depth=3
	s_andn2_saveexec_b64 s[34:35], s[34:35]
; %bb.6201:                             ;   in Loop: Header=BB6_4748 Depth=3
	v_mov_b32_e32 v0, -1
	v_cmp_gt_i16_sdwa vcc, sext(v18), v0 src0_sel:BYTE_0 src1_sel:DWORD
	v_mov_b32_e32 v0, 0xff800000
	v_mov_b32_e32 v5, 0x7f800000
	v_cndmask_b32_e32 v0, v0, v5, vcc
	v_cmp_eq_u32_e32 vcc, 0, v4
	v_mov_b32_e32 v4, 0x7f800001
	v_cndmask_b32_e32 v0, v4, v0, vcc
; %bb.6202:                             ;   in Loop: Header=BB6_4748 Depth=3
	s_or_b64 exec, exec, s[34:35]
.LBB6_6203:                             ;   in Loop: Header=BB6_4748 Depth=3
	s_or_b64 exec, exec, s[30:31]
.LBB6_6204:                             ;   in Loop: Header=BB6_4748 Depth=3
	s_or_b64 exec, exec, s[28:29]
	v_mul_f32_e32 v5, v3, v0
	v_and_b32_e32 v20, 0x7f800000, v5
	v_mov_b32_e32 v21, v34
	v_cmp_ne_u64_e32 vcc, s[76:77], v[20:21]
	v_and_b32_e32 v3, 0x7fffff, v5
	v_mov_b32_e32 v4, v34
                                        ; implicit-def: $vgpr17
	s_and_saveexec_b64 s[28:29], vcc
	s_xor_b64 s[30:31], exec, s[28:29]
	s_cbranch_execz .LBB6_6218
; %bb.6205:                             ;   in Loop: Header=BB6_4748 Depth=3
	v_and_b32_e32 v20, 0x7fffffff, v5
	v_mov_b32_e32 v21, v34
	v_cmp_gt_u64_e32 vcc, s[78:79], v[20:21]
	v_and_b32_sdwa v0, v5, s44 dst_sel:DWORD dst_unused:UNUSED_PAD src0_sel:BYTE_3 src1_sel:DWORD
                                        ; implicit-def: $vgpr17
	s_and_saveexec_b64 s[28:29], vcc
	s_xor_b64 s[34:35], exec, s[28:29]
	s_cbranch_execz .LBB6_6215
; %bb.6206:                             ;   in Loop: Header=BB6_4748 Depth=3
	v_mov_b32_e32 v17, 0
	v_cmp_ne_u32_e32 vcc, 0, v5
	s_and_saveexec_b64 s[36:37], vcc
	s_cbranch_execz .LBB6_6214
; %bb.6207:                             ;   in Loop: Header=BB6_4748 Depth=3
	v_bfe_u32 v6, v5, 23, 8
	v_cmp_gt_u32_e64 s[28:29], s45, v6
	v_sub_u32_e32 v5, 0x71, v6
	v_cmp_eq_u32_e32 vcc, 0, v6
	v_cndmask_b32_e64 v5, 0, v5, s[28:29]
	v_mov_b32_e32 v17, 0x70
	v_cndmask_b32_e32 v17, v5, v17, vcc
	v_or_b32_e32 v20, 0x800000, v3
	v_add_u32_e32 v5, 21, v17
	v_cndmask_b32_e32 v3, v20, v3, vcc
	v_lshlrev_b64 v[20:21], v5, -1
	v_add_u32_e32 v5, 20, v17
	v_bfi_b32 v20, v20, 0, v3
	v_lshlrev_b64 v[37:38], v5, 1
	v_lshrrev_b64 v[3:4], v17, v[3:4]
	v_bfi_b32 v21, v21, 0, 0
	v_cmp_eq_u64_e64 s[28:29], v[20:21], v[37:38]
	v_mov_b32_e32 v5, v4
	v_mov_b32_e32 v4, v3
	s_and_saveexec_b64 s[38:39], s[28:29]
; %bb.6208:                             ;   in Loop: Header=BB6_4748 Depth=3
	v_bfe_u32 v4, v3, 21, 1
	v_add_co_u32_e64 v4, s[28:29], v3, v4
	v_add_co_u32_e64 v4, s[28:29], -1, v4
; %bb.6209:                             ;   in Loop: Header=BB6_4748 Depth=3
	s_or_b64 exec, exec, s[38:39]
	v_add_u32_e32 v5, 0xffffff81, v6
	v_mov_b32_e32 v6, 0xffffff82
	v_cndmask_b32_e32 v5, v5, v6, vcc
	v_lshrrev_b32_e32 v6, 23, v3
	v_add3_u32 v17, v17, v5, v6
	v_add_u32_e32 v6, 14, v17
	v_and_b32_e32 v4, 0x1fffff, v4
	v_add_u32_e32 v3, v4, v3
	v_mov_b32_e32 v4, v34
	v_cmp_ne_u32_e32 vcc, 0, v6
                                        ; implicit-def: $vgpr5
	s_and_saveexec_b64 s[28:29], vcc
	s_xor_b64 s[28:29], exec, s[28:29]
; %bb.6210:                             ;   in Loop: Header=BB6_4748 Depth=3
	v_cmp_lt_u64_e32 vcc, s[88:89], v[3:4]
	v_add_u32_e32 v5, 15, v17
	v_cndmask_b32_e32 v5, v6, v5, vcc
	v_cndmask_b32_e64 v6, 0, 1, vcc
	v_lshrrev_b64 v[3:4], v6, v[3:4]
; %bb.6211:                             ;   in Loop: Header=BB6_4748 Depth=3
	s_andn2_saveexec_b64 s[28:29], s[28:29]
; %bb.6212:                             ;   in Loop: Header=BB6_4748 Depth=3
	v_bfe_u32 v5, v3, 23, 1
; %bb.6213:                             ;   in Loop: Header=BB6_4748 Depth=3
	s_or_b64 exec, exec, s[28:29]
	v_lshrrev_b64 v[3:4], 21, v[3:4]
	v_cmp_gt_i32_e32 vcc, 32, v5
	v_cndmask_b32_e32 v4, 0, v4, vcc
	v_cndmask_b32_e32 v3, 3, v3, vcc
	v_cmp_eq_u64_e64 s[28:29], 0, v[3:4]
	v_min_i32_e32 v4, 31, v5
	v_lshlrev_b32_e32 v4, 2, v4
	v_cmp_eq_u32_e32 vcc, 0, v5
	v_and_b32_e32 v4, 0xfc, v4
	v_and_or_b32 v3, v3, 3, v4
	s_and_b64 s[28:29], vcc, s[28:29]
	v_cndmask_b32_e64 v3, v3, 0, s[28:29]
	v_or_b32_e32 v17, v3, v0
.LBB6_6214:                             ;   in Loop: Header=BB6_4748 Depth=3
	s_or_b64 exec, exec, s[36:37]
                                        ; implicit-def: $vgpr0
.LBB6_6215:                             ;   in Loop: Header=BB6_4748 Depth=3
	s_andn2_saveexec_b64 s[28:29], s[34:35]
; %bb.6216:                             ;   in Loop: Header=BB6_4748 Depth=3
	v_or_b32_e32 v17, 0x7b, v0
; %bb.6217:                             ;   in Loop: Header=BB6_4748 Depth=3
	s_or_b64 exec, exec, s[28:29]
                                        ; implicit-def: $vgpr5
                                        ; implicit-def: $vgpr3_vgpr4
.LBB6_6218:                             ;   in Loop: Header=BB6_4748 Depth=3
	s_andn2_saveexec_b64 s[28:29], s[30:31]
	s_cbranch_execz .LBB6_6224
; %bb.6219:                             ;   in Loop: Header=BB6_4748 Depth=3
	v_cmp_ne_u64_e32 vcc, 0, v[3:4]
                                        ; implicit-def: $vgpr17
	s_and_saveexec_b64 s[30:31], vcc
	s_xor_b64 vcc, exec, s[30:31]
; %bb.6220:                             ;   in Loop: Header=BB6_4748 Depth=3
	v_or_b32_sdwa v17, v5, s83 dst_sel:DWORD dst_unused:UNUSED_PAD src0_sel:BYTE_3 src1_sel:DWORD
                                        ; implicit-def: $vgpr5
; %bb.6221:                             ;   in Loop: Header=BB6_4748 Depth=3
	s_andn2_saveexec_b64 s[30:31], vcc
; %bb.6222:                             ;   in Loop: Header=BB6_4748 Depth=3
	v_cmp_lt_i32_e32 vcc, -1, v5
	v_bfrev_b32_e32 v0, 0.5
	v_mov_b32_e32 v3, 0x7c
	v_cndmask_b32_e32 v17, v0, v3, vcc
; %bb.6223:                             ;   in Loop: Header=BB6_4748 Depth=3
	s_or_b64 exec, exec, s[30:31]
.LBB6_6224:                             ;   in Loop: Header=BB6_4748 Depth=3
	s_or_b64 exec, exec, s[28:29]
	v_lshrrev_b16_e32 v3, 8, v22
	v_cmp_ne_u16_e32 vcc, 0, v3
	v_mov_b32_e32 v0, 0
	v_mov_b32_e32 v5, 0
	s_and_saveexec_b64 s[28:29], vcc
	s_cbranch_execz .LBB6_6232
; %bb.6225:                             ;   in Loop: Header=BB6_4748 Depth=3
	v_cmp_ne_u16_e32 vcc, s44, v3
	v_bfrev_b32_e32 v5, 1
	s_and_saveexec_b64 s[30:31], vcc
	s_cbranch_execz .LBB6_6231
; %bb.6226:                             ;   in Loop: Header=BB6_4748 Depth=3
	v_and_b32_e32 v4, 0x7c, v3
	v_and_b32_e32 v6, 3, v3
	v_cmp_ne_u32_e32 vcc, s81, v4
                                        ; implicit-def: $vgpr5
	s_and_saveexec_b64 s[34:35], vcc
	s_xor_b64 s[34:35], exec, s[34:35]
	s_cbranch_execz .LBB6_6228
; %bb.6227:                             ;   in Loop: Header=BB6_4748 Depth=3
	v_ffbh_u32_e32 v20, v6
	v_min_u32_e32 v20, 32, v20
	v_mov_b32_e32 v4, v34
	v_subrev_u32_e32 v21, 29, v20
	v_bfe_u32 v5, v3, 2, 5
	v_lshlrev_b64 v[3:4], v21, v[3:4]
	v_sub_u32_e32 v4, 30, v20
	v_cmp_eq_u32_e32 vcc, 0, v5
	v_cndmask_b32_e32 v4, v5, v4, vcc
	v_lshlrev_b32_e32 v5, 16, v22
	v_and_b32_e32 v3, 3, v3
	v_and_b32_e32 v5, 0x80000000, v5
	v_cndmask_b32_e32 v3, v6, v3, vcc
	v_lshl_add_u32 v4, v4, 23, v5
	v_lshl_or_b32 v3, v3, 21, v4
	v_add_u32_e32 v5, 0x38000000, v3
                                        ; implicit-def: $vgpr6
.LBB6_6228:                             ;   in Loop: Header=BB6_4748 Depth=3
	s_andn2_saveexec_b64 s[34:35], s[34:35]
; %bb.6229:                             ;   in Loop: Header=BB6_4748 Depth=3
	v_cmp_lt_i16_e32 vcc, -1, v22
	v_mov_b32_e32 v3, 0xff800000
	v_mov_b32_e32 v4, 0x7f800000
	v_cndmask_b32_e32 v3, v3, v4, vcc
	v_cmp_eq_u32_e32 vcc, 0, v6
	v_mov_b32_e32 v4, 0x7f800001
	v_cndmask_b32_e32 v5, v4, v3, vcc
; %bb.6230:                             ;   in Loop: Header=BB6_4748 Depth=3
	s_or_b64 exec, exec, s[34:35]
.LBB6_6231:                             ;   in Loop: Header=BB6_4748 Depth=3
	s_or_b64 exec, exec, s[30:31]
.LBB6_6232:                             ;   in Loop: Header=BB6_4748 Depth=3
	s_or_b64 exec, exec, s[28:29]
	v_lshrrev_b16_e32 v3, 8, v18
	v_cmp_ne_u16_e32 vcc, 0, v3
	s_and_saveexec_b64 s[28:29], vcc
	s_cbranch_execz .LBB6_6240
; %bb.6233:                             ;   in Loop: Header=BB6_4748 Depth=3
	v_cmp_ne_u16_e32 vcc, s44, v3
	v_bfrev_b32_e32 v0, 1
	s_and_saveexec_b64 s[30:31], vcc
	s_cbranch_execz .LBB6_6239
; %bb.6234:                             ;   in Loop: Header=BB6_4748 Depth=3
	v_and_b32_e32 v0, 0x7c, v3
	v_and_b32_e32 v6, 3, v3
	v_cmp_ne_u32_e32 vcc, s81, v0
                                        ; implicit-def: $vgpr0
	s_and_saveexec_b64 s[34:35], vcc
	s_xor_b64 s[34:35], exec, s[34:35]
	s_cbranch_execz .LBB6_6236
; %bb.6235:                             ;   in Loop: Header=BB6_4748 Depth=3
	v_ffbh_u32_e32 v20, v6
	v_min_u32_e32 v20, 32, v20
	v_mov_b32_e32 v4, v34
	v_subrev_u32_e32 v21, 29, v20
	v_bfe_u32 v0, v3, 2, 5
	v_lshlrev_b64 v[3:4], v21, v[3:4]
	v_sub_u32_e32 v4, 30, v20
	v_cmp_eq_u32_e32 vcc, 0, v0
	v_cndmask_b32_e32 v0, v0, v4, vcc
	v_lshlrev_b32_e32 v4, 16, v18
	v_and_b32_e32 v3, 3, v3
	v_and_b32_e32 v4, 0x80000000, v4
	v_cndmask_b32_e32 v3, v6, v3, vcc
	v_lshl_add_u32 v0, v0, 23, v4
	v_lshl_or_b32 v0, v3, 21, v0
	v_add_u32_e32 v0, 0x38000000, v0
                                        ; implicit-def: $vgpr6
.LBB6_6236:                             ;   in Loop: Header=BB6_4748 Depth=3
	s_andn2_saveexec_b64 s[34:35], s[34:35]
; %bb.6237:                             ;   in Loop: Header=BB6_4748 Depth=3
	v_cmp_lt_i16_e32 vcc, -1, v18
	v_mov_b32_e32 v0, 0xff800000
	v_mov_b32_e32 v3, 0x7f800000
	v_cndmask_b32_e32 v0, v0, v3, vcc
	v_cmp_eq_u32_e32 vcc, 0, v6
	v_mov_b32_e32 v3, 0x7f800001
	v_cndmask_b32_e32 v0, v3, v0, vcc
; %bb.6238:                             ;   in Loop: Header=BB6_4748 Depth=3
	s_or_b64 exec, exec, s[34:35]
.LBB6_6239:                             ;   in Loop: Header=BB6_4748 Depth=3
	s_or_b64 exec, exec, s[30:31]
.LBB6_6240:                             ;   in Loop: Header=BB6_4748 Depth=3
	s_or_b64 exec, exec, s[28:29]
	v_mul_f32_e32 v5, v5, v0
	v_and_b32_e32 v20, 0x7f800000, v5
	v_mov_b32_e32 v21, v34
	v_cmp_ne_u64_e32 vcc, s[76:77], v[20:21]
	v_and_b32_e32 v3, 0x7fffff, v5
	v_mov_b32_e32 v4, v34
                                        ; implicit-def: $vgpr20
	s_and_saveexec_b64 s[28:29], vcc
	s_xor_b64 s[30:31], exec, s[28:29]
	s_cbranch_execz .LBB6_6254
; %bb.6241:                             ;   in Loop: Header=BB6_4748 Depth=3
	v_and_b32_e32 v20, 0x7fffffff, v5
	v_mov_b32_e32 v21, v34
	v_cmp_gt_u64_e32 vcc, s[78:79], v[20:21]
	v_and_b32_sdwa v0, v5, s44 dst_sel:DWORD dst_unused:UNUSED_PAD src0_sel:BYTE_3 src1_sel:DWORD
                                        ; implicit-def: $vgpr20
	s_and_saveexec_b64 s[28:29], vcc
	s_xor_b64 s[34:35], exec, s[28:29]
	s_cbranch_execz .LBB6_6251
; %bb.6242:                             ;   in Loop: Header=BB6_4748 Depth=3
	v_mov_b32_e32 v20, 0
	v_cmp_ne_u32_e32 vcc, 0, v5
	s_and_saveexec_b64 s[36:37], vcc
	s_cbranch_execz .LBB6_6250
; %bb.6243:                             ;   in Loop: Header=BB6_4748 Depth=3
	v_bfe_u32 v6, v5, 23, 8
	v_cmp_gt_u32_e64 s[28:29], s45, v6
	v_sub_u32_e32 v5, 0x71, v6
	v_cmp_eq_u32_e32 vcc, 0, v6
	v_cndmask_b32_e64 v5, 0, v5, s[28:29]
	v_mov_b32_e32 v20, 0x70
	v_cndmask_b32_e32 v20, v5, v20, vcc
	v_add_u32_e32 v5, 21, v20
	v_or_b32_e32 v21, 0x800000, v3
	v_lshlrev_b64 v[37:38], v5, -1
	v_cndmask_b32_e32 v3, v21, v3, vcc
	v_add_u32_e32 v5, 20, v20
	v_bfi_b32 v37, v37, 0, v3
	v_lshlrev_b64 v[48:49], v5, 1
	v_lshrrev_b64 v[3:4], v20, v[3:4]
	v_bfi_b32 v38, v38, 0, 0
	v_cmp_eq_u64_e64 s[28:29], v[37:38], v[48:49]
	v_mov_b32_e32 v5, v4
	v_mov_b32_e32 v4, v3
	s_and_saveexec_b64 s[38:39], s[28:29]
; %bb.6244:                             ;   in Loop: Header=BB6_4748 Depth=3
	v_bfe_u32 v4, v3, 21, 1
	v_add_co_u32_e64 v4, s[28:29], v3, v4
	v_add_co_u32_e64 v4, s[28:29], -1, v4
; %bb.6245:                             ;   in Loop: Header=BB6_4748 Depth=3
	s_or_b64 exec, exec, s[38:39]
	v_add_u32_e32 v5, 0xffffff81, v6
	v_mov_b32_e32 v6, 0xffffff82
	v_cndmask_b32_e32 v5, v5, v6, vcc
	v_lshrrev_b32_e32 v6, 23, v3
	v_add3_u32 v20, v20, v5, v6
	v_add_u32_e32 v6, 14, v20
	v_and_b32_e32 v4, 0x1fffff, v4
	v_add_u32_e32 v3, v4, v3
	v_mov_b32_e32 v4, v34
	v_cmp_ne_u32_e32 vcc, 0, v6
                                        ; implicit-def: $vgpr5
	s_and_saveexec_b64 s[28:29], vcc
	s_xor_b64 s[28:29], exec, s[28:29]
; %bb.6246:                             ;   in Loop: Header=BB6_4748 Depth=3
	v_cmp_lt_u64_e32 vcc, s[88:89], v[3:4]
	v_add_u32_e32 v5, 15, v20
	v_cndmask_b32_e32 v5, v6, v5, vcc
	v_cndmask_b32_e64 v6, 0, 1, vcc
	v_lshrrev_b64 v[3:4], v6, v[3:4]
; %bb.6247:                             ;   in Loop: Header=BB6_4748 Depth=3
	s_andn2_saveexec_b64 s[28:29], s[28:29]
; %bb.6248:                             ;   in Loop: Header=BB6_4748 Depth=3
	v_bfe_u32 v5, v3, 23, 1
; %bb.6249:                             ;   in Loop: Header=BB6_4748 Depth=3
	s_or_b64 exec, exec, s[28:29]
	v_lshrrev_b64 v[3:4], 21, v[3:4]
	v_cmp_gt_i32_e32 vcc, 32, v5
	v_cndmask_b32_e32 v4, 0, v4, vcc
	v_cndmask_b32_e32 v3, 3, v3, vcc
	v_cmp_eq_u64_e64 s[28:29], 0, v[3:4]
	v_min_i32_e32 v4, 31, v5
	v_lshlrev_b32_e32 v4, 2, v4
	v_cmp_eq_u32_e32 vcc, 0, v5
	v_and_b32_e32 v4, 0xfc, v4
	v_and_or_b32 v3, v3, 3, v4
	s_and_b64 s[28:29], vcc, s[28:29]
	v_cndmask_b32_e64 v3, v3, 0, s[28:29]
	v_or_b32_e32 v20, v3, v0
.LBB6_6250:                             ;   in Loop: Header=BB6_4748 Depth=3
	s_or_b64 exec, exec, s[36:37]
                                        ; implicit-def: $vgpr0
.LBB6_6251:                             ;   in Loop: Header=BB6_4748 Depth=3
	s_andn2_saveexec_b64 s[28:29], s[34:35]
; %bb.6252:                             ;   in Loop: Header=BB6_4748 Depth=3
	v_or_b32_e32 v20, 0x7b, v0
; %bb.6253:                             ;   in Loop: Header=BB6_4748 Depth=3
	s_or_b64 exec, exec, s[28:29]
                                        ; implicit-def: $vgpr5
                                        ; implicit-def: $vgpr3_vgpr4
.LBB6_6254:                             ;   in Loop: Header=BB6_4748 Depth=3
	s_andn2_saveexec_b64 s[28:29], s[30:31]
	s_cbranch_execz .LBB6_6260
; %bb.6255:                             ;   in Loop: Header=BB6_4748 Depth=3
	v_cmp_ne_u64_e32 vcc, 0, v[3:4]
                                        ; implicit-def: $vgpr20
	s_and_saveexec_b64 s[30:31], vcc
	s_xor_b64 vcc, exec, s[30:31]
; %bb.6256:                             ;   in Loop: Header=BB6_4748 Depth=3
	v_or_b32_sdwa v20, v5, s83 dst_sel:DWORD dst_unused:UNUSED_PAD src0_sel:BYTE_3 src1_sel:DWORD
                                        ; implicit-def: $vgpr5
; %bb.6257:                             ;   in Loop: Header=BB6_4748 Depth=3
	s_andn2_saveexec_b64 s[30:31], vcc
; %bb.6258:                             ;   in Loop: Header=BB6_4748 Depth=3
	v_cmp_lt_i32_e32 vcc, -1, v5
	v_bfrev_b32_e32 v0, 0.5
	v_mov_b32_e32 v3, 0x7c
	v_cndmask_b32_e32 v20, v0, v3, vcc
; %bb.6259:                             ;   in Loop: Header=BB6_4748 Depth=3
	s_or_b64 exec, exec, s[30:31]
.LBB6_6260:                             ;   in Loop: Header=BB6_4748 Depth=3
	s_or_b64 exec, exec, s[28:29]
	v_lshrrev_b32_e32 v0, 16, v22
	v_cmp_ne_u16_sdwa vcc, v0, v34 src0_sel:BYTE_0 src1_sel:DWORD
	v_mov_b32_e32 v3, 0
	v_mov_b32_e32 v4, 0
	s_and_saveexec_b64 s[28:29], vcc
	s_cbranch_execz .LBB6_6268
; %bb.6261:                             ;   in Loop: Header=BB6_4748 Depth=3
	v_cmp_ne_u16_sdwa vcc, v0, s44 src0_sel:BYTE_0 src1_sel:DWORD
	v_bfrev_b32_e32 v4, 1
	s_and_saveexec_b64 s[30:31], vcc
	s_cbranch_execz .LBB6_6267
; %bb.6262:                             ;   in Loop: Header=BB6_4748 Depth=3
	v_and_b32_e32 v4, 0x7c0000, v22
	v_bfe_u32 v5, v22, 16, 2
	v_cmp_ne_u32_e32 vcc, s9, v4
                                        ; implicit-def: $vgpr4
	s_and_saveexec_b64 s[34:35], vcc
	s_xor_b64 s[34:35], exec, s[34:35]
	s_cbranch_execz .LBB6_6264
; %bb.6263:                             ;   in Loop: Header=BB6_4748 Depth=3
	v_ffbh_u32_e32 v6, v5
	v_min_u32_e32 v6, 32, v6
	v_subrev_u32_e32 v21, 29, v6
	v_lshlrev_b64 v[37:38], v21, v[0:1]
	v_bfe_u32 v4, v22, 18, 5
	v_sub_u32_e32 v0, 30, v6
	v_and_b32_e32 v6, 3, v37
	v_cmp_eq_u32_e32 vcc, 0, v4
	v_cndmask_b32_e32 v0, v4, v0, vcc
	v_cndmask_b32_e32 v4, v5, v6, vcc
	v_lshlrev_b32_e32 v5, 8, v22
	v_and_b32_e32 v5, 0x80000000, v5
	v_lshl_add_u32 v0, v0, 23, v5
	v_lshl_or_b32 v0, v4, 21, v0
	v_add_u32_e32 v4, 0x38000000, v0
                                        ; implicit-def: $vgpr5
                                        ; implicit-def: $vgpr0
.LBB6_6264:                             ;   in Loop: Header=BB6_4748 Depth=3
	s_andn2_saveexec_b64 s[34:35], s[34:35]
; %bb.6265:                             ;   in Loop: Header=BB6_4748 Depth=3
	v_mov_b32_e32 v4, -1
	v_cmp_gt_i16_sdwa vcc, sext(v0), v4 src0_sel:BYTE_0 src1_sel:DWORD
	v_mov_b32_e32 v0, 0xff800000
	v_mov_b32_e32 v4, 0x7f800000
	v_cndmask_b32_e32 v0, v0, v4, vcc
	v_cmp_eq_u32_e32 vcc, 0, v5
	v_mov_b32_e32 v4, 0x7f800001
	v_cndmask_b32_e32 v4, v4, v0, vcc
; %bb.6266:                             ;   in Loop: Header=BB6_4748 Depth=3
	s_or_b64 exec, exec, s[34:35]
.LBB6_6267:                             ;   in Loop: Header=BB6_4748 Depth=3
	s_or_b64 exec, exec, s[30:31]
.LBB6_6268:                             ;   in Loop: Header=BB6_4748 Depth=3
	s_or_b64 exec, exec, s[28:29]
	v_lshrrev_b32_e32 v0, 16, v18
	v_cmp_ne_u16_sdwa vcc, v0, v34 src0_sel:BYTE_0 src1_sel:DWORD
	s_and_saveexec_b64 s[28:29], vcc
	s_cbranch_execz .LBB6_6276
; %bb.6269:                             ;   in Loop: Header=BB6_4748 Depth=3
	v_cmp_ne_u16_sdwa vcc, v0, s44 src0_sel:BYTE_0 src1_sel:DWORD
	v_bfrev_b32_e32 v3, 1
	s_and_saveexec_b64 s[30:31], vcc
	s_cbranch_execz .LBB6_6275
; %bb.6270:                             ;   in Loop: Header=BB6_4748 Depth=3
	v_and_b32_e32 v3, 0x7c0000, v18
	v_bfe_u32 v5, v18, 16, 2
	v_cmp_ne_u32_e32 vcc, s9, v3
                                        ; implicit-def: $vgpr3
	s_and_saveexec_b64 s[34:35], vcc
	s_xor_b64 s[34:35], exec, s[34:35]
	s_cbranch_execz .LBB6_6272
; %bb.6271:                             ;   in Loop: Header=BB6_4748 Depth=3
	v_ffbh_u32_e32 v6, v5
	v_min_u32_e32 v6, 32, v6
	v_subrev_u32_e32 v21, 29, v6
	v_lshlrev_b64 v[37:38], v21, v[0:1]
	v_bfe_u32 v3, v18, 18, 5
	v_sub_u32_e32 v0, 30, v6
	v_and_b32_e32 v6, 3, v37
	v_cmp_eq_u32_e32 vcc, 0, v3
	v_cndmask_b32_e32 v0, v3, v0, vcc
	v_cndmask_b32_e32 v3, v5, v6, vcc
	v_lshlrev_b32_e32 v5, 8, v18
	v_and_b32_e32 v5, 0x80000000, v5
	v_lshl_add_u32 v0, v0, 23, v5
	v_lshl_or_b32 v0, v3, 21, v0
	v_add_u32_e32 v3, 0x38000000, v0
                                        ; implicit-def: $vgpr5
                                        ; implicit-def: $vgpr0
.LBB6_6272:                             ;   in Loop: Header=BB6_4748 Depth=3
	s_andn2_saveexec_b64 s[34:35], s[34:35]
; %bb.6273:                             ;   in Loop: Header=BB6_4748 Depth=3
	v_mov_b32_e32 v3, -1
	v_cmp_gt_i16_sdwa vcc, sext(v0), v3 src0_sel:BYTE_0 src1_sel:DWORD
	v_mov_b32_e32 v0, 0xff800000
	v_mov_b32_e32 v3, 0x7f800000
	v_cndmask_b32_e32 v0, v0, v3, vcc
	v_cmp_eq_u32_e32 vcc, 0, v5
	v_mov_b32_e32 v3, 0x7f800001
	v_cndmask_b32_e32 v3, v3, v0, vcc
; %bb.6274:                             ;   in Loop: Header=BB6_4748 Depth=3
	s_or_b64 exec, exec, s[34:35]
.LBB6_6275:                             ;   in Loop: Header=BB6_4748 Depth=3
	s_or_b64 exec, exec, s[30:31]
.LBB6_6276:                             ;   in Loop: Header=BB6_4748 Depth=3
	s_or_b64 exec, exec, s[28:29]
	v_mul_f32_e32 v5, v4, v3
	v_and_b32_e32 v37, 0x7f800000, v5
	v_mov_b32_e32 v38, v34
	v_cmp_ne_u64_e32 vcc, s[76:77], v[37:38]
	v_and_b32_e32 v3, 0x7fffff, v5
	v_mov_b32_e32 v4, v34
                                        ; implicit-def: $vgpr21
	s_and_saveexec_b64 s[28:29], vcc
	s_xor_b64 s[30:31], exec, s[28:29]
	s_cbranch_execz .LBB6_6290
; %bb.6277:                             ;   in Loop: Header=BB6_4748 Depth=3
	v_and_b32_e32 v37, 0x7fffffff, v5
	v_mov_b32_e32 v38, v34
	v_cmp_gt_u64_e32 vcc, s[78:79], v[37:38]
	v_and_b32_sdwa v0, v5, s44 dst_sel:DWORD dst_unused:UNUSED_PAD src0_sel:BYTE_3 src1_sel:DWORD
                                        ; implicit-def: $vgpr21
	s_and_saveexec_b64 s[28:29], vcc
	s_xor_b64 s[34:35], exec, s[28:29]
	s_cbranch_execz .LBB6_6287
; %bb.6278:                             ;   in Loop: Header=BB6_4748 Depth=3
	v_mov_b32_e32 v21, 0
	v_cmp_ne_u32_e32 vcc, 0, v5
	s_and_saveexec_b64 s[36:37], vcc
	s_cbranch_execz .LBB6_6286
; %bb.6279:                             ;   in Loop: Header=BB6_4748 Depth=3
	v_bfe_u32 v6, v5, 23, 8
	v_cmp_gt_u32_e64 s[28:29], s45, v6
	v_sub_u32_e32 v5, 0x71, v6
	v_cmp_eq_u32_e32 vcc, 0, v6
	v_cndmask_b32_e64 v5, 0, v5, s[28:29]
	v_mov_b32_e32 v21, 0x70
	v_cndmask_b32_e32 v21, v5, v21, vcc
	v_add_u32_e32 v5, 21, v21
	v_or_b32_e32 v32, 0x800000, v3
	v_lshlrev_b64 v[37:38], v5, -1
	v_cndmask_b32_e32 v3, v32, v3, vcc
	v_add_u32_e32 v5, 20, v21
	v_bfi_b32 v37, v37, 0, v3
	v_lshlrev_b64 v[48:49], v5, 1
	v_lshrrev_b64 v[3:4], v21, v[3:4]
	v_bfi_b32 v38, v38, 0, 0
	v_cmp_eq_u64_e64 s[28:29], v[37:38], v[48:49]
	v_mov_b32_e32 v5, v4
	v_mov_b32_e32 v4, v3
	s_and_saveexec_b64 s[38:39], s[28:29]
; %bb.6280:                             ;   in Loop: Header=BB6_4748 Depth=3
	v_bfe_u32 v4, v3, 21, 1
	v_add_co_u32_e64 v4, s[28:29], v3, v4
	v_add_co_u32_e64 v4, s[28:29], -1, v4
; %bb.6281:                             ;   in Loop: Header=BB6_4748 Depth=3
	s_or_b64 exec, exec, s[38:39]
	v_add_u32_e32 v5, 0xffffff81, v6
	v_mov_b32_e32 v6, 0xffffff82
	v_cndmask_b32_e32 v5, v5, v6, vcc
	v_lshrrev_b32_e32 v6, 23, v3
	v_add3_u32 v21, v21, v5, v6
	v_add_u32_e32 v6, 14, v21
	v_and_b32_e32 v4, 0x1fffff, v4
	v_add_u32_e32 v3, v4, v3
	v_mov_b32_e32 v4, v34
	v_cmp_ne_u32_e32 vcc, 0, v6
                                        ; implicit-def: $vgpr5
	s_and_saveexec_b64 s[28:29], vcc
	s_xor_b64 s[28:29], exec, s[28:29]
; %bb.6282:                             ;   in Loop: Header=BB6_4748 Depth=3
	v_cmp_lt_u64_e32 vcc, s[88:89], v[3:4]
	v_add_u32_e32 v5, 15, v21
	v_cndmask_b32_e32 v5, v6, v5, vcc
	v_cndmask_b32_e64 v6, 0, 1, vcc
	v_lshrrev_b64 v[3:4], v6, v[3:4]
; %bb.6283:                             ;   in Loop: Header=BB6_4748 Depth=3
	s_andn2_saveexec_b64 s[28:29], s[28:29]
; %bb.6284:                             ;   in Loop: Header=BB6_4748 Depth=3
	v_bfe_u32 v5, v3, 23, 1
; %bb.6285:                             ;   in Loop: Header=BB6_4748 Depth=3
	s_or_b64 exec, exec, s[28:29]
	v_lshrrev_b64 v[3:4], 21, v[3:4]
	v_cmp_gt_i32_e32 vcc, 32, v5
	v_cndmask_b32_e32 v4, 0, v4, vcc
	v_cndmask_b32_e32 v3, 3, v3, vcc
	v_cmp_eq_u64_e64 s[28:29], 0, v[3:4]
	v_min_i32_e32 v4, 31, v5
	v_lshlrev_b32_e32 v4, 2, v4
	v_cmp_eq_u32_e32 vcc, 0, v5
	v_and_b32_e32 v4, 0xfc, v4
	v_and_or_b32 v3, v3, 3, v4
	s_and_b64 s[28:29], vcc, s[28:29]
	v_cndmask_b32_e64 v3, v3, 0, s[28:29]
	v_or_b32_e32 v21, v3, v0
.LBB6_6286:                             ;   in Loop: Header=BB6_4748 Depth=3
	s_or_b64 exec, exec, s[36:37]
                                        ; implicit-def: $vgpr0
.LBB6_6287:                             ;   in Loop: Header=BB6_4748 Depth=3
	s_andn2_saveexec_b64 s[28:29], s[34:35]
; %bb.6288:                             ;   in Loop: Header=BB6_4748 Depth=3
	v_or_b32_e32 v21, 0x7b, v0
; %bb.6289:                             ;   in Loop: Header=BB6_4748 Depth=3
	s_or_b64 exec, exec, s[28:29]
                                        ; implicit-def: $vgpr5
                                        ; implicit-def: $vgpr3_vgpr4
.LBB6_6290:                             ;   in Loop: Header=BB6_4748 Depth=3
	s_andn2_saveexec_b64 s[28:29], s[30:31]
	s_cbranch_execz .LBB6_6296
; %bb.6291:                             ;   in Loop: Header=BB6_4748 Depth=3
	v_cmp_ne_u64_e32 vcc, 0, v[3:4]
                                        ; implicit-def: $vgpr21
	s_and_saveexec_b64 s[30:31], vcc
	s_xor_b64 vcc, exec, s[30:31]
; %bb.6292:                             ;   in Loop: Header=BB6_4748 Depth=3
	v_or_b32_sdwa v21, v5, s83 dst_sel:DWORD dst_unused:UNUSED_PAD src0_sel:BYTE_3 src1_sel:DWORD
                                        ; implicit-def: $vgpr5
; %bb.6293:                             ;   in Loop: Header=BB6_4748 Depth=3
	s_andn2_saveexec_b64 s[30:31], vcc
; %bb.6294:                             ;   in Loop: Header=BB6_4748 Depth=3
	v_cmp_lt_i32_e32 vcc, -1, v5
	v_bfrev_b32_e32 v0, 0.5
	v_mov_b32_e32 v3, 0x7c
	v_cndmask_b32_e32 v21, v0, v3, vcc
; %bb.6295:                             ;   in Loop: Header=BB6_4748 Depth=3
	s_or_b64 exec, exec, s[30:31]
.LBB6_6296:                             ;   in Loop: Header=BB6_4748 Depth=3
	s_or_b64 exec, exec, s[28:29]
	v_cmp_lt_u32_e32 vcc, s57, v22
	v_mov_b32_e32 v3, 0
	v_mov_b32_e32 v4, 0
	s_and_saveexec_b64 s[28:29], vcc
	s_cbranch_execz .LBB6_6304
; %bb.6297:                             ;   in Loop: Header=BB6_4748 Depth=3
	v_lshrrev_b32_e32 v0, 24, v22
	v_cmp_ne_u32_e32 vcc, s44, v0
	v_bfrev_b32_e32 v4, 1
	s_and_saveexec_b64 s[30:31], vcc
	s_cbranch_execz .LBB6_6303
; %bb.6298:                             ;   in Loop: Header=BB6_4748 Depth=3
	v_and_b32_e32 v4, 0x7c000000, v22
	v_bfe_u32 v5, v22, 24, 2
	v_cmp_ne_u32_e32 vcc, s8, v4
                                        ; implicit-def: $vgpr4
	s_and_saveexec_b64 s[34:35], vcc
	s_xor_b64 s[34:35], exec, s[34:35]
	s_cbranch_execz .LBB6_6300
; %bb.6299:                             ;   in Loop: Header=BB6_4748 Depth=3
	v_ffbh_u32_e32 v6, v5
	v_min_u32_e32 v6, 32, v6
	v_subrev_u32_e32 v32, 29, v6
	v_lshlrev_b64 v[37:38], v32, v[0:1]
	v_bfe_u32 v4, v22, 26, 5
	v_sub_u32_e32 v0, 30, v6
	v_and_b32_e32 v6, 3, v37
	v_cmp_eq_u32_e32 vcc, 0, v4
	v_cndmask_b32_e32 v0, v4, v0, vcc
	v_cndmask_b32_e32 v4, v5, v6, vcc
	v_and_b32_e32 v5, 0x80000000, v22
	v_lshl_add_u32 v0, v0, 23, v5
	v_lshl_or_b32 v0, v4, 21, v0
	v_add_u32_e32 v4, 0x38000000, v0
                                        ; implicit-def: $vgpr5
.LBB6_6300:                             ;   in Loop: Header=BB6_4748 Depth=3
	s_andn2_saveexec_b64 s[34:35], s[34:35]
; %bb.6301:                             ;   in Loop: Header=BB6_4748 Depth=3
	v_cmp_lt_i32_e32 vcc, -1, v22
	v_mov_b32_e32 v0, 0xff800000
	v_mov_b32_e32 v4, 0x7f800000
	v_cndmask_b32_e32 v0, v0, v4, vcc
	v_cmp_eq_u32_e32 vcc, 0, v5
	v_mov_b32_e32 v4, 0x7f800001
	v_cndmask_b32_e32 v4, v4, v0, vcc
; %bb.6302:                             ;   in Loop: Header=BB6_4748 Depth=3
	s_or_b64 exec, exec, s[34:35]
.LBB6_6303:                             ;   in Loop: Header=BB6_4748 Depth=3
	s_or_b64 exec, exec, s[30:31]
.LBB6_6304:                             ;   in Loop: Header=BB6_4748 Depth=3
	s_or_b64 exec, exec, s[28:29]
	v_cmp_lt_u32_e32 vcc, s57, v18
	s_and_saveexec_b64 s[28:29], vcc
	s_cbranch_execz .LBB6_6312
; %bb.6305:                             ;   in Loop: Header=BB6_4748 Depth=3
	v_lshrrev_b32_e32 v0, 24, v18
	v_cmp_ne_u32_e32 vcc, s44, v0
	v_bfrev_b32_e32 v3, 1
	s_and_saveexec_b64 s[30:31], vcc
	s_cbranch_execz .LBB6_6311
; %bb.6306:                             ;   in Loop: Header=BB6_4748 Depth=3
	v_and_b32_e32 v3, 0x7c000000, v18
	v_bfe_u32 v5, v18, 24, 2
	v_cmp_ne_u32_e32 vcc, s8, v3
                                        ; implicit-def: $vgpr3
	s_and_saveexec_b64 s[34:35], vcc
	s_xor_b64 s[34:35], exec, s[34:35]
	s_cbranch_execz .LBB6_6308
; %bb.6307:                             ;   in Loop: Header=BB6_4748 Depth=3
	v_ffbh_u32_e32 v6, v5
	v_min_u32_e32 v6, 32, v6
	v_subrev_u32_e32 v32, 29, v6
	v_lshlrev_b64 v[37:38], v32, v[0:1]
	v_bfe_u32 v3, v18, 26, 5
	v_sub_u32_e32 v0, 30, v6
	v_and_b32_e32 v6, 3, v37
	v_cmp_eq_u32_e32 vcc, 0, v3
	v_cndmask_b32_e32 v0, v3, v0, vcc
	v_cndmask_b32_e32 v3, v5, v6, vcc
	v_and_b32_e32 v5, 0x80000000, v18
	v_lshl_add_u32 v0, v0, 23, v5
	v_lshl_or_b32 v0, v3, 21, v0
	v_add_u32_e32 v3, 0x38000000, v0
                                        ; implicit-def: $vgpr5
.LBB6_6308:                             ;   in Loop: Header=BB6_4748 Depth=3
	s_andn2_saveexec_b64 s[34:35], s[34:35]
; %bb.6309:                             ;   in Loop: Header=BB6_4748 Depth=3
	v_cmp_lt_i32_e32 vcc, -1, v18
	v_mov_b32_e32 v0, 0xff800000
	v_mov_b32_e32 v3, 0x7f800000
	v_cndmask_b32_e32 v0, v0, v3, vcc
	v_cmp_eq_u32_e32 vcc, 0, v5
	v_mov_b32_e32 v3, 0x7f800001
	v_cndmask_b32_e32 v3, v3, v0, vcc
; %bb.6310:                             ;   in Loop: Header=BB6_4748 Depth=3
	s_or_b64 exec, exec, s[34:35]
.LBB6_6311:                             ;   in Loop: Header=BB6_4748 Depth=3
	s_or_b64 exec, exec, s[30:31]
.LBB6_6312:                             ;   in Loop: Header=BB6_4748 Depth=3
	s_or_b64 exec, exec, s[28:29]
	v_mul_f32_e32 v5, v4, v3
	v_and_b32_e32 v37, 0x7f800000, v5
	v_mov_b32_e32 v38, v34
	v_cmp_ne_u64_e32 vcc, s[76:77], v[37:38]
	v_and_b32_e32 v3, 0x7fffff, v5
	v_mov_b32_e32 v4, v34
                                        ; implicit-def: $vgpr37
	s_and_saveexec_b64 s[28:29], vcc
	s_xor_b64 s[30:31], exec, s[28:29]
	s_cbranch_execz .LBB6_6326
; %bb.6313:                             ;   in Loop: Header=BB6_4748 Depth=3
	v_and_b32_e32 v37, 0x7fffffff, v5
	v_mov_b32_e32 v38, v34
	v_cmp_gt_u64_e32 vcc, s[78:79], v[37:38]
	v_and_b32_sdwa v0, v5, s44 dst_sel:DWORD dst_unused:UNUSED_PAD src0_sel:BYTE_3 src1_sel:DWORD
                                        ; implicit-def: $vgpr37
	s_and_saveexec_b64 s[28:29], vcc
	s_xor_b64 s[34:35], exec, s[28:29]
	s_cbranch_execz .LBB6_6323
; %bb.6314:                             ;   in Loop: Header=BB6_4748 Depth=3
	v_mov_b32_e32 v37, 0
	v_cmp_ne_u32_e32 vcc, 0, v5
	s_and_saveexec_b64 s[36:37], vcc
	s_cbranch_execz .LBB6_6322
; %bb.6315:                             ;   in Loop: Header=BB6_4748 Depth=3
	v_bfe_u32 v6, v5, 23, 8
	v_cmp_gt_u32_e64 s[28:29], s45, v6
	v_sub_u32_e32 v5, 0x71, v6
	v_cmp_eq_u32_e32 vcc, 0, v6
	v_cndmask_b32_e64 v5, 0, v5, s[28:29]
	v_mov_b32_e32 v33, 0x70
	v_cndmask_b32_e32 v37, v5, v33, vcc
	v_add_u32_e32 v5, 21, v37
	v_or_b32_e32 v32, 0x800000, v3
	v_lshlrev_b64 v[38:39], v5, -1
	v_cndmask_b32_e32 v3, v32, v3, vcc
	v_add_u32_e32 v5, 20, v37
	v_bfi_b32 v38, v38, 0, v3
	v_lshlrev_b64 v[48:49], v5, 1
	v_lshrrev_b64 v[3:4], v37, v[3:4]
	v_bfi_b32 v39, v39, 0, 0
	v_cmp_eq_u64_e64 s[28:29], v[38:39], v[48:49]
	v_mov_b32_e32 v5, v4
	v_mov_b32_e32 v4, v3
	s_and_saveexec_b64 s[38:39], s[28:29]
; %bb.6316:                             ;   in Loop: Header=BB6_4748 Depth=3
	v_bfe_u32 v4, v3, 21, 1
	v_add_co_u32_e64 v4, s[28:29], v3, v4
	v_add_co_u32_e64 v4, s[28:29], -1, v4
; %bb.6317:                             ;   in Loop: Header=BB6_4748 Depth=3
	s_or_b64 exec, exec, s[38:39]
	v_add_u32_e32 v5, 0xffffff81, v6
	v_mov_b32_e32 v6, 0xffffff82
	v_cndmask_b32_e32 v5, v5, v6, vcc
	v_lshrrev_b32_e32 v6, 23, v3
	v_add3_u32 v37, v37, v5, v6
	v_add_u32_e32 v6, 14, v37
	v_and_b32_e32 v4, 0x1fffff, v4
	v_add_u32_e32 v3, v4, v3
	v_mov_b32_e32 v4, v34
	v_cmp_ne_u32_e32 vcc, 0, v6
                                        ; implicit-def: $vgpr5
	s_and_saveexec_b64 s[28:29], vcc
	s_xor_b64 s[28:29], exec, s[28:29]
; %bb.6318:                             ;   in Loop: Header=BB6_4748 Depth=3
	v_cmp_lt_u64_e32 vcc, s[88:89], v[3:4]
	v_add_u32_e32 v5, 15, v37
	v_cndmask_b32_e32 v5, v6, v5, vcc
	v_cndmask_b32_e64 v6, 0, 1, vcc
	v_lshrrev_b64 v[3:4], v6, v[3:4]
; %bb.6319:                             ;   in Loop: Header=BB6_4748 Depth=3
	s_andn2_saveexec_b64 s[28:29], s[28:29]
; %bb.6320:                             ;   in Loop: Header=BB6_4748 Depth=3
	v_bfe_u32 v5, v3, 23, 1
; %bb.6321:                             ;   in Loop: Header=BB6_4748 Depth=3
	s_or_b64 exec, exec, s[28:29]
	v_lshrrev_b64 v[3:4], 21, v[3:4]
	v_cmp_gt_i32_e32 vcc, 32, v5
	v_cndmask_b32_e32 v4, 0, v4, vcc
	v_cndmask_b32_e32 v3, 3, v3, vcc
	v_cmp_eq_u64_e64 s[28:29], 0, v[3:4]
	v_min_i32_e32 v4, 31, v5
	v_lshlrev_b32_e32 v4, 2, v4
	v_cmp_eq_u32_e32 vcc, 0, v5
	v_and_b32_e32 v4, 0xfc, v4
	v_and_or_b32 v3, v3, 3, v4
	s_and_b64 s[28:29], vcc, s[28:29]
	v_cndmask_b32_e64 v3, v3, 0, s[28:29]
	v_or_b32_e32 v37, v3, v0
.LBB6_6322:                             ;   in Loop: Header=BB6_4748 Depth=3
	s_or_b64 exec, exec, s[36:37]
                                        ; implicit-def: $vgpr0
.LBB6_6323:                             ;   in Loop: Header=BB6_4748 Depth=3
	s_andn2_saveexec_b64 s[28:29], s[34:35]
; %bb.6324:                             ;   in Loop: Header=BB6_4748 Depth=3
	v_or_b32_e32 v37, 0x7b, v0
; %bb.6325:                             ;   in Loop: Header=BB6_4748 Depth=3
	s_or_b64 exec, exec, s[28:29]
                                        ; implicit-def: $vgpr5
                                        ; implicit-def: $vgpr3_vgpr4
.LBB6_6326:                             ;   in Loop: Header=BB6_4748 Depth=3
	s_andn2_saveexec_b64 s[28:29], s[30:31]
	s_cbranch_execz .LBB6_6332
; %bb.6327:                             ;   in Loop: Header=BB6_4748 Depth=3
	v_cmp_ne_u64_e32 vcc, 0, v[3:4]
                                        ; implicit-def: $vgpr37
	s_and_saveexec_b64 s[30:31], vcc
	s_xor_b64 vcc, exec, s[30:31]
; %bb.6328:                             ;   in Loop: Header=BB6_4748 Depth=3
	v_or_b32_sdwa v37, v5, s83 dst_sel:DWORD dst_unused:UNUSED_PAD src0_sel:BYTE_3 src1_sel:DWORD
                                        ; implicit-def: $vgpr5
; %bb.6329:                             ;   in Loop: Header=BB6_4748 Depth=3
	s_andn2_saveexec_b64 s[30:31], vcc
; %bb.6330:                             ;   in Loop: Header=BB6_4748 Depth=3
	v_cmp_lt_i32_e32 vcc, -1, v5
	v_bfrev_b32_e32 v0, 0.5
	v_mov_b32_e32 v3, 0x7c
	v_cndmask_b32_e32 v37, v0, v3, vcc
; %bb.6331:                             ;   in Loop: Header=BB6_4748 Depth=3
	s_or_b64 exec, exec, s[30:31]
.LBB6_6332:                             ;   in Loop: Header=BB6_4748 Depth=3
	s_or_b64 exec, exec, s[28:29]
	v_mov_b32_e32 v3, v23
	v_mov_b32_e32 v4, v34
	v_cmp_ne_u16_sdwa vcc, v23, v34 src0_sel:BYTE_0 src1_sel:DWORD
	v_mov_b32_e32 v5, 0
	v_mov_b32_e32 v0, 0
	s_and_saveexec_b64 s[28:29], vcc
	s_cbranch_execz .LBB6_6340
; %bb.6333:                             ;   in Loop: Header=BB6_4748 Depth=3
	v_cmp_ne_u16_sdwa vcc, v23, s44 src0_sel:BYTE_0 src1_sel:DWORD
	v_bfrev_b32_e32 v0, 1
	s_and_saveexec_b64 s[30:31], vcc
	s_cbranch_execz .LBB6_6339
; %bb.6334:                             ;   in Loop: Header=BB6_4748 Depth=3
	v_and_b32_e32 v0, 0x7c, v23
	v_and_b32_e32 v6, 3, v23
	v_cmp_ne_u32_e32 vcc, s81, v0
                                        ; implicit-def: $vgpr0
	s_and_saveexec_b64 s[34:35], vcc
	s_xor_b64 s[34:35], exec, s[34:35]
	s_cbranch_execz .LBB6_6336
; %bb.6335:                             ;   in Loop: Header=BB6_4748 Depth=3
	v_ffbh_u32_e32 v32, v6
	v_min_u32_e32 v32, 32, v32
	v_subrev_u32_e32 v33, 29, v32
	v_lshlrev_b64 v[38:39], v33, v[3:4]
	v_bfe_u32 v0, v23, 2, 5
	v_sub_u32_e32 v4, 30, v32
	v_and_b32_e32 v32, 3, v38
	v_cmp_eq_u32_e32 vcc, 0, v0
	v_cndmask_b32_e32 v0, v0, v4, vcc
	v_cndmask_b32_e32 v4, v6, v32, vcc
	v_lshlrev_b32_e32 v6, 24, v23
	v_and_b32_e32 v6, 0x80000000, v6
	v_lshl_add_u32 v0, v0, 23, v6
	v_lshl_or_b32 v0, v4, 21, v0
	v_add_u32_e32 v0, 0x38000000, v0
                                        ; implicit-def: $vgpr6
.LBB6_6336:                             ;   in Loop: Header=BB6_4748 Depth=3
	s_andn2_saveexec_b64 s[34:35], s[34:35]
; %bb.6337:                             ;   in Loop: Header=BB6_4748 Depth=3
	v_mov_b32_e32 v0, -1
	v_cmp_gt_i16_sdwa vcc, sext(v23), v0 src0_sel:BYTE_0 src1_sel:DWORD
	v_mov_b32_e32 v0, 0xff800000
	v_mov_b32_e32 v4, 0x7f800000
	v_cndmask_b32_e32 v0, v0, v4, vcc
	v_cmp_eq_u32_e32 vcc, 0, v6
	v_mov_b32_e32 v4, 0x7f800001
	v_cndmask_b32_e32 v0, v4, v0, vcc
; %bb.6338:                             ;   in Loop: Header=BB6_4748 Depth=3
	s_or_b64 exec, exec, s[34:35]
.LBB6_6339:                             ;   in Loop: Header=BB6_4748 Depth=3
	s_or_b64 exec, exec, s[30:31]
.LBB6_6340:                             ;   in Loop: Header=BB6_4748 Depth=3
	s_or_b64 exec, exec, s[28:29]
	v_cmp_ne_u16_sdwa vcc, v19, v34 src0_sel:BYTE_0 src1_sel:DWORD
	s_and_saveexec_b64 s[28:29], vcc
	s_cbranch_execz .LBB6_6348
; %bb.6341:                             ;   in Loop: Header=BB6_4748 Depth=3
	v_cmp_ne_u16_sdwa vcc, v19, s44 src0_sel:BYTE_0 src1_sel:DWORD
	v_bfrev_b32_e32 v5, 1
	s_and_saveexec_b64 s[30:31], vcc
	s_cbranch_execz .LBB6_6347
; %bb.6342:                             ;   in Loop: Header=BB6_4748 Depth=3
	v_and_b32_e32 v5, 0x7c, v19
	v_and_b32_e32 v4, 3, v19
	v_cmp_ne_u32_e32 vcc, s81, v5
                                        ; implicit-def: $vgpr5
	s_and_saveexec_b64 s[34:35], vcc
	s_xor_b64 s[34:35], exec, s[34:35]
	s_cbranch_execz .LBB6_6344
; %bb.6343:                             ;   in Loop: Header=BB6_4748 Depth=3
	v_ffbh_u32_e32 v33, v4
	v_min_u32_e32 v33, 32, v33
	v_mov_b32_e32 v5, v19
	v_mov_b32_e32 v6, v34
	v_subrev_u32_e32 v38, 29, v33
	v_lshlrev_b64 v[5:6], v38, v[5:6]
	v_bfe_u32 v32, v19, 2, 5
	v_and_b32_e32 v5, 3, v5
	v_cmp_eq_u32_e32 vcc, 0, v32
	v_sub_u32_e32 v6, 30, v33
	v_cndmask_b32_e32 v4, v4, v5, vcc
	v_lshlrev_b32_e32 v5, 24, v19
	v_cndmask_b32_e32 v6, v32, v6, vcc
	v_and_b32_e32 v5, 0x80000000, v5
	v_lshl_add_u32 v5, v6, 23, v5
	v_lshl_or_b32 v4, v4, 21, v5
	v_add_u32_e32 v5, 0x38000000, v4
                                        ; implicit-def: $vgpr4
.LBB6_6344:                             ;   in Loop: Header=BB6_4748 Depth=3
	s_andn2_saveexec_b64 s[34:35], s[34:35]
; %bb.6345:                             ;   in Loop: Header=BB6_4748 Depth=3
	v_mov_b32_e32 v5, -1
	v_cmp_gt_i16_sdwa vcc, sext(v19), v5 src0_sel:BYTE_0 src1_sel:DWORD
	v_mov_b32_e32 v5, 0xff800000
	v_mov_b32_e32 v6, 0x7f800000
	v_cndmask_b32_e32 v5, v5, v6, vcc
	v_cmp_eq_u32_e32 vcc, 0, v4
	v_mov_b32_e32 v4, 0x7f800001
	v_cndmask_b32_e32 v5, v4, v5, vcc
; %bb.6346:                             ;   in Loop: Header=BB6_4748 Depth=3
	s_or_b64 exec, exec, s[34:35]
.LBB6_6347:                             ;   in Loop: Header=BB6_4748 Depth=3
	s_or_b64 exec, exec, s[30:31]
.LBB6_6348:                             ;   in Loop: Header=BB6_4748 Depth=3
	s_or_b64 exec, exec, s[28:29]
	v_mul_f32_e32 v6, v0, v5
	v_and_b32_e32 v38, 0x7f800000, v6
	v_mov_b32_e32 v39, v34
	v_cmp_ne_u64_e32 vcc, s[76:77], v[38:39]
	v_and_b32_e32 v4, 0x7fffff, v6
	v_mov_b32_e32 v5, v34
                                        ; implicit-def: $vgpr48
	s_and_saveexec_b64 s[28:29], vcc
	s_xor_b64 s[30:31], exec, s[28:29]
	s_cbranch_execz .LBB6_6362
; %bb.6349:                             ;   in Loop: Header=BB6_4748 Depth=3
	v_and_b32_e32 v38, 0x7fffffff, v6
	v_mov_b32_e32 v39, v34
	v_cmp_gt_u64_e32 vcc, s[78:79], v[38:39]
	v_and_b32_sdwa v0, v6, s44 dst_sel:DWORD dst_unused:UNUSED_PAD src0_sel:BYTE_3 src1_sel:DWORD
                                        ; implicit-def: $vgpr48
	s_and_saveexec_b64 s[28:29], vcc
	s_xor_b64 s[34:35], exec, s[28:29]
	s_cbranch_execz .LBB6_6359
; %bb.6350:                             ;   in Loop: Header=BB6_4748 Depth=3
	v_mov_b32_e32 v48, 0
	v_cmp_ne_u32_e32 vcc, 0, v6
	s_and_saveexec_b64 s[36:37], vcc
	s_cbranch_execz .LBB6_6358
; %bb.6351:                             ;   in Loop: Header=BB6_4748 Depth=3
	v_bfe_u32 v38, v6, 23, 8
	v_cmp_gt_u32_e64 s[28:29], s45, v38
	v_sub_u32_e32 v6, 0x71, v38
	v_cmp_eq_u32_e32 vcc, 0, v38
	v_cndmask_b32_e64 v6, 0, v6, s[28:29]
	v_mov_b32_e32 v33, 0x70
	v_cndmask_b32_e32 v39, v6, v33, vcc
	v_add_u32_e32 v6, 21, v39
	v_or_b32_e32 v32, 0x800000, v4
	v_lshlrev_b64 v[48:49], v6, -1
	v_cndmask_b32_e32 v4, v32, v4, vcc
	v_add_u32_e32 v6, 20, v39
	v_bfi_b32 v48, v48, 0, v4
	v_lshlrev_b64 v[50:51], v6, 1
	v_lshrrev_b64 v[4:5], v39, v[4:5]
	v_bfi_b32 v49, v49, 0, 0
	v_cmp_eq_u64_e64 s[28:29], v[48:49], v[50:51]
	v_mov_b32_e32 v6, v5
	v_mov_b32_e32 v5, v4
	s_and_saveexec_b64 s[38:39], s[28:29]
; %bb.6352:                             ;   in Loop: Header=BB6_4748 Depth=3
	v_bfe_u32 v5, v4, 21, 1
	v_add_co_u32_e64 v5, s[28:29], v4, v5
	v_add_co_u32_e64 v5, s[28:29], -1, v5
; %bb.6353:                             ;   in Loop: Header=BB6_4748 Depth=3
	s_or_b64 exec, exec, s[38:39]
	v_add_u32_e32 v6, 0xffffff81, v38
	v_mov_b32_e32 v32, 0xffffff82
	v_cndmask_b32_e32 v6, v6, v32, vcc
	v_lshrrev_b32_e32 v32, 23, v4
	v_add3_u32 v39, v39, v6, v32
	v_add_u32_e32 v38, 14, v39
	v_and_b32_e32 v5, 0x1fffff, v5
	v_add_u32_e32 v4, v5, v4
	v_mov_b32_e32 v5, v34
	v_cmp_ne_u32_e32 vcc, 0, v38
                                        ; implicit-def: $vgpr6
	s_and_saveexec_b64 s[28:29], vcc
	s_xor_b64 s[28:29], exec, s[28:29]
; %bb.6354:                             ;   in Loop: Header=BB6_4748 Depth=3
	v_cmp_lt_u64_e32 vcc, s[88:89], v[4:5]
	v_add_u32_e32 v6, 15, v39
	v_cndmask_b32_e64 v32, 0, 1, vcc
	v_lshrrev_b64 v[4:5], v32, v[4:5]
	v_cndmask_b32_e32 v6, v38, v6, vcc
; %bb.6355:                             ;   in Loop: Header=BB6_4748 Depth=3
	s_andn2_saveexec_b64 s[28:29], s[28:29]
; %bb.6356:                             ;   in Loop: Header=BB6_4748 Depth=3
	v_bfe_u32 v6, v4, 23, 1
; %bb.6357:                             ;   in Loop: Header=BB6_4748 Depth=3
	s_or_b64 exec, exec, s[28:29]
	v_lshrrev_b64 v[4:5], 21, v[4:5]
	v_cmp_gt_i32_e32 vcc, 32, v6
	v_cndmask_b32_e32 v5, 0, v5, vcc
	v_cndmask_b32_e32 v4, 3, v4, vcc
	v_cmp_eq_u64_e64 s[28:29], 0, v[4:5]
	v_min_i32_e32 v5, 31, v6
	v_lshlrev_b32_e32 v5, 2, v5
	v_cmp_eq_u32_e32 vcc, 0, v6
	v_and_b32_e32 v5, 0xfc, v5
	v_and_or_b32 v4, v4, 3, v5
	s_and_b64 s[28:29], vcc, s[28:29]
	v_cndmask_b32_e64 v4, v4, 0, s[28:29]
	v_or_b32_e32 v48, v4, v0
.LBB6_6358:                             ;   in Loop: Header=BB6_4748 Depth=3
	s_or_b64 exec, exec, s[36:37]
                                        ; implicit-def: $vgpr0
.LBB6_6359:                             ;   in Loop: Header=BB6_4748 Depth=3
	s_andn2_saveexec_b64 s[28:29], s[34:35]
; %bb.6360:                             ;   in Loop: Header=BB6_4748 Depth=3
	v_or_b32_e32 v48, 0x7b, v0
; %bb.6361:                             ;   in Loop: Header=BB6_4748 Depth=3
	s_or_b64 exec, exec, s[28:29]
                                        ; implicit-def: $vgpr6
                                        ; implicit-def: $vgpr4_vgpr5
.LBB6_6362:                             ;   in Loop: Header=BB6_4748 Depth=3
	s_andn2_saveexec_b64 s[28:29], s[30:31]
	s_cbranch_execz .LBB6_6368
; %bb.6363:                             ;   in Loop: Header=BB6_4748 Depth=3
	v_cmp_ne_u64_e32 vcc, 0, v[4:5]
                                        ; implicit-def: $vgpr48
	s_and_saveexec_b64 s[30:31], vcc
	s_xor_b64 vcc, exec, s[30:31]
; %bb.6364:                             ;   in Loop: Header=BB6_4748 Depth=3
	v_or_b32_sdwa v48, v6, s83 dst_sel:DWORD dst_unused:UNUSED_PAD src0_sel:BYTE_3 src1_sel:DWORD
                                        ; implicit-def: $vgpr6
; %bb.6365:                             ;   in Loop: Header=BB6_4748 Depth=3
	s_andn2_saveexec_b64 s[30:31], vcc
; %bb.6366:                             ;   in Loop: Header=BB6_4748 Depth=3
	v_cmp_lt_i32_e32 vcc, -1, v6
	v_bfrev_b32_e32 v0, 0.5
	v_mov_b32_e32 v4, 0x7c
	v_cndmask_b32_e32 v48, v0, v4, vcc
; %bb.6367:                             ;   in Loop: Header=BB6_4748 Depth=3
	s_or_b64 exec, exec, s[30:31]
.LBB6_6368:                             ;   in Loop: Header=BB6_4748 Depth=3
	s_or_b64 exec, exec, s[28:29]
	v_lshrrev_b16_e32 v4, 8, v3
	v_cmp_ne_u16_e32 vcc, 0, v4
	v_mov_b32_e32 v0, 0
	v_mov_b32_e32 v5, 0
	s_and_saveexec_b64 s[28:29], vcc
	s_cbranch_execz .LBB6_6376
; %bb.6369:                             ;   in Loop: Header=BB6_4748 Depth=3
	v_cmp_ne_u16_e32 vcc, s44, v4
	v_bfrev_b32_e32 v5, 1
	s_and_saveexec_b64 s[30:31], vcc
	s_cbranch_execz .LBB6_6375
; %bb.6370:                             ;   in Loop: Header=BB6_4748 Depth=3
	v_and_b32_e32 v5, 0x7c, v4
	v_and_b32_e32 v6, 3, v4
	v_cmp_ne_u32_e32 vcc, s81, v5
                                        ; implicit-def: $vgpr5
	s_and_saveexec_b64 s[34:35], vcc
	s_xor_b64 s[34:35], exec, s[34:35]
	s_cbranch_execz .LBB6_6372
; %bb.6371:                             ;   in Loop: Header=BB6_4748 Depth=3
	v_ffbh_u32_e32 v33, v6
	v_min_u32_e32 v33, 32, v33
	v_mov_b32_e32 v5, v34
	v_subrev_u32_e32 v38, 29, v33
	v_bfe_u32 v32, v4, 2, 5
	v_lshlrev_b64 v[4:5], v38, v[4:5]
	v_sub_u32_e32 v5, 30, v33
	v_cmp_eq_u32_e32 vcc, 0, v32
	v_lshlrev_b32_e32 v3, 16, v3
	v_and_b32_e32 v4, 3, v4
	v_cndmask_b32_e32 v5, v32, v5, vcc
	v_and_b32_e32 v3, 0x80000000, v3
	v_cndmask_b32_e32 v4, v6, v4, vcc
	v_lshl_add_u32 v3, v5, 23, v3
	v_lshl_or_b32 v3, v4, 21, v3
	v_add_u32_e32 v5, 0x38000000, v3
                                        ; implicit-def: $vgpr6
                                        ; implicit-def: $vgpr3_vgpr4
.LBB6_6372:                             ;   in Loop: Header=BB6_4748 Depth=3
	s_andn2_saveexec_b64 s[34:35], s[34:35]
; %bb.6373:                             ;   in Loop: Header=BB6_4748 Depth=3
	v_cmp_lt_i16_e32 vcc, -1, v3
	v_mov_b32_e32 v3, 0xff800000
	v_mov_b32_e32 v4, 0x7f800000
	v_cndmask_b32_e32 v3, v3, v4, vcc
	v_cmp_eq_u32_e32 vcc, 0, v6
	v_mov_b32_e32 v4, 0x7f800001
	v_cndmask_b32_e32 v5, v4, v3, vcc
; %bb.6374:                             ;   in Loop: Header=BB6_4748 Depth=3
	s_or_b64 exec, exec, s[34:35]
.LBB6_6375:                             ;   in Loop: Header=BB6_4748 Depth=3
	s_or_b64 exec, exec, s[30:31]
.LBB6_6376:                             ;   in Loop: Header=BB6_4748 Depth=3
	s_or_b64 exec, exec, s[28:29]
	v_lshrrev_b16_e32 v3, 8, v19
	v_cmp_ne_u16_e32 vcc, 0, v3
	s_and_saveexec_b64 s[28:29], vcc
	s_cbranch_execz .LBB6_6384
; %bb.6377:                             ;   in Loop: Header=BB6_4748 Depth=3
	v_cmp_ne_u16_e32 vcc, s44, v3
	v_bfrev_b32_e32 v0, 1
	s_and_saveexec_b64 s[30:31], vcc
	s_cbranch_execz .LBB6_6383
; %bb.6378:                             ;   in Loop: Header=BB6_4748 Depth=3
	v_and_b32_e32 v0, 0x7c, v3
	v_and_b32_e32 v6, 3, v3
	v_cmp_ne_u32_e32 vcc, s81, v0
                                        ; implicit-def: $vgpr0
	s_and_saveexec_b64 s[34:35], vcc
	s_xor_b64 s[34:35], exec, s[34:35]
	s_cbranch_execz .LBB6_6380
; %bb.6379:                             ;   in Loop: Header=BB6_4748 Depth=3
	v_ffbh_u32_e32 v32, v6
	v_min_u32_e32 v32, 32, v32
	v_mov_b32_e32 v4, v34
	v_subrev_u32_e32 v33, 29, v32
	v_bfe_u32 v0, v3, 2, 5
	v_lshlrev_b64 v[3:4], v33, v[3:4]
	v_sub_u32_e32 v4, 30, v32
	v_cmp_eq_u32_e32 vcc, 0, v0
	v_cndmask_b32_e32 v0, v0, v4, vcc
	v_lshlrev_b32_e32 v4, 16, v19
	v_and_b32_e32 v3, 3, v3
	v_and_b32_e32 v4, 0x80000000, v4
	v_cndmask_b32_e32 v3, v6, v3, vcc
	v_lshl_add_u32 v0, v0, 23, v4
	v_lshl_or_b32 v0, v3, 21, v0
	v_add_u32_e32 v0, 0x38000000, v0
                                        ; implicit-def: $vgpr6
.LBB6_6380:                             ;   in Loop: Header=BB6_4748 Depth=3
	s_andn2_saveexec_b64 s[34:35], s[34:35]
; %bb.6381:                             ;   in Loop: Header=BB6_4748 Depth=3
	v_cmp_lt_i16_e32 vcc, -1, v19
	v_mov_b32_e32 v0, 0xff800000
	v_mov_b32_e32 v3, 0x7f800000
	v_cndmask_b32_e32 v0, v0, v3, vcc
	v_cmp_eq_u32_e32 vcc, 0, v6
	v_mov_b32_e32 v3, 0x7f800001
	v_cndmask_b32_e32 v0, v3, v0, vcc
; %bb.6382:                             ;   in Loop: Header=BB6_4748 Depth=3
	s_or_b64 exec, exec, s[34:35]
.LBB6_6383:                             ;   in Loop: Header=BB6_4748 Depth=3
	s_or_b64 exec, exec, s[30:31]
.LBB6_6384:                             ;   in Loop: Header=BB6_4748 Depth=3
	s_or_b64 exec, exec, s[28:29]
	v_mul_f32_e32 v5, v5, v0
	v_and_b32_e32 v38, 0x7f800000, v5
	v_mov_b32_e32 v39, v34
	v_cmp_ne_u64_e32 vcc, s[76:77], v[38:39]
	v_and_b32_e32 v3, 0x7fffff, v5
	v_mov_b32_e32 v4, v34
                                        ; implicit-def: $vgpr49
	s_and_saveexec_b64 s[28:29], vcc
	s_xor_b64 s[30:31], exec, s[28:29]
	s_cbranch_execz .LBB6_6398
; %bb.6385:                             ;   in Loop: Header=BB6_4748 Depth=3
	v_and_b32_e32 v38, 0x7fffffff, v5
	v_mov_b32_e32 v39, v34
	v_cmp_gt_u64_e32 vcc, s[78:79], v[38:39]
	v_and_b32_sdwa v0, v5, s44 dst_sel:DWORD dst_unused:UNUSED_PAD src0_sel:BYTE_3 src1_sel:DWORD
                                        ; implicit-def: $vgpr49
	s_and_saveexec_b64 s[28:29], vcc
	s_xor_b64 s[34:35], exec, s[28:29]
	s_cbranch_execz .LBB6_6395
; %bb.6386:                             ;   in Loop: Header=BB6_4748 Depth=3
	v_mov_b32_e32 v49, 0
	v_cmp_ne_u32_e32 vcc, 0, v5
	s_and_saveexec_b64 s[36:37], vcc
	s_cbranch_execz .LBB6_6394
; %bb.6387:                             ;   in Loop: Header=BB6_4748 Depth=3
	v_bfe_u32 v6, v5, 23, 8
	v_cmp_gt_u32_e64 s[28:29], s45, v6
	v_sub_u32_e32 v5, 0x71, v6
	v_cmp_eq_u32_e32 vcc, 0, v6
	v_cndmask_b32_e64 v5, 0, v5, s[28:29]
	v_mov_b32_e32 v33, 0x70
	v_cndmask_b32_e32 v38, v5, v33, vcc
	v_add_u32_e32 v5, 21, v38
	v_or_b32_e32 v32, 0x800000, v3
	v_lshlrev_b64 v[49:50], v5, -1
	v_cndmask_b32_e32 v3, v32, v3, vcc
	v_add_u32_e32 v5, 20, v38
	v_bfi_b32 v49, v49, 0, v3
	v_lshlrev_b64 v[43:44], v5, 1
	v_lshrrev_b64 v[3:4], v38, v[3:4]
	v_bfi_b32 v50, v50, 0, 0
	v_cmp_eq_u64_e64 s[28:29], v[49:50], v[43:44]
	v_mov_b32_e32 v5, v4
	v_mov_b32_e32 v4, v3
	s_and_saveexec_b64 s[38:39], s[28:29]
; %bb.6388:                             ;   in Loop: Header=BB6_4748 Depth=3
	v_bfe_u32 v4, v3, 21, 1
	v_add_co_u32_e64 v4, s[28:29], v3, v4
	v_add_co_u32_e64 v4, s[28:29], -1, v4
; %bb.6389:                             ;   in Loop: Header=BB6_4748 Depth=3
	s_or_b64 exec, exec, s[38:39]
	v_add_u32_e32 v5, 0xffffff81, v6
	v_mov_b32_e32 v6, 0xffffff82
	v_cndmask_b32_e32 v5, v5, v6, vcc
	v_lshrrev_b32_e32 v6, 23, v3
	v_add3_u32 v38, v38, v5, v6
	v_add_u32_e32 v6, 14, v38
	v_and_b32_e32 v4, 0x1fffff, v4
	v_add_u32_e32 v3, v4, v3
	v_mov_b32_e32 v4, v34
	v_cmp_ne_u32_e32 vcc, 0, v6
                                        ; implicit-def: $vgpr5
	s_and_saveexec_b64 s[28:29], vcc
	s_xor_b64 s[28:29], exec, s[28:29]
; %bb.6390:                             ;   in Loop: Header=BB6_4748 Depth=3
	v_cmp_lt_u64_e32 vcc, s[88:89], v[3:4]
	v_add_u32_e32 v5, 15, v38
	v_cndmask_b32_e32 v5, v6, v5, vcc
	v_cndmask_b32_e64 v6, 0, 1, vcc
	v_lshrrev_b64 v[3:4], v6, v[3:4]
; %bb.6391:                             ;   in Loop: Header=BB6_4748 Depth=3
	s_andn2_saveexec_b64 s[28:29], s[28:29]
; %bb.6392:                             ;   in Loop: Header=BB6_4748 Depth=3
	v_bfe_u32 v5, v3, 23, 1
; %bb.6393:                             ;   in Loop: Header=BB6_4748 Depth=3
	s_or_b64 exec, exec, s[28:29]
	v_lshrrev_b64 v[3:4], 21, v[3:4]
	v_cmp_gt_i32_e32 vcc, 32, v5
	v_cndmask_b32_e32 v4, 0, v4, vcc
	v_cndmask_b32_e32 v3, 3, v3, vcc
	v_cmp_eq_u64_e64 s[28:29], 0, v[3:4]
	v_min_i32_e32 v4, 31, v5
	v_lshlrev_b32_e32 v4, 2, v4
	v_cmp_eq_u32_e32 vcc, 0, v5
	v_and_b32_e32 v4, 0xfc, v4
	v_and_or_b32 v3, v3, 3, v4
	s_and_b64 s[28:29], vcc, s[28:29]
	v_cndmask_b32_e64 v3, v3, 0, s[28:29]
	v_or_b32_e32 v49, v3, v0
.LBB6_6394:                             ;   in Loop: Header=BB6_4748 Depth=3
	s_or_b64 exec, exec, s[36:37]
                                        ; implicit-def: $vgpr0
.LBB6_6395:                             ;   in Loop: Header=BB6_4748 Depth=3
	s_andn2_saveexec_b64 s[28:29], s[34:35]
; %bb.6396:                             ;   in Loop: Header=BB6_4748 Depth=3
	v_or_b32_e32 v49, 0x7b, v0
; %bb.6397:                             ;   in Loop: Header=BB6_4748 Depth=3
	s_or_b64 exec, exec, s[28:29]
                                        ; implicit-def: $vgpr5
                                        ; implicit-def: $vgpr3_vgpr4
.LBB6_6398:                             ;   in Loop: Header=BB6_4748 Depth=3
	s_andn2_saveexec_b64 s[28:29], s[30:31]
	s_cbranch_execz .LBB6_6404
; %bb.6399:                             ;   in Loop: Header=BB6_4748 Depth=3
	v_cmp_ne_u64_e32 vcc, 0, v[3:4]
                                        ; implicit-def: $vgpr49
	s_and_saveexec_b64 s[30:31], vcc
	s_xor_b64 vcc, exec, s[30:31]
; %bb.6400:                             ;   in Loop: Header=BB6_4748 Depth=3
	v_or_b32_sdwa v49, v5, s83 dst_sel:DWORD dst_unused:UNUSED_PAD src0_sel:BYTE_3 src1_sel:DWORD
                                        ; implicit-def: $vgpr5
; %bb.6401:                             ;   in Loop: Header=BB6_4748 Depth=3
	s_andn2_saveexec_b64 s[30:31], vcc
; %bb.6402:                             ;   in Loop: Header=BB6_4748 Depth=3
	v_cmp_lt_i32_e32 vcc, -1, v5
	v_bfrev_b32_e32 v0, 0.5
	v_mov_b32_e32 v3, 0x7c
	v_cndmask_b32_e32 v49, v0, v3, vcc
; %bb.6403:                             ;   in Loop: Header=BB6_4748 Depth=3
	s_or_b64 exec, exec, s[30:31]
.LBB6_6404:                             ;   in Loop: Header=BB6_4748 Depth=3
	s_or_b64 exec, exec, s[28:29]
	v_lshrrev_b32_e32 v0, 16, v23
	v_cmp_ne_u16_sdwa vcc, v0, v34 src0_sel:BYTE_0 src1_sel:DWORD
	v_mov_b32_e32 v3, 0
	v_mov_b32_e32 v4, 0
	s_and_saveexec_b64 s[28:29], vcc
	s_cbranch_execz .LBB6_6412
; %bb.6405:                             ;   in Loop: Header=BB6_4748 Depth=3
	v_cmp_ne_u16_sdwa vcc, v0, s44 src0_sel:BYTE_0 src1_sel:DWORD
	v_bfrev_b32_e32 v4, 1
	s_and_saveexec_b64 s[30:31], vcc
	s_cbranch_execz .LBB6_6411
; %bb.6406:                             ;   in Loop: Header=BB6_4748 Depth=3
	v_and_b32_e32 v4, 0x7c0000, v23
	v_bfe_u32 v5, v23, 16, 2
	v_cmp_ne_u32_e32 vcc, s9, v4
                                        ; implicit-def: $vgpr4
	s_and_saveexec_b64 s[34:35], vcc
	s_xor_b64 s[34:35], exec, s[34:35]
	s_cbranch_execz .LBB6_6408
; %bb.6407:                             ;   in Loop: Header=BB6_4748 Depth=3
	v_ffbh_u32_e32 v6, v5
	v_min_u32_e32 v6, 32, v6
	v_subrev_u32_e32 v32, 29, v6
	v_lshlrev_b64 v[38:39], v32, v[0:1]
	v_bfe_u32 v4, v23, 18, 5
	v_sub_u32_e32 v0, 30, v6
	v_and_b32_e32 v6, 3, v38
	v_cmp_eq_u32_e32 vcc, 0, v4
	v_cndmask_b32_e32 v0, v4, v0, vcc
	v_cndmask_b32_e32 v4, v5, v6, vcc
	v_lshlrev_b32_e32 v5, 8, v23
	v_and_b32_e32 v5, 0x80000000, v5
	v_lshl_add_u32 v0, v0, 23, v5
	v_lshl_or_b32 v0, v4, 21, v0
	v_add_u32_e32 v4, 0x38000000, v0
                                        ; implicit-def: $vgpr5
                                        ; implicit-def: $vgpr0
.LBB6_6408:                             ;   in Loop: Header=BB6_4748 Depth=3
	s_andn2_saveexec_b64 s[34:35], s[34:35]
; %bb.6409:                             ;   in Loop: Header=BB6_4748 Depth=3
	v_mov_b32_e32 v4, -1
	v_cmp_gt_i16_sdwa vcc, sext(v0), v4 src0_sel:BYTE_0 src1_sel:DWORD
	v_mov_b32_e32 v0, 0xff800000
	v_mov_b32_e32 v4, 0x7f800000
	v_cndmask_b32_e32 v0, v0, v4, vcc
	v_cmp_eq_u32_e32 vcc, 0, v5
	v_mov_b32_e32 v4, 0x7f800001
	v_cndmask_b32_e32 v4, v4, v0, vcc
; %bb.6410:                             ;   in Loop: Header=BB6_4748 Depth=3
	s_or_b64 exec, exec, s[34:35]
.LBB6_6411:                             ;   in Loop: Header=BB6_4748 Depth=3
	s_or_b64 exec, exec, s[30:31]
.LBB6_6412:                             ;   in Loop: Header=BB6_4748 Depth=3
	s_or_b64 exec, exec, s[28:29]
	v_lshrrev_b32_e32 v0, 16, v19
	v_cmp_ne_u16_sdwa vcc, v0, v34 src0_sel:BYTE_0 src1_sel:DWORD
	s_and_saveexec_b64 s[28:29], vcc
	s_cbranch_execz .LBB6_6420
; %bb.6413:                             ;   in Loop: Header=BB6_4748 Depth=3
	v_cmp_ne_u16_sdwa vcc, v0, s44 src0_sel:BYTE_0 src1_sel:DWORD
	v_bfrev_b32_e32 v3, 1
	s_and_saveexec_b64 s[30:31], vcc
	s_cbranch_execz .LBB6_6419
; %bb.6414:                             ;   in Loop: Header=BB6_4748 Depth=3
	v_and_b32_e32 v3, 0x7c0000, v19
	v_bfe_u32 v5, v19, 16, 2
	v_cmp_ne_u32_e32 vcc, s9, v3
                                        ; implicit-def: $vgpr3
	s_and_saveexec_b64 s[34:35], vcc
	s_xor_b64 s[34:35], exec, s[34:35]
	s_cbranch_execz .LBB6_6416
; %bb.6415:                             ;   in Loop: Header=BB6_4748 Depth=3
	v_ffbh_u32_e32 v6, v5
	v_min_u32_e32 v6, 32, v6
	v_subrev_u32_e32 v32, 29, v6
	v_lshlrev_b64 v[38:39], v32, v[0:1]
	v_bfe_u32 v3, v19, 18, 5
	v_sub_u32_e32 v0, 30, v6
	v_and_b32_e32 v6, 3, v38
	v_cmp_eq_u32_e32 vcc, 0, v3
	v_cndmask_b32_e32 v0, v3, v0, vcc
	v_cndmask_b32_e32 v3, v5, v6, vcc
	v_lshlrev_b32_e32 v5, 8, v19
	v_and_b32_e32 v5, 0x80000000, v5
	v_lshl_add_u32 v0, v0, 23, v5
	v_lshl_or_b32 v0, v3, 21, v0
	v_add_u32_e32 v3, 0x38000000, v0
                                        ; implicit-def: $vgpr5
                                        ; implicit-def: $vgpr0
.LBB6_6416:                             ;   in Loop: Header=BB6_4748 Depth=3
	s_andn2_saveexec_b64 s[34:35], s[34:35]
; %bb.6417:                             ;   in Loop: Header=BB6_4748 Depth=3
	v_mov_b32_e32 v3, -1
	v_cmp_gt_i16_sdwa vcc, sext(v0), v3 src0_sel:BYTE_0 src1_sel:DWORD
	v_mov_b32_e32 v0, 0xff800000
	v_mov_b32_e32 v3, 0x7f800000
	v_cndmask_b32_e32 v0, v0, v3, vcc
	v_cmp_eq_u32_e32 vcc, 0, v5
	v_mov_b32_e32 v3, 0x7f800001
	v_cndmask_b32_e32 v3, v3, v0, vcc
; %bb.6418:                             ;   in Loop: Header=BB6_4748 Depth=3
	s_or_b64 exec, exec, s[34:35]
.LBB6_6419:                             ;   in Loop: Header=BB6_4748 Depth=3
	s_or_b64 exec, exec, s[30:31]
.LBB6_6420:                             ;   in Loop: Header=BB6_4748 Depth=3
	s_or_b64 exec, exec, s[28:29]
	v_mul_f32_e32 v5, v4, v3
	v_and_b32_e32 v38, 0x7f800000, v5
	v_mov_b32_e32 v39, v34
	v_cmp_ne_u64_e32 vcc, s[76:77], v[38:39]
	v_and_b32_e32 v3, 0x7fffff, v5
	v_mov_b32_e32 v4, v34
                                        ; implicit-def: $vgpr43
	s_and_saveexec_b64 s[28:29], vcc
	s_xor_b64 s[30:31], exec, s[28:29]
	s_cbranch_execz .LBB6_6434
; %bb.6421:                             ;   in Loop: Header=BB6_4748 Depth=3
	v_and_b32_e32 v38, 0x7fffffff, v5
	v_mov_b32_e32 v39, v34
	v_cmp_gt_u64_e32 vcc, s[78:79], v[38:39]
	v_and_b32_sdwa v0, v5, s44 dst_sel:DWORD dst_unused:UNUSED_PAD src0_sel:BYTE_3 src1_sel:DWORD
                                        ; implicit-def: $vgpr43
	s_and_saveexec_b64 s[28:29], vcc
	s_xor_b64 s[34:35], exec, s[28:29]
	s_cbranch_execz .LBB6_6431
; %bb.6422:                             ;   in Loop: Header=BB6_4748 Depth=3
	v_mov_b32_e32 v43, 0
	v_cmp_ne_u32_e32 vcc, 0, v5
	s_and_saveexec_b64 s[36:37], vcc
	s_cbranch_execz .LBB6_6430
; %bb.6423:                             ;   in Loop: Header=BB6_4748 Depth=3
	v_bfe_u32 v6, v5, 23, 8
	v_cmp_gt_u32_e64 s[28:29], s45, v6
	v_sub_u32_e32 v5, 0x71, v6
	v_cmp_eq_u32_e32 vcc, 0, v6
	v_cndmask_b32_e64 v5, 0, v5, s[28:29]
	v_mov_b32_e32 v33, 0x70
	v_cndmask_b32_e32 v38, v5, v33, vcc
	v_add_u32_e32 v5, 21, v38
	v_or_b32_e32 v32, 0x800000, v3
	v_lshlrev_b64 v[50:51], v5, -1
	v_cndmask_b32_e32 v3, v32, v3, vcc
	v_add_u32_e32 v5, 20, v38
	v_bfi_b32 v50, v50, 0, v3
	v_lshlrev_b64 v[43:44], v5, 1
	v_lshrrev_b64 v[3:4], v38, v[3:4]
	v_bfi_b32 v51, v51, 0, 0
	v_cmp_eq_u64_e64 s[28:29], v[50:51], v[43:44]
	v_mov_b32_e32 v5, v4
	v_mov_b32_e32 v4, v3
	s_and_saveexec_b64 s[38:39], s[28:29]
; %bb.6424:                             ;   in Loop: Header=BB6_4748 Depth=3
	v_bfe_u32 v4, v3, 21, 1
	v_add_co_u32_e64 v4, s[28:29], v3, v4
	v_add_co_u32_e64 v4, s[28:29], -1, v4
; %bb.6425:                             ;   in Loop: Header=BB6_4748 Depth=3
	s_or_b64 exec, exec, s[38:39]
	v_add_u32_e32 v5, 0xffffff81, v6
	v_mov_b32_e32 v6, 0xffffff82
	v_cndmask_b32_e32 v5, v5, v6, vcc
	v_lshrrev_b32_e32 v6, 23, v3
	v_add3_u32 v38, v38, v5, v6
	v_add_u32_e32 v6, 14, v38
	v_and_b32_e32 v4, 0x1fffff, v4
	v_add_u32_e32 v3, v4, v3
	v_mov_b32_e32 v4, v34
	v_cmp_ne_u32_e32 vcc, 0, v6
                                        ; implicit-def: $vgpr5
	s_and_saveexec_b64 s[28:29], vcc
	s_xor_b64 s[28:29], exec, s[28:29]
; %bb.6426:                             ;   in Loop: Header=BB6_4748 Depth=3
	v_cmp_lt_u64_e32 vcc, s[88:89], v[3:4]
	v_add_u32_e32 v5, 15, v38
	v_cndmask_b32_e32 v5, v6, v5, vcc
	v_cndmask_b32_e64 v6, 0, 1, vcc
	v_lshrrev_b64 v[3:4], v6, v[3:4]
; %bb.6427:                             ;   in Loop: Header=BB6_4748 Depth=3
	s_andn2_saveexec_b64 s[28:29], s[28:29]
; %bb.6428:                             ;   in Loop: Header=BB6_4748 Depth=3
	v_bfe_u32 v5, v3, 23, 1
; %bb.6429:                             ;   in Loop: Header=BB6_4748 Depth=3
	s_or_b64 exec, exec, s[28:29]
	v_lshrrev_b64 v[3:4], 21, v[3:4]
	v_cmp_gt_i32_e32 vcc, 32, v5
	v_cndmask_b32_e32 v4, 0, v4, vcc
	v_cndmask_b32_e32 v3, 3, v3, vcc
	v_cmp_eq_u64_e64 s[28:29], 0, v[3:4]
	v_min_i32_e32 v4, 31, v5
	v_lshlrev_b32_e32 v4, 2, v4
	v_cmp_eq_u32_e32 vcc, 0, v5
	v_and_b32_e32 v4, 0xfc, v4
	v_and_or_b32 v3, v3, 3, v4
	s_and_b64 s[28:29], vcc, s[28:29]
	v_cndmask_b32_e64 v3, v3, 0, s[28:29]
	v_or_b32_e32 v43, v3, v0
.LBB6_6430:                             ;   in Loop: Header=BB6_4748 Depth=3
	s_or_b64 exec, exec, s[36:37]
                                        ; implicit-def: $vgpr0
.LBB6_6431:                             ;   in Loop: Header=BB6_4748 Depth=3
	s_andn2_saveexec_b64 s[28:29], s[34:35]
; %bb.6432:                             ;   in Loop: Header=BB6_4748 Depth=3
	v_or_b32_e32 v43, 0x7b, v0
; %bb.6433:                             ;   in Loop: Header=BB6_4748 Depth=3
	s_or_b64 exec, exec, s[28:29]
                                        ; implicit-def: $vgpr5
                                        ; implicit-def: $vgpr3_vgpr4
.LBB6_6434:                             ;   in Loop: Header=BB6_4748 Depth=3
	s_andn2_saveexec_b64 s[28:29], s[30:31]
	s_cbranch_execz .LBB6_6440
; %bb.6435:                             ;   in Loop: Header=BB6_4748 Depth=3
	v_cmp_ne_u64_e32 vcc, 0, v[3:4]
                                        ; implicit-def: $vgpr43
	s_and_saveexec_b64 s[30:31], vcc
	s_xor_b64 vcc, exec, s[30:31]
; %bb.6436:                             ;   in Loop: Header=BB6_4748 Depth=3
	v_or_b32_sdwa v43, v5, s83 dst_sel:DWORD dst_unused:UNUSED_PAD src0_sel:BYTE_3 src1_sel:DWORD
                                        ; implicit-def: $vgpr5
; %bb.6437:                             ;   in Loop: Header=BB6_4748 Depth=3
	s_andn2_saveexec_b64 s[30:31], vcc
; %bb.6438:                             ;   in Loop: Header=BB6_4748 Depth=3
	v_cmp_lt_i32_e32 vcc, -1, v5
	v_bfrev_b32_e32 v0, 0.5
	v_mov_b32_e32 v3, 0x7c
	v_cndmask_b32_e32 v43, v0, v3, vcc
; %bb.6439:                             ;   in Loop: Header=BB6_4748 Depth=3
	s_or_b64 exec, exec, s[30:31]
.LBB6_6440:                             ;   in Loop: Header=BB6_4748 Depth=3
	s_or_b64 exec, exec, s[28:29]
	v_cmp_lt_u64_e32 vcc, s[56:57], v[22:23]
	v_mov_b32_e32 v3, 0
	v_mov_b32_e32 v4, 0
	s_and_saveexec_b64 s[28:29], vcc
	s_cbranch_execz .LBB6_6448
; %bb.6441:                             ;   in Loop: Header=BB6_4748 Depth=3
	v_lshrrev_b32_e32 v0, 24, v23
	v_cmp_ne_u32_e32 vcc, s44, v0
	v_bfrev_b32_e32 v4, 1
	s_and_saveexec_b64 s[30:31], vcc
	s_cbranch_execz .LBB6_6447
; %bb.6442:                             ;   in Loop: Header=BB6_4748 Depth=3
	v_and_b32_e32 v4, 0x7c000000, v23
	v_bfe_u32 v5, v23, 24, 2
	v_cmp_ne_u32_e32 vcc, s8, v4
                                        ; implicit-def: $vgpr4
	s_and_saveexec_b64 s[34:35], vcc
	s_xor_b64 s[34:35], exec, s[34:35]
	s_cbranch_execz .LBB6_6444
; %bb.6443:                             ;   in Loop: Header=BB6_4748 Depth=3
	v_ffbh_u32_e32 v6, v5
	v_min_u32_e32 v6, 32, v6
	v_subrev_u32_e32 v22, 29, v6
	v_lshlrev_b64 v[38:39], v22, v[0:1]
	v_bfe_u32 v4, v23, 26, 5
	v_sub_u32_e32 v0, 30, v6
	v_and_b32_e32 v6, 3, v38
	v_cmp_eq_u32_e32 vcc, 0, v4
	v_cndmask_b32_e32 v0, v4, v0, vcc
	v_cndmask_b32_e32 v4, v5, v6, vcc
	v_and_b32_e32 v5, 0x80000000, v23
	v_lshl_add_u32 v0, v0, 23, v5
	v_lshl_or_b32 v0, v4, 21, v0
	v_add_u32_e32 v4, 0x38000000, v0
                                        ; implicit-def: $vgpr5
                                        ; implicit-def: $vgpr22_vgpr23
.LBB6_6444:                             ;   in Loop: Header=BB6_4748 Depth=3
	s_andn2_saveexec_b64 s[34:35], s[34:35]
; %bb.6445:                             ;   in Loop: Header=BB6_4748 Depth=3
	v_cmp_lt_i64_e32 vcc, -1, v[22:23]
	v_mov_b32_e32 v0, 0xff800000
	v_mov_b32_e32 v4, 0x7f800000
	v_cndmask_b32_e32 v0, v0, v4, vcc
	v_cmp_eq_u32_e32 vcc, 0, v5
	v_mov_b32_e32 v4, 0x7f800001
	v_cndmask_b32_e32 v4, v4, v0, vcc
; %bb.6446:                             ;   in Loop: Header=BB6_4748 Depth=3
	s_or_b64 exec, exec, s[34:35]
.LBB6_6447:                             ;   in Loop: Header=BB6_4748 Depth=3
	s_or_b64 exec, exec, s[30:31]
.LBB6_6448:                             ;   in Loop: Header=BB6_4748 Depth=3
	s_or_b64 exec, exec, s[28:29]
	v_cmp_lt_u64_e32 vcc, s[56:57], v[18:19]
	s_and_saveexec_b64 s[28:29], vcc
	s_cbranch_execz .LBB6_6456
; %bb.6449:                             ;   in Loop: Header=BB6_4748 Depth=3
	v_lshrrev_b32_e32 v0, 24, v19
	v_cmp_ne_u32_e32 vcc, s44, v0
	v_bfrev_b32_e32 v3, 1
	s_and_saveexec_b64 s[30:31], vcc
	s_cbranch_execz .LBB6_6455
; %bb.6450:                             ;   in Loop: Header=BB6_4748 Depth=3
	v_and_b32_e32 v3, 0x7c000000, v19
	v_bfe_u32 v5, v19, 24, 2
	v_cmp_ne_u32_e32 vcc, s8, v3
                                        ; implicit-def: $vgpr3
	s_and_saveexec_b64 s[34:35], vcc
	s_xor_b64 s[34:35], exec, s[34:35]
	s_cbranch_execz .LBB6_6452
; %bb.6451:                             ;   in Loop: Header=BB6_4748 Depth=3
	v_ffbh_u32_e32 v6, v5
	v_min_u32_e32 v6, 32, v6
	v_subrev_u32_e32 v18, 29, v6
	v_lshlrev_b64 v[22:23], v18, v[0:1]
	v_bfe_u32 v3, v19, 26, 5
	v_sub_u32_e32 v0, 30, v6
	v_and_b32_e32 v6, 3, v22
	v_cmp_eq_u32_e32 vcc, 0, v3
	v_cndmask_b32_e32 v0, v3, v0, vcc
	v_cndmask_b32_e32 v3, v5, v6, vcc
	v_and_b32_e32 v5, 0x80000000, v19
	v_lshl_add_u32 v0, v0, 23, v5
	v_lshl_or_b32 v0, v3, 21, v0
	v_add_u32_e32 v3, 0x38000000, v0
                                        ; implicit-def: $vgpr5
                                        ; implicit-def: $vgpr18_vgpr19
.LBB6_6452:                             ;   in Loop: Header=BB6_4748 Depth=3
	s_andn2_saveexec_b64 s[34:35], s[34:35]
; %bb.6453:                             ;   in Loop: Header=BB6_4748 Depth=3
	v_cmp_lt_i64_e32 vcc, -1, v[18:19]
	v_mov_b32_e32 v0, 0xff800000
	v_mov_b32_e32 v3, 0x7f800000
	v_cndmask_b32_e32 v0, v0, v3, vcc
	v_cmp_eq_u32_e32 vcc, 0, v5
	v_mov_b32_e32 v3, 0x7f800001
	v_cndmask_b32_e32 v3, v3, v0, vcc
; %bb.6454:                             ;   in Loop: Header=BB6_4748 Depth=3
	s_or_b64 exec, exec, s[34:35]
.LBB6_6455:                             ;   in Loop: Header=BB6_4748 Depth=3
	s_or_b64 exec, exec, s[30:31]
.LBB6_6456:                             ;   in Loop: Header=BB6_4748 Depth=3
	s_or_b64 exec, exec, s[28:29]
	v_mul_f32_e32 v5, v4, v3
	v_and_b32_e32 v18, 0x7f800000, v5
	v_mov_b32_e32 v19, v34
	v_cmp_ne_u64_e32 vcc, s[76:77], v[18:19]
	v_and_b32_e32 v3, 0x7fffff, v5
	v_mov_b32_e32 v4, v34
                                        ; implicit-def: $vgpr18
	s_and_saveexec_b64 s[28:29], vcc
	s_xor_b64 s[30:31], exec, s[28:29]
	s_cbranch_execz .LBB6_6470
; %bb.6457:                             ;   in Loop: Header=BB6_4748 Depth=3
	v_and_b32_e32 v18, 0x7fffffff, v5
	v_mov_b32_e32 v19, v34
	v_cmp_gt_u64_e32 vcc, s[78:79], v[18:19]
	v_and_b32_sdwa v0, v5, s44 dst_sel:DWORD dst_unused:UNUSED_PAD src0_sel:BYTE_3 src1_sel:DWORD
                                        ; implicit-def: $vgpr18
	s_and_saveexec_b64 s[28:29], vcc
	s_xor_b64 s[34:35], exec, s[28:29]
	s_cbranch_execz .LBB6_6467
; %bb.6458:                             ;   in Loop: Header=BB6_4748 Depth=3
	v_mov_b32_e32 v18, 0
	v_cmp_ne_u32_e32 vcc, 0, v5
	s_and_saveexec_b64 s[36:37], vcc
	s_cbranch_execz .LBB6_6466
; %bb.6459:                             ;   in Loop: Header=BB6_4748 Depth=3
	v_bfe_u32 v6, v5, 23, 8
	v_cmp_gt_u32_e64 s[28:29], s45, v6
	v_sub_u32_e32 v5, 0x71, v6
	v_cmp_eq_u32_e32 vcc, 0, v6
	v_cndmask_b32_e64 v5, 0, v5, s[28:29]
	v_mov_b32_e32 v18, 0x70
	v_cndmask_b32_e32 v18, v5, v18, vcc
	v_add_u32_e32 v5, 21, v18
	v_or_b32_e32 v19, 0x800000, v3
	v_lshlrev_b64 v[22:23], v5, -1
	v_cndmask_b32_e32 v3, v19, v3, vcc
	v_add_u32_e32 v5, 20, v18
	v_bfi_b32 v22, v22, 0, v3
	v_lshlrev_b64 v[38:39], v5, 1
	v_lshrrev_b64 v[3:4], v18, v[3:4]
	v_bfi_b32 v23, v23, 0, 0
	v_cmp_eq_u64_e64 s[28:29], v[22:23], v[38:39]
	v_mov_b32_e32 v5, v4
	v_mov_b32_e32 v4, v3
	s_and_saveexec_b64 s[38:39], s[28:29]
; %bb.6460:                             ;   in Loop: Header=BB6_4748 Depth=3
	v_bfe_u32 v4, v3, 21, 1
	v_add_co_u32_e64 v4, s[28:29], v3, v4
	v_add_co_u32_e64 v4, s[28:29], -1, v4
; %bb.6461:                             ;   in Loop: Header=BB6_4748 Depth=3
	s_or_b64 exec, exec, s[38:39]
	v_add_u32_e32 v5, 0xffffff81, v6
	v_mov_b32_e32 v6, 0xffffff82
	v_cndmask_b32_e32 v5, v5, v6, vcc
	v_lshrrev_b32_e32 v6, 23, v3
	v_add3_u32 v18, v18, v5, v6
	v_add_u32_e32 v6, 14, v18
	v_and_b32_e32 v4, 0x1fffff, v4
	v_add_u32_e32 v3, v4, v3
	v_mov_b32_e32 v4, v34
	v_cmp_ne_u32_e32 vcc, 0, v6
                                        ; implicit-def: $vgpr5
	s_and_saveexec_b64 s[28:29], vcc
	s_xor_b64 s[28:29], exec, s[28:29]
; %bb.6462:                             ;   in Loop: Header=BB6_4748 Depth=3
	v_cmp_lt_u64_e32 vcc, s[88:89], v[3:4]
	v_add_u32_e32 v5, 15, v18
	v_cndmask_b32_e32 v5, v6, v5, vcc
	v_cndmask_b32_e64 v6, 0, 1, vcc
	v_lshrrev_b64 v[3:4], v6, v[3:4]
; %bb.6463:                             ;   in Loop: Header=BB6_4748 Depth=3
	s_andn2_saveexec_b64 s[28:29], s[28:29]
; %bb.6464:                             ;   in Loop: Header=BB6_4748 Depth=3
	v_bfe_u32 v5, v3, 23, 1
; %bb.6465:                             ;   in Loop: Header=BB6_4748 Depth=3
	s_or_b64 exec, exec, s[28:29]
	v_lshrrev_b64 v[3:4], 21, v[3:4]
	v_cmp_gt_i32_e32 vcc, 32, v5
	v_cndmask_b32_e32 v4, 0, v4, vcc
	v_cndmask_b32_e32 v3, 3, v3, vcc
	v_cmp_eq_u64_e64 s[28:29], 0, v[3:4]
	v_min_i32_e32 v4, 31, v5
	v_lshlrev_b32_e32 v4, 2, v4
	v_cmp_eq_u32_e32 vcc, 0, v5
	v_and_b32_e32 v4, 0xfc, v4
	v_and_or_b32 v3, v3, 3, v4
	s_and_b64 s[28:29], vcc, s[28:29]
	v_cndmask_b32_e64 v3, v3, 0, s[28:29]
	v_or_b32_e32 v18, v3, v0
.LBB6_6466:                             ;   in Loop: Header=BB6_4748 Depth=3
	s_or_b64 exec, exec, s[36:37]
                                        ; implicit-def: $vgpr0
.LBB6_6467:                             ;   in Loop: Header=BB6_4748 Depth=3
	s_andn2_saveexec_b64 s[28:29], s[34:35]
; %bb.6468:                             ;   in Loop: Header=BB6_4748 Depth=3
	v_or_b32_e32 v18, 0x7b, v0
; %bb.6469:                             ;   in Loop: Header=BB6_4748 Depth=3
	s_or_b64 exec, exec, s[28:29]
                                        ; implicit-def: $vgpr5
                                        ; implicit-def: $vgpr3_vgpr4
.LBB6_6470:                             ;   in Loop: Header=BB6_4748 Depth=3
	s_andn2_saveexec_b64 s[28:29], s[30:31]
	s_cbranch_execz .LBB6_6476
; %bb.6471:                             ;   in Loop: Header=BB6_4748 Depth=3
	v_cmp_ne_u64_e32 vcc, 0, v[3:4]
                                        ; implicit-def: $vgpr18
	s_and_saveexec_b64 s[30:31], vcc
	s_xor_b64 vcc, exec, s[30:31]
; %bb.6472:                             ;   in Loop: Header=BB6_4748 Depth=3
	v_or_b32_sdwa v18, v5, s83 dst_sel:DWORD dst_unused:UNUSED_PAD src0_sel:BYTE_3 src1_sel:DWORD
                                        ; implicit-def: $vgpr5
; %bb.6473:                             ;   in Loop: Header=BB6_4748 Depth=3
	s_andn2_saveexec_b64 s[30:31], vcc
; %bb.6474:                             ;   in Loop: Header=BB6_4748 Depth=3
	v_cmp_lt_i32_e32 vcc, -1, v5
	v_bfrev_b32_e32 v0, 0.5
	v_mov_b32_e32 v3, 0x7c
	v_cndmask_b32_e32 v18, v0, v3, vcc
; %bb.6475:                             ;   in Loop: Header=BB6_4748 Depth=3
	s_or_b64 exec, exec, s[30:31]
.LBB6_6476:                             ;   in Loop: Header=BB6_4748 Depth=3
	s_or_b64 exec, exec, s[28:29]
	v_cmp_ne_u16_sdwa vcc, v12, v34 src0_sel:BYTE_0 src1_sel:DWORD
	v_mov_b32_e32 v0, 0
	v_mov_b32_e32 v3, 0
	s_and_saveexec_b64 s[28:29], vcc
	s_cbranch_execz .LBB6_6484
; %bb.6477:                             ;   in Loop: Header=BB6_4748 Depth=3
	v_cmp_ne_u16_sdwa vcc, sext(v12), s80 src0_sel:BYTE_0 src1_sel:DWORD
	v_bfrev_b32_e32 v3, 1
	s_and_saveexec_b64 s[30:31], vcc
	s_cbranch_execz .LBB6_6483
; %bb.6478:                             ;   in Loop: Header=BB6_4748 Depth=3
	v_and_b32_e32 v3, 0x7c, v12
	v_and_b32_e32 v4, 3, v12
	v_cmp_ne_u32_e32 vcc, s81, v3
                                        ; implicit-def: $vgpr3
	s_and_saveexec_b64 s[34:35], vcc
	s_xor_b64 s[34:35], exec, s[34:35]
	s_cbranch_execz .LBB6_6480
; %bb.6479:                             ;   in Loop: Header=BB6_4748 Depth=3
	v_ffbh_u32_e32 v5, v4
	v_min_u32_e32 v19, 32, v5
	v_subrev_u32_e32 v5, 29, v19
	v_lshlrev_b64 v[5:6], v5, v[12:13]
	v_bfe_u32 v3, v12, 2, 5
	v_and_b32_e32 v5, 3, v5
	v_cmp_eq_u32_e32 vcc, 0, v3
	v_sub_u32_e32 v6, 30, v19
	v_cndmask_b32_e32 v4, v4, v5, vcc
	v_lshlrev_b32_e32 v5, 24, v12
	v_cndmask_b32_e32 v3, v3, v6, vcc
	v_and_b32_e32 v5, 0x80000000, v5
	v_lshl_add_u32 v3, v3, 23, v5
	v_lshl_or_b32 v3, v4, 21, v3
	v_add_u32_e32 v3, 0x38000000, v3
                                        ; implicit-def: $vgpr4
.LBB6_6480:                             ;   in Loop: Header=BB6_4748 Depth=3
	s_andn2_saveexec_b64 s[34:35], s[34:35]
; %bb.6481:                             ;   in Loop: Header=BB6_4748 Depth=3
	v_mov_b32_e32 v3, -1
	v_cmp_gt_i16_sdwa vcc, sext(v12), v3 src0_sel:BYTE_0 src1_sel:DWORD
	v_mov_b32_e32 v3, 0xff800000
	v_mov_b32_e32 v5, 0x7f800000
	v_cndmask_b32_e32 v3, v3, v5, vcc
	v_cmp_eq_u32_e32 vcc, 0, v4
	v_mov_b32_e32 v4, 0x7f800001
	v_cndmask_b32_e32 v3, v4, v3, vcc
; %bb.6482:                             ;   in Loop: Header=BB6_4748 Depth=3
	s_or_b64 exec, exec, s[34:35]
.LBB6_6483:                             ;   in Loop: Header=BB6_4748 Depth=3
	s_or_b64 exec, exec, s[30:31]
.LBB6_6484:                             ;   in Loop: Header=BB6_4748 Depth=3
	s_or_b64 exec, exec, s[28:29]
	s_waitcnt vmcnt(0)
	v_cmp_ne_u16_sdwa vcc, v8, v34 src0_sel:BYTE_0 src1_sel:DWORD
	s_and_saveexec_b64 s[28:29], vcc
	s_cbranch_execz .LBB6_6492
; %bb.6485:                             ;   in Loop: Header=BB6_4748 Depth=3
	v_cmp_ne_u16_sdwa vcc, sext(v8), s80 src0_sel:BYTE_0 src1_sel:DWORD
	v_bfrev_b32_e32 v0, 1
	s_and_saveexec_b64 s[30:31], vcc
	s_cbranch_execz .LBB6_6491
; %bb.6486:                             ;   in Loop: Header=BB6_4748 Depth=3
	v_and_b32_e32 v0, 0x7c, v8
	v_and_b32_e32 v4, 3, v8
	v_cmp_ne_u32_e32 vcc, s81, v0
                                        ; implicit-def: $vgpr0
	s_and_saveexec_b64 s[34:35], vcc
	s_xor_b64 s[34:35], exec, s[34:35]
	s_cbranch_execz .LBB6_6488
; %bb.6487:                             ;   in Loop: Header=BB6_4748 Depth=3
	v_ffbh_u32_e32 v5, v4
	v_min_u32_e32 v19, 32, v5
	v_subrev_u32_e32 v5, 29, v19
	v_lshlrev_b64 v[5:6], v5, v[8:9]
	v_bfe_u32 v0, v8, 2, 5
	v_and_b32_e32 v5, 3, v5
	v_cmp_eq_u32_e32 vcc, 0, v0
	v_sub_u32_e32 v6, 30, v19
	v_cndmask_b32_e32 v4, v4, v5, vcc
	v_lshlrev_b32_e32 v5, 24, v8
	v_cndmask_b32_e32 v0, v0, v6, vcc
	v_and_b32_e32 v5, 0x80000000, v5
	v_lshl_add_u32 v0, v0, 23, v5
	v_lshl_or_b32 v0, v4, 21, v0
	v_add_u32_e32 v0, 0x38000000, v0
                                        ; implicit-def: $vgpr4
.LBB6_6488:                             ;   in Loop: Header=BB6_4748 Depth=3
	s_andn2_saveexec_b64 s[34:35], s[34:35]
; %bb.6489:                             ;   in Loop: Header=BB6_4748 Depth=3
	v_mov_b32_e32 v0, -1
	v_cmp_gt_i16_sdwa vcc, sext(v8), v0 src0_sel:BYTE_0 src1_sel:DWORD
	v_mov_b32_e32 v0, 0xff800000
	v_mov_b32_e32 v5, 0x7f800000
	v_cndmask_b32_e32 v0, v0, v5, vcc
	v_cmp_eq_u32_e32 vcc, 0, v4
	v_mov_b32_e32 v4, 0x7f800001
	v_cndmask_b32_e32 v0, v4, v0, vcc
; %bb.6490:                             ;   in Loop: Header=BB6_4748 Depth=3
	s_or_b64 exec, exec, s[34:35]
.LBB6_6491:                             ;   in Loop: Header=BB6_4748 Depth=3
	s_or_b64 exec, exec, s[30:31]
.LBB6_6492:                             ;   in Loop: Header=BB6_4748 Depth=3
	s_or_b64 exec, exec, s[28:29]
	v_mul_f32_e32 v5, v3, v0
	v_and_b32_e32 v22, 0x7f800000, v5
	v_mov_b32_e32 v23, v34
	v_cmp_ne_u64_e32 vcc, s[76:77], v[22:23]
	v_and_b32_e32 v3, 0x7fffff, v5
	v_mov_b32_e32 v4, v34
                                        ; implicit-def: $vgpr19
	s_and_saveexec_b64 s[28:29], vcc
	s_xor_b64 s[30:31], exec, s[28:29]
	s_cbranch_execz .LBB6_6506
; %bb.6493:                             ;   in Loop: Header=BB6_4748 Depth=3
	v_and_b32_e32 v22, 0x7fffffff, v5
	v_mov_b32_e32 v23, v34
	v_cmp_gt_u64_e32 vcc, s[78:79], v[22:23]
	v_and_b32_sdwa v0, v5, s44 dst_sel:DWORD dst_unused:UNUSED_PAD src0_sel:BYTE_3 src1_sel:DWORD
                                        ; implicit-def: $vgpr19
	s_and_saveexec_b64 s[28:29], vcc
	s_xor_b64 s[34:35], exec, s[28:29]
	s_cbranch_execz .LBB6_6503
; %bb.6494:                             ;   in Loop: Header=BB6_4748 Depth=3
	v_mov_b32_e32 v19, 0
	v_cmp_ne_u32_e32 vcc, 0, v5
	s_and_saveexec_b64 s[36:37], vcc
	s_cbranch_execz .LBB6_6502
; %bb.6495:                             ;   in Loop: Header=BB6_4748 Depth=3
	v_bfe_u32 v6, v5, 23, 8
	v_cmp_gt_u32_e64 s[28:29], s45, v6
	v_sub_u32_e32 v5, 0x71, v6
	v_cmp_eq_u32_e32 vcc, 0, v6
	v_cndmask_b32_e64 v5, 0, v5, s[28:29]
	v_mov_b32_e32 v19, 0x70
	v_cndmask_b32_e32 v19, v5, v19, vcc
	v_or_b32_e32 v22, 0x800000, v3
	v_add_u32_e32 v5, 21, v19
	v_cndmask_b32_e32 v3, v22, v3, vcc
	v_lshlrev_b64 v[22:23], v5, -1
	v_add_u32_e32 v5, 20, v19
	v_bfi_b32 v22, v22, 0, v3
	v_lshlrev_b64 v[38:39], v5, 1
	v_lshrrev_b64 v[3:4], v19, v[3:4]
	v_bfi_b32 v23, v23, 0, 0
	v_cmp_eq_u64_e64 s[28:29], v[22:23], v[38:39]
	v_mov_b32_e32 v5, v4
	v_mov_b32_e32 v4, v3
	s_and_saveexec_b64 s[38:39], s[28:29]
; %bb.6496:                             ;   in Loop: Header=BB6_4748 Depth=3
	v_bfe_u32 v4, v3, 21, 1
	v_add_co_u32_e64 v4, s[28:29], v3, v4
	v_add_co_u32_e64 v4, s[28:29], -1, v4
; %bb.6497:                             ;   in Loop: Header=BB6_4748 Depth=3
	s_or_b64 exec, exec, s[38:39]
	v_add_u32_e32 v5, 0xffffff81, v6
	v_mov_b32_e32 v6, 0xffffff82
	v_cndmask_b32_e32 v5, v5, v6, vcc
	v_lshrrev_b32_e32 v6, 23, v3
	v_add3_u32 v19, v19, v5, v6
	v_add_u32_e32 v6, 14, v19
	v_and_b32_e32 v4, 0x1fffff, v4
	v_add_u32_e32 v3, v4, v3
	v_mov_b32_e32 v4, v34
	v_cmp_ne_u32_e32 vcc, 0, v6
                                        ; implicit-def: $vgpr5
	s_and_saveexec_b64 s[28:29], vcc
	s_xor_b64 s[28:29], exec, s[28:29]
; %bb.6498:                             ;   in Loop: Header=BB6_4748 Depth=3
	v_cmp_lt_u64_e32 vcc, s[88:89], v[3:4]
	v_add_u32_e32 v5, 15, v19
	v_cndmask_b32_e32 v5, v6, v5, vcc
	v_cndmask_b32_e64 v6, 0, 1, vcc
	v_lshrrev_b64 v[3:4], v6, v[3:4]
; %bb.6499:                             ;   in Loop: Header=BB6_4748 Depth=3
	s_andn2_saveexec_b64 s[28:29], s[28:29]
; %bb.6500:                             ;   in Loop: Header=BB6_4748 Depth=3
	v_bfe_u32 v5, v3, 23, 1
; %bb.6501:                             ;   in Loop: Header=BB6_4748 Depth=3
	s_or_b64 exec, exec, s[28:29]
	v_lshrrev_b64 v[3:4], 21, v[3:4]
	v_cmp_gt_i32_e32 vcc, 32, v5
	v_cndmask_b32_e32 v4, 0, v4, vcc
	v_cndmask_b32_e32 v3, 3, v3, vcc
	v_cmp_eq_u64_e64 s[28:29], 0, v[3:4]
	v_min_i32_e32 v4, 31, v5
	v_lshlrev_b32_e32 v4, 2, v4
	v_cmp_eq_u32_e32 vcc, 0, v5
	v_and_b32_e32 v4, 0xfc, v4
	v_and_or_b32 v3, v3, 3, v4
	s_and_b64 s[28:29], vcc, s[28:29]
	v_cndmask_b32_e64 v3, v3, 0, s[28:29]
	v_or_b32_e32 v19, v3, v0
.LBB6_6502:                             ;   in Loop: Header=BB6_4748 Depth=3
	s_or_b64 exec, exec, s[36:37]
                                        ; implicit-def: $vgpr0
.LBB6_6503:                             ;   in Loop: Header=BB6_4748 Depth=3
	s_andn2_saveexec_b64 s[28:29], s[34:35]
; %bb.6504:                             ;   in Loop: Header=BB6_4748 Depth=3
	v_or_b32_e32 v19, 0x7b, v0
; %bb.6505:                             ;   in Loop: Header=BB6_4748 Depth=3
	s_or_b64 exec, exec, s[28:29]
                                        ; implicit-def: $vgpr5
                                        ; implicit-def: $vgpr3_vgpr4
.LBB6_6506:                             ;   in Loop: Header=BB6_4748 Depth=3
	s_andn2_saveexec_b64 s[28:29], s[30:31]
	s_cbranch_execz .LBB6_6512
; %bb.6507:                             ;   in Loop: Header=BB6_4748 Depth=3
	v_cmp_ne_u64_e32 vcc, 0, v[3:4]
                                        ; implicit-def: $vgpr19
	s_and_saveexec_b64 s[30:31], vcc
	s_xor_b64 vcc, exec, s[30:31]
; %bb.6508:                             ;   in Loop: Header=BB6_4748 Depth=3
	v_or_b32_sdwa v19, v5, s83 dst_sel:DWORD dst_unused:UNUSED_PAD src0_sel:BYTE_3 src1_sel:DWORD
                                        ; implicit-def: $vgpr5
; %bb.6509:                             ;   in Loop: Header=BB6_4748 Depth=3
	s_andn2_saveexec_b64 s[30:31], vcc
; %bb.6510:                             ;   in Loop: Header=BB6_4748 Depth=3
	v_cmp_lt_i32_e32 vcc, -1, v5
	v_bfrev_b32_e32 v0, 0.5
	v_mov_b32_e32 v3, 0x7c
	v_cndmask_b32_e32 v19, v0, v3, vcc
; %bb.6511:                             ;   in Loop: Header=BB6_4748 Depth=3
	s_or_b64 exec, exec, s[30:31]
.LBB6_6512:                             ;   in Loop: Header=BB6_4748 Depth=3
	s_or_b64 exec, exec, s[28:29]
	v_lshrrev_b16_e32 v3, 8, v12
	v_cmp_ne_u16_e32 vcc, 0, v3
	v_mov_b32_e32 v0, 0
	v_mov_b32_e32 v5, 0
	s_and_saveexec_b64 s[28:29], vcc
	s_cbranch_execz .LBB6_6520
; %bb.6513:                             ;   in Loop: Header=BB6_4748 Depth=3
	v_cmp_ne_u16_e32 vcc, s44, v3
	v_bfrev_b32_e32 v5, 1
	s_and_saveexec_b64 s[30:31], vcc
	s_cbranch_execz .LBB6_6519
; %bb.6514:                             ;   in Loop: Header=BB6_4748 Depth=3
	v_and_b32_e32 v4, 0x7c, v3
	v_and_b32_e32 v6, 3, v3
	v_cmp_ne_u32_e32 vcc, s81, v4
                                        ; implicit-def: $vgpr5
	s_and_saveexec_b64 s[34:35], vcc
	s_xor_b64 s[34:35], exec, s[34:35]
	s_cbranch_execz .LBB6_6516
; %bb.6515:                             ;   in Loop: Header=BB6_4748 Depth=3
	v_ffbh_u32_e32 v22, v6
	v_min_u32_e32 v22, 32, v22
	v_mov_b32_e32 v4, v34
	v_subrev_u32_e32 v23, 29, v22
	v_bfe_u32 v5, v3, 2, 5
	v_lshlrev_b64 v[3:4], v23, v[3:4]
	v_sub_u32_e32 v4, 30, v22
	v_cmp_eq_u32_e32 vcc, 0, v5
	v_cndmask_b32_e32 v4, v5, v4, vcc
	v_lshlrev_b32_e32 v5, 16, v12
	v_and_b32_e32 v3, 3, v3
	v_and_b32_e32 v5, 0x80000000, v5
	v_cndmask_b32_e32 v3, v6, v3, vcc
	v_lshl_add_u32 v4, v4, 23, v5
	v_lshl_or_b32 v3, v3, 21, v4
	v_add_u32_e32 v5, 0x38000000, v3
                                        ; implicit-def: $vgpr6
.LBB6_6516:                             ;   in Loop: Header=BB6_4748 Depth=3
	s_andn2_saveexec_b64 s[34:35], s[34:35]
; %bb.6517:                             ;   in Loop: Header=BB6_4748 Depth=3
	v_cmp_lt_i16_e32 vcc, -1, v12
	v_mov_b32_e32 v3, 0xff800000
	v_mov_b32_e32 v4, 0x7f800000
	v_cndmask_b32_e32 v3, v3, v4, vcc
	v_cmp_eq_u32_e32 vcc, 0, v6
	v_mov_b32_e32 v4, 0x7f800001
	v_cndmask_b32_e32 v5, v4, v3, vcc
; %bb.6518:                             ;   in Loop: Header=BB6_4748 Depth=3
	s_or_b64 exec, exec, s[34:35]
.LBB6_6519:                             ;   in Loop: Header=BB6_4748 Depth=3
	s_or_b64 exec, exec, s[30:31]
.LBB6_6520:                             ;   in Loop: Header=BB6_4748 Depth=3
	s_or_b64 exec, exec, s[28:29]
	v_lshrrev_b16_e32 v3, 8, v8
	v_cmp_ne_u16_e32 vcc, 0, v3
	s_and_saveexec_b64 s[28:29], vcc
	s_cbranch_execz .LBB6_6528
; %bb.6521:                             ;   in Loop: Header=BB6_4748 Depth=3
	v_cmp_ne_u16_e32 vcc, s44, v3
	v_bfrev_b32_e32 v0, 1
	s_and_saveexec_b64 s[30:31], vcc
	s_cbranch_execz .LBB6_6527
; %bb.6522:                             ;   in Loop: Header=BB6_4748 Depth=3
	v_and_b32_e32 v0, 0x7c, v3
	v_and_b32_e32 v6, 3, v3
	v_cmp_ne_u32_e32 vcc, s81, v0
                                        ; implicit-def: $vgpr0
	s_and_saveexec_b64 s[34:35], vcc
	s_xor_b64 s[34:35], exec, s[34:35]
	s_cbranch_execz .LBB6_6524
; %bb.6523:                             ;   in Loop: Header=BB6_4748 Depth=3
	v_ffbh_u32_e32 v22, v6
	v_min_u32_e32 v22, 32, v22
	v_mov_b32_e32 v4, v34
	v_subrev_u32_e32 v23, 29, v22
	v_bfe_u32 v0, v3, 2, 5
	v_lshlrev_b64 v[3:4], v23, v[3:4]
	v_sub_u32_e32 v4, 30, v22
	v_cmp_eq_u32_e32 vcc, 0, v0
	v_cndmask_b32_e32 v0, v0, v4, vcc
	v_lshlrev_b32_e32 v4, 16, v8
	v_and_b32_e32 v3, 3, v3
	v_and_b32_e32 v4, 0x80000000, v4
	v_cndmask_b32_e32 v3, v6, v3, vcc
	v_lshl_add_u32 v0, v0, 23, v4
	v_lshl_or_b32 v0, v3, 21, v0
	v_add_u32_e32 v0, 0x38000000, v0
                                        ; implicit-def: $vgpr6
.LBB6_6524:                             ;   in Loop: Header=BB6_4748 Depth=3
	s_andn2_saveexec_b64 s[34:35], s[34:35]
; %bb.6525:                             ;   in Loop: Header=BB6_4748 Depth=3
	v_cmp_lt_i16_e32 vcc, -1, v8
	v_mov_b32_e32 v0, 0xff800000
	v_mov_b32_e32 v3, 0x7f800000
	v_cndmask_b32_e32 v0, v0, v3, vcc
	v_cmp_eq_u32_e32 vcc, 0, v6
	v_mov_b32_e32 v3, 0x7f800001
	v_cndmask_b32_e32 v0, v3, v0, vcc
; %bb.6526:                             ;   in Loop: Header=BB6_4748 Depth=3
	s_or_b64 exec, exec, s[34:35]
.LBB6_6527:                             ;   in Loop: Header=BB6_4748 Depth=3
	s_or_b64 exec, exec, s[30:31]
.LBB6_6528:                             ;   in Loop: Header=BB6_4748 Depth=3
	s_or_b64 exec, exec, s[28:29]
	v_mul_f32_e32 v5, v5, v0
	v_and_b32_e32 v22, 0x7f800000, v5
	v_mov_b32_e32 v23, v34
	v_cmp_ne_u64_e32 vcc, s[76:77], v[22:23]
	v_and_b32_e32 v3, 0x7fffff, v5
	v_mov_b32_e32 v4, v34
                                        ; implicit-def: $vgpr22
	s_and_saveexec_b64 s[28:29], vcc
	s_xor_b64 s[30:31], exec, s[28:29]
	s_cbranch_execz .LBB6_6542
; %bb.6529:                             ;   in Loop: Header=BB6_4748 Depth=3
	v_and_b32_e32 v22, 0x7fffffff, v5
	v_mov_b32_e32 v23, v34
	v_cmp_gt_u64_e32 vcc, s[78:79], v[22:23]
	v_and_b32_sdwa v0, v5, s44 dst_sel:DWORD dst_unused:UNUSED_PAD src0_sel:BYTE_3 src1_sel:DWORD
                                        ; implicit-def: $vgpr22
	s_and_saveexec_b64 s[28:29], vcc
	s_xor_b64 s[34:35], exec, s[28:29]
	s_cbranch_execz .LBB6_6539
; %bb.6530:                             ;   in Loop: Header=BB6_4748 Depth=3
	v_mov_b32_e32 v22, 0
	v_cmp_ne_u32_e32 vcc, 0, v5
	s_and_saveexec_b64 s[36:37], vcc
	s_cbranch_execz .LBB6_6538
; %bb.6531:                             ;   in Loop: Header=BB6_4748 Depth=3
	v_bfe_u32 v6, v5, 23, 8
	v_cmp_gt_u32_e64 s[28:29], s45, v6
	v_sub_u32_e32 v5, 0x71, v6
	v_cmp_eq_u32_e32 vcc, 0, v6
	v_cndmask_b32_e64 v5, 0, v5, s[28:29]
	v_mov_b32_e32 v22, 0x70
	v_cndmask_b32_e32 v22, v5, v22, vcc
	v_add_u32_e32 v5, 21, v22
	v_or_b32_e32 v23, 0x800000, v3
	v_lshlrev_b64 v[38:39], v5, -1
	v_cndmask_b32_e32 v3, v23, v3, vcc
	v_add_u32_e32 v5, 20, v22
	v_bfi_b32 v38, v38, 0, v3
	v_lshlrev_b64 v[50:51], v5, 1
	v_lshrrev_b64 v[3:4], v22, v[3:4]
	v_bfi_b32 v39, v39, 0, 0
	v_cmp_eq_u64_e64 s[28:29], v[38:39], v[50:51]
	v_mov_b32_e32 v5, v4
	v_mov_b32_e32 v4, v3
	s_and_saveexec_b64 s[38:39], s[28:29]
; %bb.6532:                             ;   in Loop: Header=BB6_4748 Depth=3
	v_bfe_u32 v4, v3, 21, 1
	v_add_co_u32_e64 v4, s[28:29], v3, v4
	v_add_co_u32_e64 v4, s[28:29], -1, v4
; %bb.6533:                             ;   in Loop: Header=BB6_4748 Depth=3
	s_or_b64 exec, exec, s[38:39]
	v_add_u32_e32 v5, 0xffffff81, v6
	v_mov_b32_e32 v6, 0xffffff82
	v_cndmask_b32_e32 v5, v5, v6, vcc
	v_lshrrev_b32_e32 v6, 23, v3
	v_add3_u32 v22, v22, v5, v6
	v_add_u32_e32 v6, 14, v22
	v_and_b32_e32 v4, 0x1fffff, v4
	v_add_u32_e32 v3, v4, v3
	v_mov_b32_e32 v4, v34
	v_cmp_ne_u32_e32 vcc, 0, v6
                                        ; implicit-def: $vgpr5
	s_and_saveexec_b64 s[28:29], vcc
	s_xor_b64 s[28:29], exec, s[28:29]
; %bb.6534:                             ;   in Loop: Header=BB6_4748 Depth=3
	v_cmp_lt_u64_e32 vcc, s[88:89], v[3:4]
	v_add_u32_e32 v5, 15, v22
	v_cndmask_b32_e32 v5, v6, v5, vcc
	v_cndmask_b32_e64 v6, 0, 1, vcc
	v_lshrrev_b64 v[3:4], v6, v[3:4]
; %bb.6535:                             ;   in Loop: Header=BB6_4748 Depth=3
	s_andn2_saveexec_b64 s[28:29], s[28:29]
; %bb.6536:                             ;   in Loop: Header=BB6_4748 Depth=3
	v_bfe_u32 v5, v3, 23, 1
; %bb.6537:                             ;   in Loop: Header=BB6_4748 Depth=3
	s_or_b64 exec, exec, s[28:29]
	v_lshrrev_b64 v[3:4], 21, v[3:4]
	v_cmp_gt_i32_e32 vcc, 32, v5
	v_cndmask_b32_e32 v4, 0, v4, vcc
	v_cndmask_b32_e32 v3, 3, v3, vcc
	v_cmp_eq_u64_e64 s[28:29], 0, v[3:4]
	v_min_i32_e32 v4, 31, v5
	v_lshlrev_b32_e32 v4, 2, v4
	v_cmp_eq_u32_e32 vcc, 0, v5
	v_and_b32_e32 v4, 0xfc, v4
	v_and_or_b32 v3, v3, 3, v4
	s_and_b64 s[28:29], vcc, s[28:29]
	v_cndmask_b32_e64 v3, v3, 0, s[28:29]
	v_or_b32_e32 v22, v3, v0
.LBB6_6538:                             ;   in Loop: Header=BB6_4748 Depth=3
	s_or_b64 exec, exec, s[36:37]
                                        ; implicit-def: $vgpr0
.LBB6_6539:                             ;   in Loop: Header=BB6_4748 Depth=3
	s_andn2_saveexec_b64 s[28:29], s[34:35]
; %bb.6540:                             ;   in Loop: Header=BB6_4748 Depth=3
	v_or_b32_e32 v22, 0x7b, v0
; %bb.6541:                             ;   in Loop: Header=BB6_4748 Depth=3
	s_or_b64 exec, exec, s[28:29]
                                        ; implicit-def: $vgpr5
                                        ; implicit-def: $vgpr3_vgpr4
.LBB6_6542:                             ;   in Loop: Header=BB6_4748 Depth=3
	s_andn2_saveexec_b64 s[28:29], s[30:31]
	s_cbranch_execz .LBB6_6548
; %bb.6543:                             ;   in Loop: Header=BB6_4748 Depth=3
	v_cmp_ne_u64_e32 vcc, 0, v[3:4]
                                        ; implicit-def: $vgpr22
	s_and_saveexec_b64 s[30:31], vcc
	s_xor_b64 vcc, exec, s[30:31]
; %bb.6544:                             ;   in Loop: Header=BB6_4748 Depth=3
	v_or_b32_sdwa v22, v5, s83 dst_sel:DWORD dst_unused:UNUSED_PAD src0_sel:BYTE_3 src1_sel:DWORD
                                        ; implicit-def: $vgpr5
; %bb.6545:                             ;   in Loop: Header=BB6_4748 Depth=3
	s_andn2_saveexec_b64 s[30:31], vcc
; %bb.6546:                             ;   in Loop: Header=BB6_4748 Depth=3
	v_cmp_lt_i32_e32 vcc, -1, v5
	v_bfrev_b32_e32 v0, 0.5
	v_mov_b32_e32 v3, 0x7c
	v_cndmask_b32_e32 v22, v0, v3, vcc
; %bb.6547:                             ;   in Loop: Header=BB6_4748 Depth=3
	s_or_b64 exec, exec, s[30:31]
.LBB6_6548:                             ;   in Loop: Header=BB6_4748 Depth=3
	s_or_b64 exec, exec, s[28:29]
	v_lshrrev_b32_e32 v0, 16, v12
	v_cmp_ne_u16_sdwa vcc, v0, v34 src0_sel:BYTE_0 src1_sel:DWORD
	v_mov_b32_e32 v3, 0
	v_mov_b32_e32 v4, 0
	s_and_saveexec_b64 s[28:29], vcc
	s_cbranch_execz .LBB6_6556
; %bb.6549:                             ;   in Loop: Header=BB6_4748 Depth=3
	v_cmp_ne_u16_sdwa vcc, v0, s44 src0_sel:BYTE_0 src1_sel:DWORD
	v_bfrev_b32_e32 v4, 1
	s_and_saveexec_b64 s[30:31], vcc
	s_cbranch_execz .LBB6_6555
; %bb.6550:                             ;   in Loop: Header=BB6_4748 Depth=3
	v_and_b32_e32 v4, 0x7c0000, v12
	v_bfe_u32 v5, v12, 16, 2
	v_cmp_ne_u32_e32 vcc, s9, v4
                                        ; implicit-def: $vgpr4
	s_and_saveexec_b64 s[34:35], vcc
	s_xor_b64 s[34:35], exec, s[34:35]
	s_cbranch_execz .LBB6_6552
; %bb.6551:                             ;   in Loop: Header=BB6_4748 Depth=3
	v_ffbh_u32_e32 v6, v5
	v_min_u32_e32 v6, 32, v6
	v_subrev_u32_e32 v23, 29, v6
	v_lshlrev_b64 v[38:39], v23, v[0:1]
	v_bfe_u32 v4, v12, 18, 5
	v_sub_u32_e32 v0, 30, v6
	v_and_b32_e32 v6, 3, v38
	v_cmp_eq_u32_e32 vcc, 0, v4
	v_cndmask_b32_e32 v0, v4, v0, vcc
	v_cndmask_b32_e32 v4, v5, v6, vcc
	v_lshlrev_b32_e32 v5, 8, v12
	v_and_b32_e32 v5, 0x80000000, v5
	v_lshl_add_u32 v0, v0, 23, v5
	v_lshl_or_b32 v0, v4, 21, v0
	v_add_u32_e32 v4, 0x38000000, v0
                                        ; implicit-def: $vgpr5
                                        ; implicit-def: $vgpr0
.LBB6_6552:                             ;   in Loop: Header=BB6_4748 Depth=3
	s_andn2_saveexec_b64 s[34:35], s[34:35]
; %bb.6553:                             ;   in Loop: Header=BB6_4748 Depth=3
	v_mov_b32_e32 v4, -1
	v_cmp_gt_i16_sdwa vcc, sext(v0), v4 src0_sel:BYTE_0 src1_sel:DWORD
	v_mov_b32_e32 v0, 0xff800000
	v_mov_b32_e32 v4, 0x7f800000
	v_cndmask_b32_e32 v0, v0, v4, vcc
	v_cmp_eq_u32_e32 vcc, 0, v5
	v_mov_b32_e32 v4, 0x7f800001
	v_cndmask_b32_e32 v4, v4, v0, vcc
; %bb.6554:                             ;   in Loop: Header=BB6_4748 Depth=3
	s_or_b64 exec, exec, s[34:35]
.LBB6_6555:                             ;   in Loop: Header=BB6_4748 Depth=3
	s_or_b64 exec, exec, s[30:31]
.LBB6_6556:                             ;   in Loop: Header=BB6_4748 Depth=3
	s_or_b64 exec, exec, s[28:29]
	v_lshrrev_b32_e32 v0, 16, v8
	v_cmp_ne_u16_sdwa vcc, v0, v34 src0_sel:BYTE_0 src1_sel:DWORD
	s_and_saveexec_b64 s[28:29], vcc
	s_cbranch_execz .LBB6_6564
; %bb.6557:                             ;   in Loop: Header=BB6_4748 Depth=3
	v_cmp_ne_u16_sdwa vcc, v0, s44 src0_sel:BYTE_0 src1_sel:DWORD
	v_bfrev_b32_e32 v3, 1
	s_and_saveexec_b64 s[30:31], vcc
	s_cbranch_execz .LBB6_6563
; %bb.6558:                             ;   in Loop: Header=BB6_4748 Depth=3
	v_and_b32_e32 v3, 0x7c0000, v8
	v_bfe_u32 v5, v8, 16, 2
	v_cmp_ne_u32_e32 vcc, s9, v3
                                        ; implicit-def: $vgpr3
	s_and_saveexec_b64 s[34:35], vcc
	s_xor_b64 s[34:35], exec, s[34:35]
	s_cbranch_execz .LBB6_6560
; %bb.6559:                             ;   in Loop: Header=BB6_4748 Depth=3
	v_ffbh_u32_e32 v6, v5
	v_min_u32_e32 v6, 32, v6
	v_subrev_u32_e32 v23, 29, v6
	v_lshlrev_b64 v[38:39], v23, v[0:1]
	v_bfe_u32 v3, v8, 18, 5
	v_sub_u32_e32 v0, 30, v6
	v_and_b32_e32 v6, 3, v38
	v_cmp_eq_u32_e32 vcc, 0, v3
	v_cndmask_b32_e32 v0, v3, v0, vcc
	v_cndmask_b32_e32 v3, v5, v6, vcc
	v_lshlrev_b32_e32 v5, 8, v8
	v_and_b32_e32 v5, 0x80000000, v5
	v_lshl_add_u32 v0, v0, 23, v5
	v_lshl_or_b32 v0, v3, 21, v0
	v_add_u32_e32 v3, 0x38000000, v0
                                        ; implicit-def: $vgpr5
                                        ; implicit-def: $vgpr0
.LBB6_6560:                             ;   in Loop: Header=BB6_4748 Depth=3
	s_andn2_saveexec_b64 s[34:35], s[34:35]
; %bb.6561:                             ;   in Loop: Header=BB6_4748 Depth=3
	v_mov_b32_e32 v3, -1
	v_cmp_gt_i16_sdwa vcc, sext(v0), v3 src0_sel:BYTE_0 src1_sel:DWORD
	v_mov_b32_e32 v0, 0xff800000
	v_mov_b32_e32 v3, 0x7f800000
	v_cndmask_b32_e32 v0, v0, v3, vcc
	v_cmp_eq_u32_e32 vcc, 0, v5
	v_mov_b32_e32 v3, 0x7f800001
	v_cndmask_b32_e32 v3, v3, v0, vcc
; %bb.6562:                             ;   in Loop: Header=BB6_4748 Depth=3
	s_or_b64 exec, exec, s[34:35]
.LBB6_6563:                             ;   in Loop: Header=BB6_4748 Depth=3
	s_or_b64 exec, exec, s[30:31]
.LBB6_6564:                             ;   in Loop: Header=BB6_4748 Depth=3
	s_or_b64 exec, exec, s[28:29]
	v_mul_f32_e32 v5, v4, v3
	v_and_b32_e32 v38, 0x7f800000, v5
	v_mov_b32_e32 v39, v34
	v_cmp_ne_u64_e32 vcc, s[76:77], v[38:39]
	v_and_b32_e32 v3, 0x7fffff, v5
	v_mov_b32_e32 v4, v34
                                        ; implicit-def: $vgpr23
	s_and_saveexec_b64 s[28:29], vcc
	s_xor_b64 s[30:31], exec, s[28:29]
	s_cbranch_execz .LBB6_6578
; %bb.6565:                             ;   in Loop: Header=BB6_4748 Depth=3
	v_and_b32_e32 v38, 0x7fffffff, v5
	v_mov_b32_e32 v39, v34
	v_cmp_gt_u64_e32 vcc, s[78:79], v[38:39]
	v_and_b32_sdwa v0, v5, s44 dst_sel:DWORD dst_unused:UNUSED_PAD src0_sel:BYTE_3 src1_sel:DWORD
                                        ; implicit-def: $vgpr23
	s_and_saveexec_b64 s[28:29], vcc
	s_xor_b64 s[34:35], exec, s[28:29]
	s_cbranch_execz .LBB6_6575
; %bb.6566:                             ;   in Loop: Header=BB6_4748 Depth=3
	v_mov_b32_e32 v23, 0
	v_cmp_ne_u32_e32 vcc, 0, v5
	s_and_saveexec_b64 s[36:37], vcc
	s_cbranch_execz .LBB6_6574
; %bb.6567:                             ;   in Loop: Header=BB6_4748 Depth=3
	v_bfe_u32 v6, v5, 23, 8
	v_cmp_gt_u32_e64 s[28:29], s45, v6
	v_sub_u32_e32 v5, 0x71, v6
	v_cmp_eq_u32_e32 vcc, 0, v6
	v_cndmask_b32_e64 v5, 0, v5, s[28:29]
	v_mov_b32_e32 v23, 0x70
	v_cndmask_b32_e32 v23, v5, v23, vcc
	v_add_u32_e32 v5, 21, v23
	v_or_b32_e32 v32, 0x800000, v3
	v_lshlrev_b64 v[38:39], v5, -1
	v_cndmask_b32_e32 v3, v32, v3, vcc
	v_add_u32_e32 v5, 20, v23
	v_bfi_b32 v38, v38, 0, v3
	v_lshlrev_b64 v[50:51], v5, 1
	v_lshrrev_b64 v[3:4], v23, v[3:4]
	v_bfi_b32 v39, v39, 0, 0
	v_cmp_eq_u64_e64 s[28:29], v[38:39], v[50:51]
	v_mov_b32_e32 v5, v4
	v_mov_b32_e32 v4, v3
	s_and_saveexec_b64 s[38:39], s[28:29]
; %bb.6568:                             ;   in Loop: Header=BB6_4748 Depth=3
	v_bfe_u32 v4, v3, 21, 1
	v_add_co_u32_e64 v4, s[28:29], v3, v4
	v_add_co_u32_e64 v4, s[28:29], -1, v4
; %bb.6569:                             ;   in Loop: Header=BB6_4748 Depth=3
	s_or_b64 exec, exec, s[38:39]
	v_add_u32_e32 v5, 0xffffff81, v6
	v_mov_b32_e32 v6, 0xffffff82
	v_cndmask_b32_e32 v5, v5, v6, vcc
	v_lshrrev_b32_e32 v6, 23, v3
	v_add3_u32 v23, v23, v5, v6
	v_add_u32_e32 v6, 14, v23
	v_and_b32_e32 v4, 0x1fffff, v4
	v_add_u32_e32 v3, v4, v3
	v_mov_b32_e32 v4, v34
	v_cmp_ne_u32_e32 vcc, 0, v6
                                        ; implicit-def: $vgpr5
	s_and_saveexec_b64 s[28:29], vcc
	s_xor_b64 s[28:29], exec, s[28:29]
; %bb.6570:                             ;   in Loop: Header=BB6_4748 Depth=3
	v_cmp_lt_u64_e32 vcc, s[88:89], v[3:4]
	v_add_u32_e32 v5, 15, v23
	v_cndmask_b32_e32 v5, v6, v5, vcc
	v_cndmask_b32_e64 v6, 0, 1, vcc
	v_lshrrev_b64 v[3:4], v6, v[3:4]
; %bb.6571:                             ;   in Loop: Header=BB6_4748 Depth=3
	s_andn2_saveexec_b64 s[28:29], s[28:29]
; %bb.6572:                             ;   in Loop: Header=BB6_4748 Depth=3
	v_bfe_u32 v5, v3, 23, 1
; %bb.6573:                             ;   in Loop: Header=BB6_4748 Depth=3
	s_or_b64 exec, exec, s[28:29]
	v_lshrrev_b64 v[3:4], 21, v[3:4]
	v_cmp_gt_i32_e32 vcc, 32, v5
	v_cndmask_b32_e32 v4, 0, v4, vcc
	v_cndmask_b32_e32 v3, 3, v3, vcc
	v_cmp_eq_u64_e64 s[28:29], 0, v[3:4]
	v_min_i32_e32 v4, 31, v5
	v_lshlrev_b32_e32 v4, 2, v4
	v_cmp_eq_u32_e32 vcc, 0, v5
	v_and_b32_e32 v4, 0xfc, v4
	v_and_or_b32 v3, v3, 3, v4
	s_and_b64 s[28:29], vcc, s[28:29]
	v_cndmask_b32_e64 v3, v3, 0, s[28:29]
	v_or_b32_e32 v23, v3, v0
.LBB6_6574:                             ;   in Loop: Header=BB6_4748 Depth=3
	s_or_b64 exec, exec, s[36:37]
                                        ; implicit-def: $vgpr0
.LBB6_6575:                             ;   in Loop: Header=BB6_4748 Depth=3
	s_andn2_saveexec_b64 s[28:29], s[34:35]
; %bb.6576:                             ;   in Loop: Header=BB6_4748 Depth=3
	v_or_b32_e32 v23, 0x7b, v0
; %bb.6577:                             ;   in Loop: Header=BB6_4748 Depth=3
	s_or_b64 exec, exec, s[28:29]
                                        ; implicit-def: $vgpr5
                                        ; implicit-def: $vgpr3_vgpr4
.LBB6_6578:                             ;   in Loop: Header=BB6_4748 Depth=3
	s_andn2_saveexec_b64 s[28:29], s[30:31]
	s_cbranch_execz .LBB6_6584
; %bb.6579:                             ;   in Loop: Header=BB6_4748 Depth=3
	v_cmp_ne_u64_e32 vcc, 0, v[3:4]
                                        ; implicit-def: $vgpr23
	s_and_saveexec_b64 s[30:31], vcc
	s_xor_b64 vcc, exec, s[30:31]
; %bb.6580:                             ;   in Loop: Header=BB6_4748 Depth=3
	v_or_b32_sdwa v23, v5, s83 dst_sel:DWORD dst_unused:UNUSED_PAD src0_sel:BYTE_3 src1_sel:DWORD
                                        ; implicit-def: $vgpr5
; %bb.6581:                             ;   in Loop: Header=BB6_4748 Depth=3
	s_andn2_saveexec_b64 s[30:31], vcc
; %bb.6582:                             ;   in Loop: Header=BB6_4748 Depth=3
	v_cmp_lt_i32_e32 vcc, -1, v5
	v_bfrev_b32_e32 v0, 0.5
	v_mov_b32_e32 v3, 0x7c
	v_cndmask_b32_e32 v23, v0, v3, vcc
; %bb.6583:                             ;   in Loop: Header=BB6_4748 Depth=3
	s_or_b64 exec, exec, s[30:31]
.LBB6_6584:                             ;   in Loop: Header=BB6_4748 Depth=3
	s_or_b64 exec, exec, s[28:29]
	v_cmp_lt_u32_e32 vcc, s57, v12
	v_mov_b32_e32 v3, 0
	v_mov_b32_e32 v4, 0
	s_and_saveexec_b64 s[28:29], vcc
	s_cbranch_execz .LBB6_6592
; %bb.6585:                             ;   in Loop: Header=BB6_4748 Depth=3
	v_lshrrev_b32_e32 v0, 24, v12
	v_cmp_ne_u32_e32 vcc, s44, v0
	v_bfrev_b32_e32 v4, 1
	s_and_saveexec_b64 s[30:31], vcc
	s_cbranch_execz .LBB6_6591
; %bb.6586:                             ;   in Loop: Header=BB6_4748 Depth=3
	v_and_b32_e32 v4, 0x7c000000, v12
	v_bfe_u32 v5, v12, 24, 2
	v_cmp_ne_u32_e32 vcc, s8, v4
                                        ; implicit-def: $vgpr4
	s_and_saveexec_b64 s[34:35], vcc
	s_xor_b64 s[34:35], exec, s[34:35]
	s_cbranch_execz .LBB6_6588
; %bb.6587:                             ;   in Loop: Header=BB6_4748 Depth=3
	v_ffbh_u32_e32 v6, v5
	v_min_u32_e32 v6, 32, v6
	v_subrev_u32_e32 v32, 29, v6
	v_lshlrev_b64 v[38:39], v32, v[0:1]
	v_bfe_u32 v4, v12, 26, 5
	v_sub_u32_e32 v0, 30, v6
	v_and_b32_e32 v6, 3, v38
	v_cmp_eq_u32_e32 vcc, 0, v4
	v_cndmask_b32_e32 v0, v4, v0, vcc
	v_cndmask_b32_e32 v4, v5, v6, vcc
	v_and_b32_e32 v5, 0x80000000, v12
	v_lshl_add_u32 v0, v0, 23, v5
	v_lshl_or_b32 v0, v4, 21, v0
	v_add_u32_e32 v4, 0x38000000, v0
                                        ; implicit-def: $vgpr5
.LBB6_6588:                             ;   in Loop: Header=BB6_4748 Depth=3
	s_andn2_saveexec_b64 s[34:35], s[34:35]
; %bb.6589:                             ;   in Loop: Header=BB6_4748 Depth=3
	v_cmp_lt_i32_e32 vcc, -1, v12
	v_mov_b32_e32 v0, 0xff800000
	v_mov_b32_e32 v4, 0x7f800000
	v_cndmask_b32_e32 v0, v0, v4, vcc
	v_cmp_eq_u32_e32 vcc, 0, v5
	v_mov_b32_e32 v4, 0x7f800001
	v_cndmask_b32_e32 v4, v4, v0, vcc
; %bb.6590:                             ;   in Loop: Header=BB6_4748 Depth=3
	s_or_b64 exec, exec, s[34:35]
.LBB6_6591:                             ;   in Loop: Header=BB6_4748 Depth=3
	s_or_b64 exec, exec, s[30:31]
.LBB6_6592:                             ;   in Loop: Header=BB6_4748 Depth=3
	s_or_b64 exec, exec, s[28:29]
	v_cmp_lt_u32_e32 vcc, s57, v8
	s_and_saveexec_b64 s[28:29], vcc
	s_cbranch_execz .LBB6_6600
; %bb.6593:                             ;   in Loop: Header=BB6_4748 Depth=3
	v_lshrrev_b32_e32 v0, 24, v8
	v_cmp_ne_u32_e32 vcc, s44, v0
	v_bfrev_b32_e32 v3, 1
	s_and_saveexec_b64 s[30:31], vcc
	s_cbranch_execz .LBB6_6599
; %bb.6594:                             ;   in Loop: Header=BB6_4748 Depth=3
	v_and_b32_e32 v3, 0x7c000000, v8
	v_bfe_u32 v5, v8, 24, 2
	v_cmp_ne_u32_e32 vcc, s8, v3
                                        ; implicit-def: $vgpr3
	s_and_saveexec_b64 s[34:35], vcc
	s_xor_b64 s[34:35], exec, s[34:35]
	s_cbranch_execz .LBB6_6596
; %bb.6595:                             ;   in Loop: Header=BB6_4748 Depth=3
	v_ffbh_u32_e32 v6, v5
	v_min_u32_e32 v6, 32, v6
	v_subrev_u32_e32 v32, 29, v6
	v_lshlrev_b64 v[38:39], v32, v[0:1]
	v_bfe_u32 v3, v8, 26, 5
	v_sub_u32_e32 v0, 30, v6
	v_and_b32_e32 v6, 3, v38
	v_cmp_eq_u32_e32 vcc, 0, v3
	v_cndmask_b32_e32 v0, v3, v0, vcc
	v_cndmask_b32_e32 v3, v5, v6, vcc
	v_and_b32_e32 v5, 0x80000000, v8
	v_lshl_add_u32 v0, v0, 23, v5
	v_lshl_or_b32 v0, v3, 21, v0
	v_add_u32_e32 v3, 0x38000000, v0
                                        ; implicit-def: $vgpr5
.LBB6_6596:                             ;   in Loop: Header=BB6_4748 Depth=3
	s_andn2_saveexec_b64 s[34:35], s[34:35]
; %bb.6597:                             ;   in Loop: Header=BB6_4748 Depth=3
	v_cmp_lt_i32_e32 vcc, -1, v8
	v_mov_b32_e32 v0, 0xff800000
	v_mov_b32_e32 v3, 0x7f800000
	v_cndmask_b32_e32 v0, v0, v3, vcc
	v_cmp_eq_u32_e32 vcc, 0, v5
	v_mov_b32_e32 v3, 0x7f800001
	v_cndmask_b32_e32 v3, v3, v0, vcc
; %bb.6598:                             ;   in Loop: Header=BB6_4748 Depth=3
	s_or_b64 exec, exec, s[34:35]
.LBB6_6599:                             ;   in Loop: Header=BB6_4748 Depth=3
	s_or_b64 exec, exec, s[30:31]
.LBB6_6600:                             ;   in Loop: Header=BB6_4748 Depth=3
	s_or_b64 exec, exec, s[28:29]
	v_mul_f32_e32 v5, v4, v3
	v_and_b32_e32 v38, 0x7f800000, v5
	v_mov_b32_e32 v39, v34
	v_cmp_ne_u64_e32 vcc, s[76:77], v[38:39]
	v_and_b32_e32 v3, 0x7fffff, v5
	v_mov_b32_e32 v4, v34
                                        ; implicit-def: $vgpr44
	s_and_saveexec_b64 s[28:29], vcc
	s_xor_b64 s[30:31], exec, s[28:29]
	s_cbranch_execz .LBB6_6614
; %bb.6601:                             ;   in Loop: Header=BB6_4748 Depth=3
	v_and_b32_e32 v38, 0x7fffffff, v5
	v_mov_b32_e32 v39, v34
	v_cmp_gt_u64_e32 vcc, s[78:79], v[38:39]
	v_and_b32_sdwa v0, v5, s44 dst_sel:DWORD dst_unused:UNUSED_PAD src0_sel:BYTE_3 src1_sel:DWORD
                                        ; implicit-def: $vgpr44
	s_and_saveexec_b64 s[28:29], vcc
	s_xor_b64 s[34:35], exec, s[28:29]
	s_cbranch_execz .LBB6_6611
; %bb.6602:                             ;   in Loop: Header=BB6_4748 Depth=3
	v_mov_b32_e32 v44, 0
	v_cmp_ne_u32_e32 vcc, 0, v5
	s_and_saveexec_b64 s[36:37], vcc
	s_cbranch_execz .LBB6_6610
; %bb.6603:                             ;   in Loop: Header=BB6_4748 Depth=3
	v_bfe_u32 v6, v5, 23, 8
	v_cmp_gt_u32_e64 s[28:29], s45, v6
	v_sub_u32_e32 v5, 0x71, v6
	v_cmp_eq_u32_e32 vcc, 0, v6
	v_cndmask_b32_e64 v5, 0, v5, s[28:29]
	v_mov_b32_e32 v33, 0x70
	v_cndmask_b32_e32 v38, v5, v33, vcc
	v_add_u32_e32 v5, 21, v38
	v_or_b32_e32 v32, 0x800000, v3
	v_lshlrev_b64 v[50:51], v5, -1
	v_cndmask_b32_e32 v3, v32, v3, vcc
	v_add_u32_e32 v5, 20, v38
	v_bfi_b32 v50, v50, 0, v3
	v_lshlrev_b64 v[44:45], v5, 1
	v_lshrrev_b64 v[3:4], v38, v[3:4]
	v_bfi_b32 v51, v51, 0, 0
	v_cmp_eq_u64_e64 s[28:29], v[50:51], v[44:45]
	v_mov_b32_e32 v5, v4
	v_mov_b32_e32 v4, v3
	s_and_saveexec_b64 s[38:39], s[28:29]
; %bb.6604:                             ;   in Loop: Header=BB6_4748 Depth=3
	v_bfe_u32 v4, v3, 21, 1
	v_add_co_u32_e64 v4, s[28:29], v3, v4
	v_add_co_u32_e64 v4, s[28:29], -1, v4
; %bb.6605:                             ;   in Loop: Header=BB6_4748 Depth=3
	s_or_b64 exec, exec, s[38:39]
	v_add_u32_e32 v5, 0xffffff81, v6
	v_mov_b32_e32 v6, 0xffffff82
	v_cndmask_b32_e32 v5, v5, v6, vcc
	v_lshrrev_b32_e32 v6, 23, v3
	v_add3_u32 v38, v38, v5, v6
	v_add_u32_e32 v6, 14, v38
	v_and_b32_e32 v4, 0x1fffff, v4
	v_add_u32_e32 v3, v4, v3
	v_mov_b32_e32 v4, v34
	v_cmp_ne_u32_e32 vcc, 0, v6
                                        ; implicit-def: $vgpr5
	s_and_saveexec_b64 s[28:29], vcc
	s_xor_b64 s[28:29], exec, s[28:29]
; %bb.6606:                             ;   in Loop: Header=BB6_4748 Depth=3
	v_cmp_lt_u64_e32 vcc, s[88:89], v[3:4]
	v_add_u32_e32 v5, 15, v38
	v_cndmask_b32_e32 v5, v6, v5, vcc
	v_cndmask_b32_e64 v6, 0, 1, vcc
	v_lshrrev_b64 v[3:4], v6, v[3:4]
; %bb.6607:                             ;   in Loop: Header=BB6_4748 Depth=3
	s_andn2_saveexec_b64 s[28:29], s[28:29]
; %bb.6608:                             ;   in Loop: Header=BB6_4748 Depth=3
	v_bfe_u32 v5, v3, 23, 1
; %bb.6609:                             ;   in Loop: Header=BB6_4748 Depth=3
	s_or_b64 exec, exec, s[28:29]
	v_lshrrev_b64 v[3:4], 21, v[3:4]
	v_cmp_gt_i32_e32 vcc, 32, v5
	v_cndmask_b32_e32 v4, 0, v4, vcc
	v_cndmask_b32_e32 v3, 3, v3, vcc
	v_cmp_eq_u64_e64 s[28:29], 0, v[3:4]
	v_min_i32_e32 v4, 31, v5
	v_lshlrev_b32_e32 v4, 2, v4
	v_cmp_eq_u32_e32 vcc, 0, v5
	v_and_b32_e32 v4, 0xfc, v4
	v_and_or_b32 v3, v3, 3, v4
	s_and_b64 s[28:29], vcc, s[28:29]
	v_cndmask_b32_e64 v3, v3, 0, s[28:29]
	v_or_b32_e32 v44, v3, v0
.LBB6_6610:                             ;   in Loop: Header=BB6_4748 Depth=3
	s_or_b64 exec, exec, s[36:37]
                                        ; implicit-def: $vgpr0
.LBB6_6611:                             ;   in Loop: Header=BB6_4748 Depth=3
	s_andn2_saveexec_b64 s[28:29], s[34:35]
; %bb.6612:                             ;   in Loop: Header=BB6_4748 Depth=3
	v_or_b32_e32 v44, 0x7b, v0
; %bb.6613:                             ;   in Loop: Header=BB6_4748 Depth=3
	s_or_b64 exec, exec, s[28:29]
                                        ; implicit-def: $vgpr5
                                        ; implicit-def: $vgpr3_vgpr4
.LBB6_6614:                             ;   in Loop: Header=BB6_4748 Depth=3
	s_andn2_saveexec_b64 s[28:29], s[30:31]
	s_cbranch_execz .LBB6_6620
; %bb.6615:                             ;   in Loop: Header=BB6_4748 Depth=3
	v_cmp_ne_u64_e32 vcc, 0, v[3:4]
                                        ; implicit-def: $vgpr44
	s_and_saveexec_b64 s[30:31], vcc
	s_xor_b64 vcc, exec, s[30:31]
; %bb.6616:                             ;   in Loop: Header=BB6_4748 Depth=3
	v_or_b32_sdwa v44, v5, s83 dst_sel:DWORD dst_unused:UNUSED_PAD src0_sel:BYTE_3 src1_sel:DWORD
                                        ; implicit-def: $vgpr5
; %bb.6617:                             ;   in Loop: Header=BB6_4748 Depth=3
	s_andn2_saveexec_b64 s[30:31], vcc
; %bb.6618:                             ;   in Loop: Header=BB6_4748 Depth=3
	v_cmp_lt_i32_e32 vcc, -1, v5
	v_bfrev_b32_e32 v0, 0.5
	v_mov_b32_e32 v3, 0x7c
	v_cndmask_b32_e32 v44, v0, v3, vcc
; %bb.6619:                             ;   in Loop: Header=BB6_4748 Depth=3
	s_or_b64 exec, exec, s[30:31]
.LBB6_6620:                             ;   in Loop: Header=BB6_4748 Depth=3
	s_or_b64 exec, exec, s[28:29]
	v_mov_b32_e32 v3, v13
	v_mov_b32_e32 v4, v34
	v_cmp_ne_u16_sdwa vcc, v13, v34 src0_sel:BYTE_0 src1_sel:DWORD
	v_mov_b32_e32 v5, 0
	v_mov_b32_e32 v0, 0
	s_and_saveexec_b64 s[28:29], vcc
	s_cbranch_execz .LBB6_6628
; %bb.6621:                             ;   in Loop: Header=BB6_4748 Depth=3
	v_cmp_ne_u16_sdwa vcc, v13, s44 src0_sel:BYTE_0 src1_sel:DWORD
	v_bfrev_b32_e32 v0, 1
	s_and_saveexec_b64 s[30:31], vcc
	s_cbranch_execz .LBB6_6627
; %bb.6622:                             ;   in Loop: Header=BB6_4748 Depth=3
	v_and_b32_e32 v0, 0x7c, v13
	v_and_b32_e32 v6, 3, v13
	v_cmp_ne_u32_e32 vcc, s81, v0
                                        ; implicit-def: $vgpr0
	s_and_saveexec_b64 s[34:35], vcc
	s_xor_b64 s[34:35], exec, s[34:35]
	s_cbranch_execz .LBB6_6624
; %bb.6623:                             ;   in Loop: Header=BB6_4748 Depth=3
	v_ffbh_u32_e32 v32, v6
	v_min_u32_e32 v32, 32, v32
	v_subrev_u32_e32 v33, 29, v32
	v_lshlrev_b64 v[38:39], v33, v[3:4]
	v_bfe_u32 v0, v13, 2, 5
	v_sub_u32_e32 v4, 30, v32
	v_and_b32_e32 v32, 3, v38
	v_cmp_eq_u32_e32 vcc, 0, v0
	v_cndmask_b32_e32 v0, v0, v4, vcc
	v_cndmask_b32_e32 v4, v6, v32, vcc
	v_lshlrev_b32_e32 v6, 24, v13
	v_and_b32_e32 v6, 0x80000000, v6
	v_lshl_add_u32 v0, v0, 23, v6
	v_lshl_or_b32 v0, v4, 21, v0
	v_add_u32_e32 v0, 0x38000000, v0
                                        ; implicit-def: $vgpr6
.LBB6_6624:                             ;   in Loop: Header=BB6_4748 Depth=3
	s_andn2_saveexec_b64 s[34:35], s[34:35]
; %bb.6625:                             ;   in Loop: Header=BB6_4748 Depth=3
	v_mov_b32_e32 v0, -1
	v_cmp_gt_i16_sdwa vcc, sext(v13), v0 src0_sel:BYTE_0 src1_sel:DWORD
	v_mov_b32_e32 v0, 0xff800000
	v_mov_b32_e32 v4, 0x7f800000
	v_cndmask_b32_e32 v0, v0, v4, vcc
	v_cmp_eq_u32_e32 vcc, 0, v6
	v_mov_b32_e32 v4, 0x7f800001
	v_cndmask_b32_e32 v0, v4, v0, vcc
; %bb.6626:                             ;   in Loop: Header=BB6_4748 Depth=3
	s_or_b64 exec, exec, s[34:35]
.LBB6_6627:                             ;   in Loop: Header=BB6_4748 Depth=3
	s_or_b64 exec, exec, s[30:31]
.LBB6_6628:                             ;   in Loop: Header=BB6_4748 Depth=3
	s_or_b64 exec, exec, s[28:29]
	v_cmp_ne_u16_sdwa vcc, v9, v34 src0_sel:BYTE_0 src1_sel:DWORD
	s_and_saveexec_b64 s[28:29], vcc
	s_cbranch_execz .LBB6_6636
; %bb.6629:                             ;   in Loop: Header=BB6_4748 Depth=3
	v_cmp_ne_u16_sdwa vcc, v9, s44 src0_sel:BYTE_0 src1_sel:DWORD
	v_bfrev_b32_e32 v5, 1
	s_and_saveexec_b64 s[30:31], vcc
	s_cbranch_execz .LBB6_6635
; %bb.6630:                             ;   in Loop: Header=BB6_4748 Depth=3
	v_and_b32_e32 v5, 0x7c, v9
	v_and_b32_e32 v4, 3, v9
	v_cmp_ne_u32_e32 vcc, s81, v5
                                        ; implicit-def: $vgpr5
	s_and_saveexec_b64 s[34:35], vcc
	s_xor_b64 s[34:35], exec, s[34:35]
	s_cbranch_execz .LBB6_6632
; %bb.6631:                             ;   in Loop: Header=BB6_4748 Depth=3
	v_ffbh_u32_e32 v33, v4
	v_min_u32_e32 v33, 32, v33
	v_mov_b32_e32 v5, v9
	v_mov_b32_e32 v6, v34
	v_subrev_u32_e32 v38, 29, v33
	v_lshlrev_b64 v[5:6], v38, v[5:6]
	v_bfe_u32 v32, v9, 2, 5
	v_and_b32_e32 v5, 3, v5
	v_cmp_eq_u32_e32 vcc, 0, v32
	v_sub_u32_e32 v6, 30, v33
	v_cndmask_b32_e32 v4, v4, v5, vcc
	v_lshlrev_b32_e32 v5, 24, v9
	v_cndmask_b32_e32 v6, v32, v6, vcc
	v_and_b32_e32 v5, 0x80000000, v5
	v_lshl_add_u32 v5, v6, 23, v5
	v_lshl_or_b32 v4, v4, 21, v5
	v_add_u32_e32 v5, 0x38000000, v4
                                        ; implicit-def: $vgpr4
.LBB6_6632:                             ;   in Loop: Header=BB6_4748 Depth=3
	s_andn2_saveexec_b64 s[34:35], s[34:35]
; %bb.6633:                             ;   in Loop: Header=BB6_4748 Depth=3
	v_mov_b32_e32 v5, -1
	v_cmp_gt_i16_sdwa vcc, sext(v9), v5 src0_sel:BYTE_0 src1_sel:DWORD
	v_mov_b32_e32 v5, 0xff800000
	v_mov_b32_e32 v6, 0x7f800000
	v_cndmask_b32_e32 v5, v5, v6, vcc
	v_cmp_eq_u32_e32 vcc, 0, v4
	v_mov_b32_e32 v4, 0x7f800001
	v_cndmask_b32_e32 v5, v4, v5, vcc
; %bb.6634:                             ;   in Loop: Header=BB6_4748 Depth=3
	s_or_b64 exec, exec, s[34:35]
.LBB6_6635:                             ;   in Loop: Header=BB6_4748 Depth=3
	s_or_b64 exec, exec, s[30:31]
.LBB6_6636:                             ;   in Loop: Header=BB6_4748 Depth=3
	s_or_b64 exec, exec, s[28:29]
	v_mul_f32_e32 v6, v0, v5
	v_and_b32_e32 v38, 0x7f800000, v6
	v_mov_b32_e32 v39, v34
	v_cmp_ne_u64_e32 vcc, s[76:77], v[38:39]
	v_and_b32_e32 v4, 0x7fffff, v6
	v_mov_b32_e32 v5, v34
                                        ; implicit-def: $vgpr45
	s_and_saveexec_b64 s[28:29], vcc
	s_xor_b64 s[30:31], exec, s[28:29]
	s_cbranch_execz .LBB6_6650
; %bb.6637:                             ;   in Loop: Header=BB6_4748 Depth=3
	v_and_b32_e32 v38, 0x7fffffff, v6
	v_mov_b32_e32 v39, v34
	v_cmp_gt_u64_e32 vcc, s[78:79], v[38:39]
	v_and_b32_sdwa v0, v6, s44 dst_sel:DWORD dst_unused:UNUSED_PAD src0_sel:BYTE_3 src1_sel:DWORD
                                        ; implicit-def: $vgpr45
	s_and_saveexec_b64 s[28:29], vcc
	s_xor_b64 s[34:35], exec, s[28:29]
	s_cbranch_execz .LBB6_6647
; %bb.6638:                             ;   in Loop: Header=BB6_4748 Depth=3
	v_mov_b32_e32 v45, 0
	v_cmp_ne_u32_e32 vcc, 0, v6
	s_and_saveexec_b64 s[36:37], vcc
	s_cbranch_execz .LBB6_6646
; %bb.6639:                             ;   in Loop: Header=BB6_4748 Depth=3
	v_bfe_u32 v38, v6, 23, 8
	v_cmp_gt_u32_e64 s[28:29], s45, v38
	v_sub_u32_e32 v6, 0x71, v38
	v_cmp_eq_u32_e32 vcc, 0, v38
	v_cndmask_b32_e64 v6, 0, v6, s[28:29]
	v_mov_b32_e32 v33, 0x70
	v_cndmask_b32_e32 v39, v6, v33, vcc
	v_add_u32_e32 v6, 21, v39
	v_or_b32_e32 v32, 0x800000, v4
	v_lshlrev_b64 v[50:51], v6, -1
	v_cndmask_b32_e32 v4, v32, v4, vcc
	v_add_u32_e32 v6, 20, v39
	v_bfi_b32 v50, v50, 0, v4
	v_lshlrev_b64 v[45:46], v6, 1
	v_lshrrev_b64 v[4:5], v39, v[4:5]
	v_bfi_b32 v51, v51, 0, 0
	v_cmp_eq_u64_e64 s[28:29], v[50:51], v[45:46]
	v_mov_b32_e32 v6, v5
	v_mov_b32_e32 v5, v4
	s_and_saveexec_b64 s[38:39], s[28:29]
; %bb.6640:                             ;   in Loop: Header=BB6_4748 Depth=3
	v_bfe_u32 v5, v4, 21, 1
	v_add_co_u32_e64 v5, s[28:29], v4, v5
	v_add_co_u32_e64 v5, s[28:29], -1, v5
; %bb.6641:                             ;   in Loop: Header=BB6_4748 Depth=3
	s_or_b64 exec, exec, s[38:39]
	v_add_u32_e32 v6, 0xffffff81, v38
	v_mov_b32_e32 v32, 0xffffff82
	v_cndmask_b32_e32 v6, v6, v32, vcc
	v_lshrrev_b32_e32 v32, 23, v4
	v_add3_u32 v39, v39, v6, v32
	v_add_u32_e32 v38, 14, v39
	v_and_b32_e32 v5, 0x1fffff, v5
	v_add_u32_e32 v4, v5, v4
	v_mov_b32_e32 v5, v34
	v_cmp_ne_u32_e32 vcc, 0, v38
                                        ; implicit-def: $vgpr6
	s_and_saveexec_b64 s[28:29], vcc
	s_xor_b64 s[28:29], exec, s[28:29]
; %bb.6642:                             ;   in Loop: Header=BB6_4748 Depth=3
	v_cmp_lt_u64_e32 vcc, s[88:89], v[4:5]
	v_add_u32_e32 v6, 15, v39
	v_cndmask_b32_e64 v32, 0, 1, vcc
	v_lshrrev_b64 v[4:5], v32, v[4:5]
	v_cndmask_b32_e32 v6, v38, v6, vcc
; %bb.6643:                             ;   in Loop: Header=BB6_4748 Depth=3
	s_andn2_saveexec_b64 s[28:29], s[28:29]
; %bb.6644:                             ;   in Loop: Header=BB6_4748 Depth=3
	v_bfe_u32 v6, v4, 23, 1
; %bb.6645:                             ;   in Loop: Header=BB6_4748 Depth=3
	s_or_b64 exec, exec, s[28:29]
	v_lshrrev_b64 v[4:5], 21, v[4:5]
	v_cmp_gt_i32_e32 vcc, 32, v6
	v_cndmask_b32_e32 v5, 0, v5, vcc
	v_cndmask_b32_e32 v4, 3, v4, vcc
	v_cmp_eq_u64_e64 s[28:29], 0, v[4:5]
	v_min_i32_e32 v5, 31, v6
	v_lshlrev_b32_e32 v5, 2, v5
	v_cmp_eq_u32_e32 vcc, 0, v6
	v_and_b32_e32 v5, 0xfc, v5
	v_and_or_b32 v4, v4, 3, v5
	s_and_b64 s[28:29], vcc, s[28:29]
	v_cndmask_b32_e64 v4, v4, 0, s[28:29]
	v_or_b32_e32 v45, v4, v0
.LBB6_6646:                             ;   in Loop: Header=BB6_4748 Depth=3
	s_or_b64 exec, exec, s[36:37]
                                        ; implicit-def: $vgpr0
.LBB6_6647:                             ;   in Loop: Header=BB6_4748 Depth=3
	s_andn2_saveexec_b64 s[28:29], s[34:35]
; %bb.6648:                             ;   in Loop: Header=BB6_4748 Depth=3
	v_or_b32_e32 v45, 0x7b, v0
; %bb.6649:                             ;   in Loop: Header=BB6_4748 Depth=3
	s_or_b64 exec, exec, s[28:29]
                                        ; implicit-def: $vgpr6
                                        ; implicit-def: $vgpr4_vgpr5
.LBB6_6650:                             ;   in Loop: Header=BB6_4748 Depth=3
	s_andn2_saveexec_b64 s[28:29], s[30:31]
	s_cbranch_execz .LBB6_6656
; %bb.6651:                             ;   in Loop: Header=BB6_4748 Depth=3
	v_cmp_ne_u64_e32 vcc, 0, v[4:5]
                                        ; implicit-def: $vgpr45
	s_and_saveexec_b64 s[30:31], vcc
	s_xor_b64 vcc, exec, s[30:31]
; %bb.6652:                             ;   in Loop: Header=BB6_4748 Depth=3
	v_or_b32_sdwa v45, v6, s83 dst_sel:DWORD dst_unused:UNUSED_PAD src0_sel:BYTE_3 src1_sel:DWORD
                                        ; implicit-def: $vgpr6
; %bb.6653:                             ;   in Loop: Header=BB6_4748 Depth=3
	s_andn2_saveexec_b64 s[30:31], vcc
; %bb.6654:                             ;   in Loop: Header=BB6_4748 Depth=3
	v_cmp_lt_i32_e32 vcc, -1, v6
	v_bfrev_b32_e32 v0, 0.5
	v_mov_b32_e32 v4, 0x7c
	v_cndmask_b32_e32 v45, v0, v4, vcc
; %bb.6655:                             ;   in Loop: Header=BB6_4748 Depth=3
	s_or_b64 exec, exec, s[30:31]
.LBB6_6656:                             ;   in Loop: Header=BB6_4748 Depth=3
	s_or_b64 exec, exec, s[28:29]
	v_lshrrev_b16_e32 v4, 8, v3
	v_cmp_ne_u16_e32 vcc, 0, v4
	v_mov_b32_e32 v0, 0
	v_mov_b32_e32 v5, 0
	s_and_saveexec_b64 s[28:29], vcc
	s_cbranch_execz .LBB6_6664
; %bb.6657:                             ;   in Loop: Header=BB6_4748 Depth=3
	v_cmp_ne_u16_e32 vcc, s44, v4
	v_bfrev_b32_e32 v5, 1
	s_and_saveexec_b64 s[30:31], vcc
	s_cbranch_execz .LBB6_6663
; %bb.6658:                             ;   in Loop: Header=BB6_4748 Depth=3
	v_and_b32_e32 v5, 0x7c, v4
	v_and_b32_e32 v6, 3, v4
	v_cmp_ne_u32_e32 vcc, s81, v5
                                        ; implicit-def: $vgpr5
	s_and_saveexec_b64 s[34:35], vcc
	s_xor_b64 s[34:35], exec, s[34:35]
	s_cbranch_execz .LBB6_6660
; %bb.6659:                             ;   in Loop: Header=BB6_4748 Depth=3
	v_ffbh_u32_e32 v33, v6
	v_min_u32_e32 v33, 32, v33
	v_mov_b32_e32 v5, v34
	v_subrev_u32_e32 v38, 29, v33
	v_bfe_u32 v32, v4, 2, 5
	v_lshlrev_b64 v[4:5], v38, v[4:5]
	v_sub_u32_e32 v5, 30, v33
	v_cmp_eq_u32_e32 vcc, 0, v32
	v_lshlrev_b32_e32 v3, 16, v3
	v_and_b32_e32 v4, 3, v4
	v_cndmask_b32_e32 v5, v32, v5, vcc
	v_and_b32_e32 v3, 0x80000000, v3
	v_cndmask_b32_e32 v4, v6, v4, vcc
	v_lshl_add_u32 v3, v5, 23, v3
	v_lshl_or_b32 v3, v4, 21, v3
	v_add_u32_e32 v5, 0x38000000, v3
                                        ; implicit-def: $vgpr6
                                        ; implicit-def: $vgpr3_vgpr4
.LBB6_6660:                             ;   in Loop: Header=BB6_4748 Depth=3
	s_andn2_saveexec_b64 s[34:35], s[34:35]
; %bb.6661:                             ;   in Loop: Header=BB6_4748 Depth=3
	v_cmp_lt_i16_e32 vcc, -1, v3
	v_mov_b32_e32 v3, 0xff800000
	v_mov_b32_e32 v4, 0x7f800000
	v_cndmask_b32_e32 v3, v3, v4, vcc
	v_cmp_eq_u32_e32 vcc, 0, v6
	v_mov_b32_e32 v4, 0x7f800001
	v_cndmask_b32_e32 v5, v4, v3, vcc
; %bb.6662:                             ;   in Loop: Header=BB6_4748 Depth=3
	s_or_b64 exec, exec, s[34:35]
.LBB6_6663:                             ;   in Loop: Header=BB6_4748 Depth=3
	s_or_b64 exec, exec, s[30:31]
.LBB6_6664:                             ;   in Loop: Header=BB6_4748 Depth=3
	s_or_b64 exec, exec, s[28:29]
	v_lshrrev_b16_e32 v3, 8, v9
	v_cmp_ne_u16_e32 vcc, 0, v3
	s_and_saveexec_b64 s[28:29], vcc
	s_cbranch_execz .LBB6_6672
; %bb.6665:                             ;   in Loop: Header=BB6_4748 Depth=3
	v_cmp_ne_u16_e32 vcc, s44, v3
	v_bfrev_b32_e32 v0, 1
	s_and_saveexec_b64 s[30:31], vcc
	s_cbranch_execz .LBB6_6671
; %bb.6666:                             ;   in Loop: Header=BB6_4748 Depth=3
	v_and_b32_e32 v0, 0x7c, v3
	v_and_b32_e32 v6, 3, v3
	v_cmp_ne_u32_e32 vcc, s81, v0
                                        ; implicit-def: $vgpr0
	s_and_saveexec_b64 s[34:35], vcc
	s_xor_b64 s[34:35], exec, s[34:35]
	s_cbranch_execz .LBB6_6668
; %bb.6667:                             ;   in Loop: Header=BB6_4748 Depth=3
	v_ffbh_u32_e32 v32, v6
	v_min_u32_e32 v32, 32, v32
	v_mov_b32_e32 v4, v34
	v_subrev_u32_e32 v33, 29, v32
	v_bfe_u32 v0, v3, 2, 5
	v_lshlrev_b64 v[3:4], v33, v[3:4]
	v_sub_u32_e32 v4, 30, v32
	v_cmp_eq_u32_e32 vcc, 0, v0
	v_cndmask_b32_e32 v0, v0, v4, vcc
	v_lshlrev_b32_e32 v4, 16, v9
	v_and_b32_e32 v3, 3, v3
	v_and_b32_e32 v4, 0x80000000, v4
	v_cndmask_b32_e32 v3, v6, v3, vcc
	v_lshl_add_u32 v0, v0, 23, v4
	v_lshl_or_b32 v0, v3, 21, v0
	v_add_u32_e32 v0, 0x38000000, v0
                                        ; implicit-def: $vgpr6
.LBB6_6668:                             ;   in Loop: Header=BB6_4748 Depth=3
	s_andn2_saveexec_b64 s[34:35], s[34:35]
; %bb.6669:                             ;   in Loop: Header=BB6_4748 Depth=3
	v_cmp_lt_i16_e32 vcc, -1, v9
	v_mov_b32_e32 v0, 0xff800000
	v_mov_b32_e32 v3, 0x7f800000
	v_cndmask_b32_e32 v0, v0, v3, vcc
	v_cmp_eq_u32_e32 vcc, 0, v6
	v_mov_b32_e32 v3, 0x7f800001
	v_cndmask_b32_e32 v0, v3, v0, vcc
; %bb.6670:                             ;   in Loop: Header=BB6_4748 Depth=3
	s_or_b64 exec, exec, s[34:35]
.LBB6_6671:                             ;   in Loop: Header=BB6_4748 Depth=3
	s_or_b64 exec, exec, s[30:31]
.LBB6_6672:                             ;   in Loop: Header=BB6_4748 Depth=3
	s_or_b64 exec, exec, s[28:29]
	v_mul_f32_e32 v5, v5, v0
	v_and_b32_e32 v38, 0x7f800000, v5
	v_mov_b32_e32 v39, v34
	v_cmp_ne_u64_e32 vcc, s[76:77], v[38:39]
	v_and_b32_e32 v3, 0x7fffff, v5
	v_mov_b32_e32 v4, v34
                                        ; implicit-def: $vgpr46
	s_and_saveexec_b64 s[28:29], vcc
	s_xor_b64 s[30:31], exec, s[28:29]
	s_cbranch_execz .LBB6_6686
; %bb.6673:                             ;   in Loop: Header=BB6_4748 Depth=3
	v_and_b32_e32 v38, 0x7fffffff, v5
	v_mov_b32_e32 v39, v34
	v_cmp_gt_u64_e32 vcc, s[78:79], v[38:39]
	v_and_b32_sdwa v0, v5, s44 dst_sel:DWORD dst_unused:UNUSED_PAD src0_sel:BYTE_3 src1_sel:DWORD
                                        ; implicit-def: $vgpr46
	s_and_saveexec_b64 s[28:29], vcc
	s_xor_b64 s[34:35], exec, s[28:29]
	s_cbranch_execz .LBB6_6683
; %bb.6674:                             ;   in Loop: Header=BB6_4748 Depth=3
	v_mov_b32_e32 v46, 0
	v_cmp_ne_u32_e32 vcc, 0, v5
	s_and_saveexec_b64 s[36:37], vcc
	s_cbranch_execz .LBB6_6682
; %bb.6675:                             ;   in Loop: Header=BB6_4748 Depth=3
	v_bfe_u32 v6, v5, 23, 8
	v_cmp_gt_u32_e64 s[28:29], s45, v6
	v_sub_u32_e32 v5, 0x71, v6
	v_cmp_eq_u32_e32 vcc, 0, v6
	v_cndmask_b32_e64 v5, 0, v5, s[28:29]
	v_mov_b32_e32 v33, 0x70
	v_cndmask_b32_e32 v38, v5, v33, vcc
	v_add_u32_e32 v5, 21, v38
	v_or_b32_e32 v32, 0x800000, v3
	v_lshlrev_b64 v[50:51], v5, -1
	v_cndmask_b32_e32 v3, v32, v3, vcc
	v_add_u32_e32 v5, 20, v38
	v_bfi_b32 v50, v50, 0, v3
	v_lshlrev_b64 v[46:47], v5, 1
	v_lshrrev_b64 v[3:4], v38, v[3:4]
	v_bfi_b32 v51, v51, 0, 0
	v_cmp_eq_u64_e64 s[28:29], v[50:51], v[46:47]
	v_mov_b32_e32 v5, v4
	v_mov_b32_e32 v4, v3
	s_and_saveexec_b64 s[38:39], s[28:29]
; %bb.6676:                             ;   in Loop: Header=BB6_4748 Depth=3
	v_bfe_u32 v4, v3, 21, 1
	v_add_co_u32_e64 v4, s[28:29], v3, v4
	v_add_co_u32_e64 v4, s[28:29], -1, v4
; %bb.6677:                             ;   in Loop: Header=BB6_4748 Depth=3
	s_or_b64 exec, exec, s[38:39]
	v_add_u32_e32 v5, 0xffffff81, v6
	v_mov_b32_e32 v6, 0xffffff82
	v_cndmask_b32_e32 v5, v5, v6, vcc
	v_lshrrev_b32_e32 v6, 23, v3
	v_add3_u32 v38, v38, v5, v6
	v_add_u32_e32 v6, 14, v38
	v_and_b32_e32 v4, 0x1fffff, v4
	v_add_u32_e32 v3, v4, v3
	v_mov_b32_e32 v4, v34
	v_cmp_ne_u32_e32 vcc, 0, v6
                                        ; implicit-def: $vgpr5
	s_and_saveexec_b64 s[28:29], vcc
	s_xor_b64 s[28:29], exec, s[28:29]
; %bb.6678:                             ;   in Loop: Header=BB6_4748 Depth=3
	v_cmp_lt_u64_e32 vcc, s[88:89], v[3:4]
	v_add_u32_e32 v5, 15, v38
	v_cndmask_b32_e32 v5, v6, v5, vcc
	v_cndmask_b32_e64 v6, 0, 1, vcc
	v_lshrrev_b64 v[3:4], v6, v[3:4]
; %bb.6679:                             ;   in Loop: Header=BB6_4748 Depth=3
	s_andn2_saveexec_b64 s[28:29], s[28:29]
; %bb.6680:                             ;   in Loop: Header=BB6_4748 Depth=3
	v_bfe_u32 v5, v3, 23, 1
; %bb.6681:                             ;   in Loop: Header=BB6_4748 Depth=3
	s_or_b64 exec, exec, s[28:29]
	v_lshrrev_b64 v[3:4], 21, v[3:4]
	v_cmp_gt_i32_e32 vcc, 32, v5
	v_cndmask_b32_e32 v4, 0, v4, vcc
	v_cndmask_b32_e32 v3, 3, v3, vcc
	v_cmp_eq_u64_e64 s[28:29], 0, v[3:4]
	v_min_i32_e32 v4, 31, v5
	v_lshlrev_b32_e32 v4, 2, v4
	v_cmp_eq_u32_e32 vcc, 0, v5
	v_and_b32_e32 v4, 0xfc, v4
	v_and_or_b32 v3, v3, 3, v4
	s_and_b64 s[28:29], vcc, s[28:29]
	v_cndmask_b32_e64 v3, v3, 0, s[28:29]
	v_or_b32_e32 v46, v3, v0
.LBB6_6682:                             ;   in Loop: Header=BB6_4748 Depth=3
	s_or_b64 exec, exec, s[36:37]
                                        ; implicit-def: $vgpr0
.LBB6_6683:                             ;   in Loop: Header=BB6_4748 Depth=3
	s_andn2_saveexec_b64 s[28:29], s[34:35]
; %bb.6684:                             ;   in Loop: Header=BB6_4748 Depth=3
	v_or_b32_e32 v46, 0x7b, v0
; %bb.6685:                             ;   in Loop: Header=BB6_4748 Depth=3
	s_or_b64 exec, exec, s[28:29]
                                        ; implicit-def: $vgpr5
                                        ; implicit-def: $vgpr3_vgpr4
.LBB6_6686:                             ;   in Loop: Header=BB6_4748 Depth=3
	s_andn2_saveexec_b64 s[28:29], s[30:31]
	s_cbranch_execz .LBB6_6692
; %bb.6687:                             ;   in Loop: Header=BB6_4748 Depth=3
	v_cmp_ne_u64_e32 vcc, 0, v[3:4]
                                        ; implicit-def: $vgpr46
	s_and_saveexec_b64 s[30:31], vcc
	s_xor_b64 vcc, exec, s[30:31]
; %bb.6688:                             ;   in Loop: Header=BB6_4748 Depth=3
	v_or_b32_sdwa v46, v5, s83 dst_sel:DWORD dst_unused:UNUSED_PAD src0_sel:BYTE_3 src1_sel:DWORD
                                        ; implicit-def: $vgpr5
; %bb.6689:                             ;   in Loop: Header=BB6_4748 Depth=3
	s_andn2_saveexec_b64 s[30:31], vcc
; %bb.6690:                             ;   in Loop: Header=BB6_4748 Depth=3
	v_cmp_lt_i32_e32 vcc, -1, v5
	v_bfrev_b32_e32 v0, 0.5
	v_mov_b32_e32 v3, 0x7c
	v_cndmask_b32_e32 v46, v0, v3, vcc
; %bb.6691:                             ;   in Loop: Header=BB6_4748 Depth=3
	s_or_b64 exec, exec, s[30:31]
.LBB6_6692:                             ;   in Loop: Header=BB6_4748 Depth=3
	s_or_b64 exec, exec, s[28:29]
	v_lshrrev_b32_e32 v0, 16, v13
	v_cmp_ne_u16_sdwa vcc, v0, v34 src0_sel:BYTE_0 src1_sel:DWORD
	v_mov_b32_e32 v3, 0
	v_mov_b32_e32 v4, 0
	s_and_saveexec_b64 s[28:29], vcc
	s_cbranch_execz .LBB6_6700
; %bb.6693:                             ;   in Loop: Header=BB6_4748 Depth=3
	v_cmp_ne_u16_sdwa vcc, v0, s44 src0_sel:BYTE_0 src1_sel:DWORD
	v_bfrev_b32_e32 v4, 1
	s_and_saveexec_b64 s[30:31], vcc
	s_cbranch_execz .LBB6_6699
; %bb.6694:                             ;   in Loop: Header=BB6_4748 Depth=3
	v_and_b32_e32 v4, 0x7c0000, v13
	v_bfe_u32 v5, v13, 16, 2
	v_cmp_ne_u32_e32 vcc, s9, v4
                                        ; implicit-def: $vgpr4
	s_and_saveexec_b64 s[34:35], vcc
	s_xor_b64 s[34:35], exec, s[34:35]
	s_cbranch_execz .LBB6_6696
; %bb.6695:                             ;   in Loop: Header=BB6_4748 Depth=3
	v_ffbh_u32_e32 v6, v5
	v_min_u32_e32 v6, 32, v6
	v_subrev_u32_e32 v32, 29, v6
	v_lshlrev_b64 v[38:39], v32, v[0:1]
	v_bfe_u32 v4, v13, 18, 5
	v_sub_u32_e32 v0, 30, v6
	v_and_b32_e32 v6, 3, v38
	v_cmp_eq_u32_e32 vcc, 0, v4
	v_cndmask_b32_e32 v0, v4, v0, vcc
	v_cndmask_b32_e32 v4, v5, v6, vcc
	v_lshlrev_b32_e32 v5, 8, v13
	v_and_b32_e32 v5, 0x80000000, v5
	v_lshl_add_u32 v0, v0, 23, v5
	v_lshl_or_b32 v0, v4, 21, v0
	v_add_u32_e32 v4, 0x38000000, v0
                                        ; implicit-def: $vgpr5
                                        ; implicit-def: $vgpr0
.LBB6_6696:                             ;   in Loop: Header=BB6_4748 Depth=3
	s_andn2_saveexec_b64 s[34:35], s[34:35]
; %bb.6697:                             ;   in Loop: Header=BB6_4748 Depth=3
	v_mov_b32_e32 v4, -1
	v_cmp_gt_i16_sdwa vcc, sext(v0), v4 src0_sel:BYTE_0 src1_sel:DWORD
	v_mov_b32_e32 v0, 0xff800000
	v_mov_b32_e32 v4, 0x7f800000
	v_cndmask_b32_e32 v0, v0, v4, vcc
	v_cmp_eq_u32_e32 vcc, 0, v5
	v_mov_b32_e32 v4, 0x7f800001
	v_cndmask_b32_e32 v4, v4, v0, vcc
; %bb.6698:                             ;   in Loop: Header=BB6_4748 Depth=3
	s_or_b64 exec, exec, s[34:35]
.LBB6_6699:                             ;   in Loop: Header=BB6_4748 Depth=3
	s_or_b64 exec, exec, s[30:31]
.LBB6_6700:                             ;   in Loop: Header=BB6_4748 Depth=3
	s_or_b64 exec, exec, s[28:29]
	v_lshrrev_b32_e32 v0, 16, v9
	v_cmp_ne_u16_sdwa vcc, v0, v34 src0_sel:BYTE_0 src1_sel:DWORD
	s_and_saveexec_b64 s[28:29], vcc
	s_cbranch_execz .LBB6_6708
; %bb.6701:                             ;   in Loop: Header=BB6_4748 Depth=3
	v_cmp_ne_u16_sdwa vcc, v0, s44 src0_sel:BYTE_0 src1_sel:DWORD
	v_bfrev_b32_e32 v3, 1
	s_and_saveexec_b64 s[30:31], vcc
	s_cbranch_execz .LBB6_6707
; %bb.6702:                             ;   in Loop: Header=BB6_4748 Depth=3
	v_and_b32_e32 v3, 0x7c0000, v9
	v_bfe_u32 v5, v9, 16, 2
	v_cmp_ne_u32_e32 vcc, s9, v3
                                        ; implicit-def: $vgpr3
	s_and_saveexec_b64 s[34:35], vcc
	s_xor_b64 s[34:35], exec, s[34:35]
	s_cbranch_execz .LBB6_6704
; %bb.6703:                             ;   in Loop: Header=BB6_4748 Depth=3
	v_ffbh_u32_e32 v6, v5
	v_min_u32_e32 v6, 32, v6
	v_subrev_u32_e32 v32, 29, v6
	v_lshlrev_b64 v[38:39], v32, v[0:1]
	v_bfe_u32 v3, v9, 18, 5
	v_sub_u32_e32 v0, 30, v6
	v_and_b32_e32 v6, 3, v38
	v_cmp_eq_u32_e32 vcc, 0, v3
	v_cndmask_b32_e32 v0, v3, v0, vcc
	v_cndmask_b32_e32 v3, v5, v6, vcc
	v_lshlrev_b32_e32 v5, 8, v9
	v_and_b32_e32 v5, 0x80000000, v5
	v_lshl_add_u32 v0, v0, 23, v5
	v_lshl_or_b32 v0, v3, 21, v0
	v_add_u32_e32 v3, 0x38000000, v0
                                        ; implicit-def: $vgpr5
                                        ; implicit-def: $vgpr0
.LBB6_6704:                             ;   in Loop: Header=BB6_4748 Depth=3
	s_andn2_saveexec_b64 s[34:35], s[34:35]
; %bb.6705:                             ;   in Loop: Header=BB6_4748 Depth=3
	v_mov_b32_e32 v3, -1
	v_cmp_gt_i16_sdwa vcc, sext(v0), v3 src0_sel:BYTE_0 src1_sel:DWORD
	v_mov_b32_e32 v0, 0xff800000
	v_mov_b32_e32 v3, 0x7f800000
	v_cndmask_b32_e32 v0, v0, v3, vcc
	v_cmp_eq_u32_e32 vcc, 0, v5
	v_mov_b32_e32 v3, 0x7f800001
	v_cndmask_b32_e32 v3, v3, v0, vcc
; %bb.6706:                             ;   in Loop: Header=BB6_4748 Depth=3
	s_or_b64 exec, exec, s[34:35]
.LBB6_6707:                             ;   in Loop: Header=BB6_4748 Depth=3
	s_or_b64 exec, exec, s[30:31]
.LBB6_6708:                             ;   in Loop: Header=BB6_4748 Depth=3
	s_or_b64 exec, exec, s[28:29]
	v_mul_f32_e32 v5, v4, v3
	v_and_b32_e32 v38, 0x7f800000, v5
	v_mov_b32_e32 v39, v34
	v_cmp_ne_u64_e32 vcc, s[76:77], v[38:39]
	v_and_b32_e32 v3, 0x7fffff, v5
	v_mov_b32_e32 v4, v34
                                        ; implicit-def: $vgpr38
	s_and_saveexec_b64 s[28:29], vcc
	s_xor_b64 s[30:31], exec, s[28:29]
	s_cbranch_execz .LBB6_6722
; %bb.6709:                             ;   in Loop: Header=BB6_4748 Depth=3
	v_and_b32_e32 v38, 0x7fffffff, v5
	v_mov_b32_e32 v39, v34
	v_cmp_gt_u64_e32 vcc, s[78:79], v[38:39]
	v_and_b32_sdwa v0, v5, s44 dst_sel:DWORD dst_unused:UNUSED_PAD src0_sel:BYTE_3 src1_sel:DWORD
                                        ; implicit-def: $vgpr38
	s_and_saveexec_b64 s[28:29], vcc
	s_xor_b64 s[34:35], exec, s[28:29]
	s_cbranch_execz .LBB6_6719
; %bb.6710:                             ;   in Loop: Header=BB6_4748 Depth=3
	v_mov_b32_e32 v38, 0
	v_cmp_ne_u32_e32 vcc, 0, v5
	s_and_saveexec_b64 s[36:37], vcc
	s_cbranch_execz .LBB6_6718
; %bb.6711:                             ;   in Loop: Header=BB6_4748 Depth=3
	v_bfe_u32 v6, v5, 23, 8
	v_cmp_gt_u32_e64 s[28:29], s45, v6
	v_sub_u32_e32 v5, 0x71, v6
	v_cmp_eq_u32_e32 vcc, 0, v6
	v_cndmask_b32_e64 v5, 0, v5, s[28:29]
	v_mov_b32_e32 v33, 0x70
	v_cndmask_b32_e32 v38, v5, v33, vcc
	v_add_u32_e32 v5, 21, v38
	v_or_b32_e32 v32, 0x800000, v3
	v_lshlrev_b64 v[50:51], v5, -1
	v_cndmask_b32_e32 v3, v32, v3, vcc
	v_add_u32_e32 v5, 20, v38
	v_bfi_b32 v50, v50, 0, v3
	v_lshlrev_b64 v[32:33], v5, 1
	v_lshrrev_b64 v[3:4], v38, v[3:4]
	v_bfi_b32 v51, v51, 0, 0
	v_cmp_eq_u64_e64 s[28:29], v[50:51], v[32:33]
	v_mov_b32_e32 v5, v4
	v_mov_b32_e32 v4, v3
	s_and_saveexec_b64 s[38:39], s[28:29]
; %bb.6712:                             ;   in Loop: Header=BB6_4748 Depth=3
	v_bfe_u32 v4, v3, 21, 1
	v_add_co_u32_e64 v4, s[28:29], v3, v4
	v_add_co_u32_e64 v4, s[28:29], -1, v4
; %bb.6713:                             ;   in Loop: Header=BB6_4748 Depth=3
	s_or_b64 exec, exec, s[38:39]
	v_add_u32_e32 v5, 0xffffff81, v6
	v_mov_b32_e32 v6, 0xffffff82
	v_cndmask_b32_e32 v5, v5, v6, vcc
	v_lshrrev_b32_e32 v6, 23, v3
	v_add3_u32 v38, v38, v5, v6
	v_add_u32_e32 v6, 14, v38
	v_and_b32_e32 v4, 0x1fffff, v4
	v_add_u32_e32 v3, v4, v3
	v_mov_b32_e32 v4, v34
	v_cmp_ne_u32_e32 vcc, 0, v6
                                        ; implicit-def: $vgpr5
	s_and_saveexec_b64 s[28:29], vcc
	s_xor_b64 s[28:29], exec, s[28:29]
; %bb.6714:                             ;   in Loop: Header=BB6_4748 Depth=3
	v_cmp_lt_u64_e32 vcc, s[88:89], v[3:4]
	v_add_u32_e32 v5, 15, v38
	v_cndmask_b32_e32 v5, v6, v5, vcc
	v_cndmask_b32_e64 v6, 0, 1, vcc
	v_lshrrev_b64 v[3:4], v6, v[3:4]
; %bb.6715:                             ;   in Loop: Header=BB6_4748 Depth=3
	s_andn2_saveexec_b64 s[28:29], s[28:29]
; %bb.6716:                             ;   in Loop: Header=BB6_4748 Depth=3
	v_bfe_u32 v5, v3, 23, 1
; %bb.6717:                             ;   in Loop: Header=BB6_4748 Depth=3
	s_or_b64 exec, exec, s[28:29]
	v_lshrrev_b64 v[3:4], 21, v[3:4]
	v_cmp_gt_i32_e32 vcc, 32, v5
	v_cndmask_b32_e32 v4, 0, v4, vcc
	v_cndmask_b32_e32 v3, 3, v3, vcc
	v_cmp_eq_u64_e64 s[28:29], 0, v[3:4]
	v_min_i32_e32 v4, 31, v5
	v_lshlrev_b32_e32 v4, 2, v4
	v_cmp_eq_u32_e32 vcc, 0, v5
	v_and_b32_e32 v4, 0xfc, v4
	v_and_or_b32 v3, v3, 3, v4
	s_and_b64 s[28:29], vcc, s[28:29]
	v_cndmask_b32_e64 v3, v3, 0, s[28:29]
	v_or_b32_e32 v38, v3, v0
.LBB6_6718:                             ;   in Loop: Header=BB6_4748 Depth=3
	s_or_b64 exec, exec, s[36:37]
                                        ; implicit-def: $vgpr0
.LBB6_6719:                             ;   in Loop: Header=BB6_4748 Depth=3
	s_andn2_saveexec_b64 s[28:29], s[34:35]
; %bb.6720:                             ;   in Loop: Header=BB6_4748 Depth=3
	v_or_b32_e32 v38, 0x7b, v0
; %bb.6721:                             ;   in Loop: Header=BB6_4748 Depth=3
	s_or_b64 exec, exec, s[28:29]
                                        ; implicit-def: $vgpr5
                                        ; implicit-def: $vgpr3_vgpr4
.LBB6_6722:                             ;   in Loop: Header=BB6_4748 Depth=3
	s_andn2_saveexec_b64 s[28:29], s[30:31]
	s_cbranch_execz .LBB6_6728
; %bb.6723:                             ;   in Loop: Header=BB6_4748 Depth=3
	v_cmp_ne_u64_e32 vcc, 0, v[3:4]
                                        ; implicit-def: $vgpr38
	s_and_saveexec_b64 s[30:31], vcc
	s_xor_b64 vcc, exec, s[30:31]
; %bb.6724:                             ;   in Loop: Header=BB6_4748 Depth=3
	v_or_b32_sdwa v38, v5, s83 dst_sel:DWORD dst_unused:UNUSED_PAD src0_sel:BYTE_3 src1_sel:DWORD
                                        ; implicit-def: $vgpr5
; %bb.6725:                             ;   in Loop: Header=BB6_4748 Depth=3
	s_andn2_saveexec_b64 s[30:31], vcc
; %bb.6726:                             ;   in Loop: Header=BB6_4748 Depth=3
	v_cmp_lt_i32_e32 vcc, -1, v5
	v_bfrev_b32_e32 v0, 0.5
	v_mov_b32_e32 v3, 0x7c
	v_cndmask_b32_e32 v38, v0, v3, vcc
; %bb.6727:                             ;   in Loop: Header=BB6_4748 Depth=3
	s_or_b64 exec, exec, s[30:31]
.LBB6_6728:                             ;   in Loop: Header=BB6_4748 Depth=3
	s_or_b64 exec, exec, s[28:29]
	v_cmp_lt_u64_e32 vcc, s[56:57], v[12:13]
	v_mov_b32_e32 v3, 0
	v_mov_b32_e32 v4, 0
	s_and_saveexec_b64 s[28:29], vcc
	s_cbranch_execz .LBB6_6736
; %bb.6729:                             ;   in Loop: Header=BB6_4748 Depth=3
	v_lshrrev_b32_e32 v0, 24, v13
	v_cmp_ne_u32_e32 vcc, s44, v0
	v_bfrev_b32_e32 v4, 1
	s_and_saveexec_b64 s[30:31], vcc
	s_cbranch_execz .LBB6_6735
; %bb.6730:                             ;   in Loop: Header=BB6_4748 Depth=3
	v_and_b32_e32 v4, 0x7c000000, v13
	v_bfe_u32 v5, v13, 24, 2
	v_cmp_ne_u32_e32 vcc, s8, v4
                                        ; implicit-def: $vgpr4
	s_and_saveexec_b64 s[34:35], vcc
	s_xor_b64 s[34:35], exec, s[34:35]
	s_cbranch_execz .LBB6_6732
; %bb.6731:                             ;   in Loop: Header=BB6_4748 Depth=3
	v_ffbh_u32_e32 v6, v5
	v_min_u32_e32 v6, 32, v6
	v_subrev_u32_e32 v32, 29, v6
	v_lshlrev_b64 v[32:33], v32, v[0:1]
	v_bfe_u32 v4, v13, 26, 5
	v_sub_u32_e32 v0, 30, v6
	v_and_b32_e32 v6, 3, v32
	v_cmp_eq_u32_e32 vcc, 0, v4
	v_cndmask_b32_e32 v0, v4, v0, vcc
	v_cndmask_b32_e32 v4, v5, v6, vcc
	v_and_b32_e32 v5, 0x80000000, v13
	v_lshl_add_u32 v0, v0, 23, v5
	v_lshl_or_b32 v0, v4, 21, v0
	v_add_u32_e32 v4, 0x38000000, v0
                                        ; implicit-def: $vgpr5
.LBB6_6732:                             ;   in Loop: Header=BB6_4748 Depth=3
	s_andn2_saveexec_b64 s[34:35], s[34:35]
; %bb.6733:                             ;   in Loop: Header=BB6_4748 Depth=3
	v_cmp_lt_i64_e32 vcc, -1, v[12:13]
	v_mov_b32_e32 v0, 0xff800000
	v_mov_b32_e32 v4, 0x7f800000
	v_cndmask_b32_e32 v0, v0, v4, vcc
	v_cmp_eq_u32_e32 vcc, 0, v5
	v_mov_b32_e32 v4, 0x7f800001
	v_cndmask_b32_e32 v4, v4, v0, vcc
; %bb.6734:                             ;   in Loop: Header=BB6_4748 Depth=3
	s_or_b64 exec, exec, s[34:35]
.LBB6_6735:                             ;   in Loop: Header=BB6_4748 Depth=3
	s_or_b64 exec, exec, s[30:31]
.LBB6_6736:                             ;   in Loop: Header=BB6_4748 Depth=3
	s_or_b64 exec, exec, s[28:29]
	v_cmp_lt_u64_e32 vcc, s[56:57], v[8:9]
	s_and_saveexec_b64 s[28:29], vcc
	s_cbranch_execz .LBB6_6744
; %bb.6737:                             ;   in Loop: Header=BB6_4748 Depth=3
	v_lshrrev_b32_e32 v0, 24, v9
	v_cmp_ne_u32_e32 vcc, s44, v0
	v_bfrev_b32_e32 v3, 1
	s_and_saveexec_b64 s[30:31], vcc
	s_cbranch_execz .LBB6_6743
; %bb.6738:                             ;   in Loop: Header=BB6_4748 Depth=3
	v_and_b32_e32 v3, 0x7c000000, v9
	v_bfe_u32 v5, v9, 24, 2
	v_cmp_ne_u32_e32 vcc, s8, v3
                                        ; implicit-def: $vgpr3
	s_and_saveexec_b64 s[34:35], vcc
	s_xor_b64 s[34:35], exec, s[34:35]
	s_cbranch_execz .LBB6_6740
; %bb.6739:                             ;   in Loop: Header=BB6_4748 Depth=3
	v_ffbh_u32_e32 v6, v5
	v_min_u32_e32 v6, 32, v6
	v_subrev_u32_e32 v12, 29, v6
	v_lshlrev_b64 v[12:13], v12, v[0:1]
	v_bfe_u32 v3, v9, 26, 5
	v_sub_u32_e32 v0, 30, v6
	v_and_b32_e32 v6, 3, v12
	v_cmp_eq_u32_e32 vcc, 0, v3
	v_cndmask_b32_e32 v0, v3, v0, vcc
	v_cndmask_b32_e32 v3, v5, v6, vcc
	v_and_b32_e32 v5, 0x80000000, v9
	v_lshl_add_u32 v0, v0, 23, v5
	v_lshl_or_b32 v0, v3, 21, v0
	v_add_u32_e32 v3, 0x38000000, v0
                                        ; implicit-def: $vgpr5
.LBB6_6740:                             ;   in Loop: Header=BB6_4748 Depth=3
	s_andn2_saveexec_b64 s[34:35], s[34:35]
; %bb.6741:                             ;   in Loop: Header=BB6_4748 Depth=3
	v_cmp_lt_i64_e32 vcc, -1, v[8:9]
	v_mov_b32_e32 v0, 0xff800000
	v_mov_b32_e32 v3, 0x7f800000
	v_cndmask_b32_e32 v0, v0, v3, vcc
	v_cmp_eq_u32_e32 vcc, 0, v5
	v_mov_b32_e32 v3, 0x7f800001
	v_cndmask_b32_e32 v3, v3, v0, vcc
; %bb.6742:                             ;   in Loop: Header=BB6_4748 Depth=3
	s_or_b64 exec, exec, s[34:35]
.LBB6_6743:                             ;   in Loop: Header=BB6_4748 Depth=3
	s_or_b64 exec, exec, s[30:31]
.LBB6_6744:                             ;   in Loop: Header=BB6_4748 Depth=3
	s_or_b64 exec, exec, s[28:29]
	v_mul_f32_e32 v5, v4, v3
	v_and_b32_e32 v8, 0x7f800000, v5
	v_mov_b32_e32 v9, v34
	v_cmp_ne_u64_e32 vcc, s[76:77], v[8:9]
	v_and_b32_e32 v3, 0x7fffff, v5
	v_mov_b32_e32 v4, v34
                                        ; implicit-def: $vgpr8
	s_and_saveexec_b64 s[28:29], vcc
	s_xor_b64 s[30:31], exec, s[28:29]
	s_cbranch_execz .LBB6_6758
; %bb.6745:                             ;   in Loop: Header=BB6_4748 Depth=3
	v_and_b32_e32 v8, 0x7fffffff, v5
	v_mov_b32_e32 v9, v34
	v_cmp_gt_u64_e32 vcc, s[78:79], v[8:9]
	v_and_b32_sdwa v0, v5, s44 dst_sel:DWORD dst_unused:UNUSED_PAD src0_sel:BYTE_3 src1_sel:DWORD
                                        ; implicit-def: $vgpr8
	s_and_saveexec_b64 s[28:29], vcc
	s_xor_b64 s[34:35], exec, s[28:29]
	s_cbranch_execz .LBB6_6755
; %bb.6746:                             ;   in Loop: Header=BB6_4748 Depth=3
	v_mov_b32_e32 v8, 0
	v_cmp_ne_u32_e32 vcc, 0, v5
	s_and_saveexec_b64 s[36:37], vcc
	s_cbranch_execz .LBB6_6754
; %bb.6747:                             ;   in Loop: Header=BB6_4748 Depth=3
	v_bfe_u32 v6, v5, 23, 8
	v_cmp_gt_u32_e64 s[28:29], s45, v6
	v_sub_u32_e32 v5, 0x71, v6
	v_cmp_eq_u32_e32 vcc, 0, v6
	v_cndmask_b32_e64 v5, 0, v5, s[28:29]
	v_mov_b32_e32 v8, 0x70
	v_cndmask_b32_e32 v8, v5, v8, vcc
	v_add_u32_e32 v5, 21, v8
	v_or_b32_e32 v9, 0x800000, v3
	v_lshlrev_b64 v[12:13], v5, -1
	v_cndmask_b32_e32 v3, v9, v3, vcc
	v_add_u32_e32 v5, 20, v8
	v_bfi_b32 v12, v12, 0, v3
	v_lshlrev_b64 v[32:33], v5, 1
	v_lshrrev_b64 v[3:4], v8, v[3:4]
	v_bfi_b32 v13, v13, 0, 0
	v_cmp_eq_u64_e64 s[28:29], v[12:13], v[32:33]
	v_mov_b32_e32 v5, v4
	v_mov_b32_e32 v4, v3
	s_and_saveexec_b64 s[38:39], s[28:29]
; %bb.6748:                             ;   in Loop: Header=BB6_4748 Depth=3
	v_bfe_u32 v4, v3, 21, 1
	v_add_co_u32_e64 v4, s[28:29], v3, v4
	v_add_co_u32_e64 v4, s[28:29], -1, v4
; %bb.6749:                             ;   in Loop: Header=BB6_4748 Depth=3
	s_or_b64 exec, exec, s[38:39]
	v_add_u32_e32 v5, 0xffffff81, v6
	v_mov_b32_e32 v6, 0xffffff82
	v_cndmask_b32_e32 v5, v5, v6, vcc
	v_lshrrev_b32_e32 v6, 23, v3
	v_add3_u32 v8, v8, v5, v6
	v_add_u32_e32 v6, 14, v8
	v_and_b32_e32 v4, 0x1fffff, v4
	v_add_u32_e32 v3, v4, v3
	v_mov_b32_e32 v4, v34
	v_cmp_ne_u32_e32 vcc, 0, v6
                                        ; implicit-def: $vgpr5
	s_and_saveexec_b64 s[28:29], vcc
	s_xor_b64 s[28:29], exec, s[28:29]
; %bb.6750:                             ;   in Loop: Header=BB6_4748 Depth=3
	v_cmp_lt_u64_e32 vcc, s[88:89], v[3:4]
	v_add_u32_e32 v5, 15, v8
	v_cndmask_b32_e32 v5, v6, v5, vcc
	v_cndmask_b32_e64 v6, 0, 1, vcc
	v_lshrrev_b64 v[3:4], v6, v[3:4]
; %bb.6751:                             ;   in Loop: Header=BB6_4748 Depth=3
	s_andn2_saveexec_b64 s[28:29], s[28:29]
; %bb.6752:                             ;   in Loop: Header=BB6_4748 Depth=3
	v_bfe_u32 v5, v3, 23, 1
; %bb.6753:                             ;   in Loop: Header=BB6_4748 Depth=3
	s_or_b64 exec, exec, s[28:29]
	v_lshrrev_b64 v[3:4], 21, v[3:4]
	v_cmp_gt_i32_e32 vcc, 32, v5
	v_cndmask_b32_e32 v4, 0, v4, vcc
	v_cndmask_b32_e32 v3, 3, v3, vcc
	v_cmp_eq_u64_e64 s[28:29], 0, v[3:4]
	v_min_i32_e32 v4, 31, v5
	v_lshlrev_b32_e32 v4, 2, v4
	v_cmp_eq_u32_e32 vcc, 0, v5
	v_and_b32_e32 v4, 0xfc, v4
	v_and_or_b32 v3, v3, 3, v4
	s_and_b64 s[28:29], vcc, s[28:29]
	v_cndmask_b32_e64 v3, v3, 0, s[28:29]
	v_or_b32_e32 v8, v3, v0
.LBB6_6754:                             ;   in Loop: Header=BB6_4748 Depth=3
	s_or_b64 exec, exec, s[36:37]
                                        ; implicit-def: $vgpr0
.LBB6_6755:                             ;   in Loop: Header=BB6_4748 Depth=3
	s_andn2_saveexec_b64 s[28:29], s[34:35]
; %bb.6756:                             ;   in Loop: Header=BB6_4748 Depth=3
	v_or_b32_e32 v8, 0x7b, v0
; %bb.6757:                             ;   in Loop: Header=BB6_4748 Depth=3
	s_or_b64 exec, exec, s[28:29]
                                        ; implicit-def: $vgpr5
                                        ; implicit-def: $vgpr3_vgpr4
.LBB6_6758:                             ;   in Loop: Header=BB6_4748 Depth=3
	s_andn2_saveexec_b64 s[28:29], s[30:31]
	s_cbranch_execz .LBB6_6764
; %bb.6759:                             ;   in Loop: Header=BB6_4748 Depth=3
	v_cmp_ne_u64_e32 vcc, 0, v[3:4]
                                        ; implicit-def: $vgpr8
	s_and_saveexec_b64 s[30:31], vcc
	s_xor_b64 vcc, exec, s[30:31]
; %bb.6760:                             ;   in Loop: Header=BB6_4748 Depth=3
	v_or_b32_sdwa v8, v5, s83 dst_sel:DWORD dst_unused:UNUSED_PAD src0_sel:BYTE_3 src1_sel:DWORD
                                        ; implicit-def: $vgpr5
; %bb.6761:                             ;   in Loop: Header=BB6_4748 Depth=3
	s_andn2_saveexec_b64 s[30:31], vcc
; %bb.6762:                             ;   in Loop: Header=BB6_4748 Depth=3
	v_cmp_lt_i32_e32 vcc, -1, v5
	v_bfrev_b32_e32 v0, 0.5
	v_mov_b32_e32 v3, 0x7c
	v_cndmask_b32_e32 v8, v0, v3, vcc
; %bb.6763:                             ;   in Loop: Header=BB6_4748 Depth=3
	s_or_b64 exec, exec, s[30:31]
.LBB6_6764:                             ;   in Loop: Header=BB6_4748 Depth=3
	s_or_b64 exec, exec, s[28:29]
	v_cmp_ne_u16_sdwa vcc, v14, v34 src0_sel:BYTE_0 src1_sel:DWORD
	v_mov_b32_e32 v0, 0
	v_mov_b32_e32 v3, 0
	s_and_saveexec_b64 s[28:29], vcc
	s_cbranch_execz .LBB6_6772
; %bb.6765:                             ;   in Loop: Header=BB6_4748 Depth=3
	v_cmp_ne_u16_sdwa vcc, sext(v14), s80 src0_sel:BYTE_0 src1_sel:DWORD
	v_bfrev_b32_e32 v3, 1
	s_and_saveexec_b64 s[30:31], vcc
	s_cbranch_execz .LBB6_6771
; %bb.6766:                             ;   in Loop: Header=BB6_4748 Depth=3
	v_and_b32_e32 v3, 0x7c, v14
	v_and_b32_e32 v4, 3, v14
	v_cmp_ne_u32_e32 vcc, s81, v3
                                        ; implicit-def: $vgpr3
	s_and_saveexec_b64 s[34:35], vcc
	s_xor_b64 s[34:35], exec, s[34:35]
	s_cbranch_execz .LBB6_6768
; %bb.6767:                             ;   in Loop: Header=BB6_4748 Depth=3
	v_ffbh_u32_e32 v5, v4
	v_min_u32_e32 v9, 32, v5
	v_subrev_u32_e32 v5, 29, v9
	v_lshlrev_b64 v[5:6], v5, v[14:15]
	v_bfe_u32 v3, v14, 2, 5
	v_and_b32_e32 v5, 3, v5
	v_cmp_eq_u32_e32 vcc, 0, v3
	v_sub_u32_e32 v6, 30, v9
	v_cndmask_b32_e32 v4, v4, v5, vcc
	v_lshlrev_b32_e32 v5, 24, v14
	v_cndmask_b32_e32 v3, v3, v6, vcc
	v_and_b32_e32 v5, 0x80000000, v5
	v_lshl_add_u32 v3, v3, 23, v5
	v_lshl_or_b32 v3, v4, 21, v3
	v_add_u32_e32 v3, 0x38000000, v3
                                        ; implicit-def: $vgpr4
.LBB6_6768:                             ;   in Loop: Header=BB6_4748 Depth=3
	s_andn2_saveexec_b64 s[34:35], s[34:35]
; %bb.6769:                             ;   in Loop: Header=BB6_4748 Depth=3
	v_mov_b32_e32 v3, -1
	v_cmp_gt_i16_sdwa vcc, sext(v14), v3 src0_sel:BYTE_0 src1_sel:DWORD
	v_mov_b32_e32 v3, 0xff800000
	v_mov_b32_e32 v5, 0x7f800000
	v_cndmask_b32_e32 v3, v3, v5, vcc
	v_cmp_eq_u32_e32 vcc, 0, v4
	v_mov_b32_e32 v4, 0x7f800001
	v_cndmask_b32_e32 v3, v4, v3, vcc
; %bb.6770:                             ;   in Loop: Header=BB6_4748 Depth=3
	s_or_b64 exec, exec, s[34:35]
.LBB6_6771:                             ;   in Loop: Header=BB6_4748 Depth=3
	s_or_b64 exec, exec, s[30:31]
.LBB6_6772:                             ;   in Loop: Header=BB6_4748 Depth=3
	s_or_b64 exec, exec, s[28:29]
	v_cmp_ne_u16_sdwa vcc, v10, v34 src0_sel:BYTE_0 src1_sel:DWORD
	s_and_saveexec_b64 s[28:29], vcc
	s_cbranch_execz .LBB6_6780
; %bb.6773:                             ;   in Loop: Header=BB6_4748 Depth=3
	v_cmp_ne_u16_sdwa vcc, sext(v10), s80 src0_sel:BYTE_0 src1_sel:DWORD
	v_bfrev_b32_e32 v0, 1
	s_and_saveexec_b64 s[30:31], vcc
	s_cbranch_execz .LBB6_6779
; %bb.6774:                             ;   in Loop: Header=BB6_4748 Depth=3
	v_and_b32_e32 v0, 0x7c, v10
	v_and_b32_e32 v4, 3, v10
	v_cmp_ne_u32_e32 vcc, s81, v0
                                        ; implicit-def: $vgpr0
	s_and_saveexec_b64 s[34:35], vcc
	s_xor_b64 s[34:35], exec, s[34:35]
	s_cbranch_execz .LBB6_6776
; %bb.6775:                             ;   in Loop: Header=BB6_4748 Depth=3
	v_ffbh_u32_e32 v5, v4
	v_min_u32_e32 v9, 32, v5
	v_subrev_u32_e32 v5, 29, v9
	v_lshlrev_b64 v[5:6], v5, v[10:11]
	v_bfe_u32 v0, v10, 2, 5
	v_and_b32_e32 v5, 3, v5
	v_cmp_eq_u32_e32 vcc, 0, v0
	v_sub_u32_e32 v6, 30, v9
	v_cndmask_b32_e32 v4, v4, v5, vcc
	v_lshlrev_b32_e32 v5, 24, v10
	v_cndmask_b32_e32 v0, v0, v6, vcc
	v_and_b32_e32 v5, 0x80000000, v5
	v_lshl_add_u32 v0, v0, 23, v5
	v_lshl_or_b32 v0, v4, 21, v0
	v_add_u32_e32 v0, 0x38000000, v0
                                        ; implicit-def: $vgpr4
.LBB6_6776:                             ;   in Loop: Header=BB6_4748 Depth=3
	s_andn2_saveexec_b64 s[34:35], s[34:35]
; %bb.6777:                             ;   in Loop: Header=BB6_4748 Depth=3
	v_mov_b32_e32 v0, -1
	v_cmp_gt_i16_sdwa vcc, sext(v10), v0 src0_sel:BYTE_0 src1_sel:DWORD
	v_mov_b32_e32 v0, 0xff800000
	v_mov_b32_e32 v5, 0x7f800000
	v_cndmask_b32_e32 v0, v0, v5, vcc
	v_cmp_eq_u32_e32 vcc, 0, v4
	v_mov_b32_e32 v4, 0x7f800001
	v_cndmask_b32_e32 v0, v4, v0, vcc
; %bb.6778:                             ;   in Loop: Header=BB6_4748 Depth=3
	s_or_b64 exec, exec, s[34:35]
.LBB6_6779:                             ;   in Loop: Header=BB6_4748 Depth=3
	s_or_b64 exec, exec, s[30:31]
.LBB6_6780:                             ;   in Loop: Header=BB6_4748 Depth=3
	s_or_b64 exec, exec, s[28:29]
	v_mul_f32_e32 v5, v3, v0
	v_and_b32_e32 v12, 0x7f800000, v5
	v_mov_b32_e32 v13, v34
	v_cmp_ne_u64_e32 vcc, s[76:77], v[12:13]
	v_and_b32_e32 v3, 0x7fffff, v5
	v_mov_b32_e32 v4, v34
                                        ; implicit-def: $vgpr9
	s_and_saveexec_b64 s[28:29], vcc
	s_xor_b64 s[30:31], exec, s[28:29]
	s_cbranch_execz .LBB6_6794
; %bb.6781:                             ;   in Loop: Header=BB6_4748 Depth=3
	v_and_b32_e32 v12, 0x7fffffff, v5
	v_mov_b32_e32 v13, v34
	v_cmp_gt_u64_e32 vcc, s[78:79], v[12:13]
	v_and_b32_sdwa v0, v5, s44 dst_sel:DWORD dst_unused:UNUSED_PAD src0_sel:BYTE_3 src1_sel:DWORD
                                        ; implicit-def: $vgpr9
	s_and_saveexec_b64 s[28:29], vcc
	s_xor_b64 s[34:35], exec, s[28:29]
	s_cbranch_execz .LBB6_6791
; %bb.6782:                             ;   in Loop: Header=BB6_4748 Depth=3
	v_mov_b32_e32 v9, 0
	v_cmp_ne_u32_e32 vcc, 0, v5
	s_and_saveexec_b64 s[36:37], vcc
	s_cbranch_execz .LBB6_6790
; %bb.6783:                             ;   in Loop: Header=BB6_4748 Depth=3
	v_bfe_u32 v6, v5, 23, 8
	v_cmp_gt_u32_e64 s[28:29], s45, v6
	v_sub_u32_e32 v5, 0x71, v6
	v_cmp_eq_u32_e32 vcc, 0, v6
	v_cndmask_b32_e64 v5, 0, v5, s[28:29]
	v_mov_b32_e32 v9, 0x70
	v_cndmask_b32_e32 v9, v5, v9, vcc
	v_or_b32_e32 v12, 0x800000, v3
	v_add_u32_e32 v5, 21, v9
	v_cndmask_b32_e32 v3, v12, v3, vcc
	v_lshlrev_b64 v[12:13], v5, -1
	v_add_u32_e32 v5, 20, v9
	v_bfi_b32 v12, v12, 0, v3
	v_lshlrev_b64 v[32:33], v5, 1
	v_lshrrev_b64 v[3:4], v9, v[3:4]
	v_bfi_b32 v13, v13, 0, 0
	v_cmp_eq_u64_e64 s[28:29], v[12:13], v[32:33]
	v_mov_b32_e32 v5, v4
	v_mov_b32_e32 v4, v3
	s_and_saveexec_b64 s[38:39], s[28:29]
; %bb.6784:                             ;   in Loop: Header=BB6_4748 Depth=3
	v_bfe_u32 v4, v3, 21, 1
	v_add_co_u32_e64 v4, s[28:29], v3, v4
	v_add_co_u32_e64 v4, s[28:29], -1, v4
; %bb.6785:                             ;   in Loop: Header=BB6_4748 Depth=3
	s_or_b64 exec, exec, s[38:39]
	v_add_u32_e32 v5, 0xffffff81, v6
	v_mov_b32_e32 v6, 0xffffff82
	v_cndmask_b32_e32 v5, v5, v6, vcc
	v_lshrrev_b32_e32 v6, 23, v3
	v_add3_u32 v9, v9, v5, v6
	v_add_u32_e32 v6, 14, v9
	v_and_b32_e32 v4, 0x1fffff, v4
	v_add_u32_e32 v3, v4, v3
	v_mov_b32_e32 v4, v34
	v_cmp_ne_u32_e32 vcc, 0, v6
                                        ; implicit-def: $vgpr5
	s_and_saveexec_b64 s[28:29], vcc
	s_xor_b64 s[28:29], exec, s[28:29]
; %bb.6786:                             ;   in Loop: Header=BB6_4748 Depth=3
	v_cmp_lt_u64_e32 vcc, s[88:89], v[3:4]
	v_add_u32_e32 v5, 15, v9
	v_cndmask_b32_e32 v5, v6, v5, vcc
	v_cndmask_b32_e64 v6, 0, 1, vcc
	v_lshrrev_b64 v[3:4], v6, v[3:4]
; %bb.6787:                             ;   in Loop: Header=BB6_4748 Depth=3
	s_andn2_saveexec_b64 s[28:29], s[28:29]
; %bb.6788:                             ;   in Loop: Header=BB6_4748 Depth=3
	v_bfe_u32 v5, v3, 23, 1
; %bb.6789:                             ;   in Loop: Header=BB6_4748 Depth=3
	s_or_b64 exec, exec, s[28:29]
	v_lshrrev_b64 v[3:4], 21, v[3:4]
	v_cmp_gt_i32_e32 vcc, 32, v5
	v_cndmask_b32_e32 v4, 0, v4, vcc
	v_cndmask_b32_e32 v3, 3, v3, vcc
	v_cmp_eq_u64_e64 s[28:29], 0, v[3:4]
	v_min_i32_e32 v4, 31, v5
	v_lshlrev_b32_e32 v4, 2, v4
	v_cmp_eq_u32_e32 vcc, 0, v5
	v_and_b32_e32 v4, 0xfc, v4
	v_and_or_b32 v3, v3, 3, v4
	s_and_b64 s[28:29], vcc, s[28:29]
	v_cndmask_b32_e64 v3, v3, 0, s[28:29]
	v_or_b32_e32 v9, v3, v0
.LBB6_6790:                             ;   in Loop: Header=BB6_4748 Depth=3
	s_or_b64 exec, exec, s[36:37]
                                        ; implicit-def: $vgpr0
.LBB6_6791:                             ;   in Loop: Header=BB6_4748 Depth=3
	s_andn2_saveexec_b64 s[28:29], s[34:35]
; %bb.6792:                             ;   in Loop: Header=BB6_4748 Depth=3
	v_or_b32_e32 v9, 0x7b, v0
; %bb.6793:                             ;   in Loop: Header=BB6_4748 Depth=3
	s_or_b64 exec, exec, s[28:29]
                                        ; implicit-def: $vgpr5
                                        ; implicit-def: $vgpr3_vgpr4
.LBB6_6794:                             ;   in Loop: Header=BB6_4748 Depth=3
	s_andn2_saveexec_b64 s[28:29], s[30:31]
	s_cbranch_execz .LBB6_6800
; %bb.6795:                             ;   in Loop: Header=BB6_4748 Depth=3
	v_cmp_ne_u64_e32 vcc, 0, v[3:4]
                                        ; implicit-def: $vgpr9
	s_and_saveexec_b64 s[30:31], vcc
	s_xor_b64 vcc, exec, s[30:31]
; %bb.6796:                             ;   in Loop: Header=BB6_4748 Depth=3
	v_or_b32_sdwa v9, v5, s83 dst_sel:DWORD dst_unused:UNUSED_PAD src0_sel:BYTE_3 src1_sel:DWORD
                                        ; implicit-def: $vgpr5
; %bb.6797:                             ;   in Loop: Header=BB6_4748 Depth=3
	s_andn2_saveexec_b64 s[30:31], vcc
; %bb.6798:                             ;   in Loop: Header=BB6_4748 Depth=3
	v_cmp_lt_i32_e32 vcc, -1, v5
	v_bfrev_b32_e32 v0, 0.5
	v_mov_b32_e32 v3, 0x7c
	v_cndmask_b32_e32 v9, v0, v3, vcc
; %bb.6799:                             ;   in Loop: Header=BB6_4748 Depth=3
	s_or_b64 exec, exec, s[30:31]
.LBB6_6800:                             ;   in Loop: Header=BB6_4748 Depth=3
	s_or_b64 exec, exec, s[28:29]
	v_lshrrev_b16_e32 v3, 8, v14
	v_cmp_ne_u16_e32 vcc, 0, v3
	v_mov_b32_e32 v0, 0
	v_mov_b32_e32 v5, 0
	s_and_saveexec_b64 s[28:29], vcc
	s_cbranch_execz .LBB6_6808
; %bb.6801:                             ;   in Loop: Header=BB6_4748 Depth=3
	v_cmp_ne_u16_e32 vcc, s44, v3
	v_bfrev_b32_e32 v5, 1
	s_and_saveexec_b64 s[30:31], vcc
	s_cbranch_execz .LBB6_6807
; %bb.6802:                             ;   in Loop: Header=BB6_4748 Depth=3
	v_and_b32_e32 v4, 0x7c, v3
	v_and_b32_e32 v6, 3, v3
	v_cmp_ne_u32_e32 vcc, s81, v4
                                        ; implicit-def: $vgpr5
	s_and_saveexec_b64 s[34:35], vcc
	s_xor_b64 s[34:35], exec, s[34:35]
	s_cbranch_execz .LBB6_6804
; %bb.6803:                             ;   in Loop: Header=BB6_4748 Depth=3
	v_ffbh_u32_e32 v12, v6
	v_min_u32_e32 v12, 32, v12
	v_mov_b32_e32 v4, v34
	v_subrev_u32_e32 v13, 29, v12
	v_bfe_u32 v5, v3, 2, 5
	v_lshlrev_b64 v[3:4], v13, v[3:4]
	v_sub_u32_e32 v4, 30, v12
	v_cmp_eq_u32_e32 vcc, 0, v5
	v_cndmask_b32_e32 v4, v5, v4, vcc
	v_lshlrev_b32_e32 v5, 16, v14
	v_and_b32_e32 v3, 3, v3
	v_and_b32_e32 v5, 0x80000000, v5
	v_cndmask_b32_e32 v3, v6, v3, vcc
	v_lshl_add_u32 v4, v4, 23, v5
	v_lshl_or_b32 v3, v3, 21, v4
	v_add_u32_e32 v5, 0x38000000, v3
                                        ; implicit-def: $vgpr6
.LBB6_6804:                             ;   in Loop: Header=BB6_4748 Depth=3
	s_andn2_saveexec_b64 s[34:35], s[34:35]
; %bb.6805:                             ;   in Loop: Header=BB6_4748 Depth=3
	v_cmp_lt_i16_e32 vcc, -1, v14
	v_mov_b32_e32 v3, 0xff800000
	v_mov_b32_e32 v4, 0x7f800000
	v_cndmask_b32_e32 v3, v3, v4, vcc
	v_cmp_eq_u32_e32 vcc, 0, v6
	v_mov_b32_e32 v4, 0x7f800001
	v_cndmask_b32_e32 v5, v4, v3, vcc
; %bb.6806:                             ;   in Loop: Header=BB6_4748 Depth=3
	s_or_b64 exec, exec, s[34:35]
.LBB6_6807:                             ;   in Loop: Header=BB6_4748 Depth=3
	s_or_b64 exec, exec, s[30:31]
.LBB6_6808:                             ;   in Loop: Header=BB6_4748 Depth=3
	s_or_b64 exec, exec, s[28:29]
	v_lshrrev_b16_e32 v3, 8, v10
	v_cmp_ne_u16_e32 vcc, 0, v3
	s_and_saveexec_b64 s[28:29], vcc
	s_cbranch_execz .LBB6_6816
; %bb.6809:                             ;   in Loop: Header=BB6_4748 Depth=3
	v_cmp_ne_u16_e32 vcc, s44, v3
	v_bfrev_b32_e32 v0, 1
	s_and_saveexec_b64 s[30:31], vcc
	s_cbranch_execz .LBB6_6815
; %bb.6810:                             ;   in Loop: Header=BB6_4748 Depth=3
	v_and_b32_e32 v0, 0x7c, v3
	v_and_b32_e32 v6, 3, v3
	v_cmp_ne_u32_e32 vcc, s81, v0
                                        ; implicit-def: $vgpr0
	s_and_saveexec_b64 s[34:35], vcc
	s_xor_b64 s[34:35], exec, s[34:35]
	s_cbranch_execz .LBB6_6812
; %bb.6811:                             ;   in Loop: Header=BB6_4748 Depth=3
	v_ffbh_u32_e32 v12, v6
	v_min_u32_e32 v12, 32, v12
	v_mov_b32_e32 v4, v34
	v_subrev_u32_e32 v13, 29, v12
	v_bfe_u32 v0, v3, 2, 5
	v_lshlrev_b64 v[3:4], v13, v[3:4]
	v_sub_u32_e32 v4, 30, v12
	v_cmp_eq_u32_e32 vcc, 0, v0
	v_cndmask_b32_e32 v0, v0, v4, vcc
	v_lshlrev_b32_e32 v4, 16, v10
	v_and_b32_e32 v3, 3, v3
	v_and_b32_e32 v4, 0x80000000, v4
	v_cndmask_b32_e32 v3, v6, v3, vcc
	v_lshl_add_u32 v0, v0, 23, v4
	v_lshl_or_b32 v0, v3, 21, v0
	v_add_u32_e32 v0, 0x38000000, v0
                                        ; implicit-def: $vgpr6
.LBB6_6812:                             ;   in Loop: Header=BB6_4748 Depth=3
	s_andn2_saveexec_b64 s[34:35], s[34:35]
; %bb.6813:                             ;   in Loop: Header=BB6_4748 Depth=3
	v_cmp_lt_i16_e32 vcc, -1, v10
	v_mov_b32_e32 v0, 0xff800000
	v_mov_b32_e32 v3, 0x7f800000
	v_cndmask_b32_e32 v0, v0, v3, vcc
	v_cmp_eq_u32_e32 vcc, 0, v6
	v_mov_b32_e32 v3, 0x7f800001
	v_cndmask_b32_e32 v0, v3, v0, vcc
; %bb.6814:                             ;   in Loop: Header=BB6_4748 Depth=3
	s_or_b64 exec, exec, s[34:35]
.LBB6_6815:                             ;   in Loop: Header=BB6_4748 Depth=3
	s_or_b64 exec, exec, s[30:31]
.LBB6_6816:                             ;   in Loop: Header=BB6_4748 Depth=3
	s_or_b64 exec, exec, s[28:29]
	v_mul_f32_e32 v5, v5, v0
	v_and_b32_e32 v12, 0x7f800000, v5
	v_mov_b32_e32 v13, v34
	v_cmp_ne_u64_e32 vcc, s[76:77], v[12:13]
	v_and_b32_e32 v3, 0x7fffff, v5
	v_mov_b32_e32 v4, v34
                                        ; implicit-def: $vgpr12
	s_and_saveexec_b64 s[28:29], vcc
	s_xor_b64 s[30:31], exec, s[28:29]
	s_cbranch_execz .LBB6_6830
; %bb.6817:                             ;   in Loop: Header=BB6_4748 Depth=3
	v_and_b32_e32 v12, 0x7fffffff, v5
	v_mov_b32_e32 v13, v34
	v_cmp_gt_u64_e32 vcc, s[78:79], v[12:13]
	v_and_b32_sdwa v0, v5, s44 dst_sel:DWORD dst_unused:UNUSED_PAD src0_sel:BYTE_3 src1_sel:DWORD
                                        ; implicit-def: $vgpr12
	s_and_saveexec_b64 s[28:29], vcc
	s_xor_b64 s[34:35], exec, s[28:29]
	s_cbranch_execz .LBB6_6827
; %bb.6818:                             ;   in Loop: Header=BB6_4748 Depth=3
	v_mov_b32_e32 v12, 0
	v_cmp_ne_u32_e32 vcc, 0, v5
	s_and_saveexec_b64 s[36:37], vcc
	s_cbranch_execz .LBB6_6826
; %bb.6819:                             ;   in Loop: Header=BB6_4748 Depth=3
	v_bfe_u32 v6, v5, 23, 8
	v_cmp_gt_u32_e64 s[28:29], s45, v6
	v_sub_u32_e32 v5, 0x71, v6
	v_cmp_eq_u32_e32 vcc, 0, v6
	v_cndmask_b32_e64 v5, 0, v5, s[28:29]
	v_mov_b32_e32 v12, 0x70
	v_cndmask_b32_e32 v12, v5, v12, vcc
	v_add_u32_e32 v5, 21, v12
	v_or_b32_e32 v13, 0x800000, v3
	v_lshlrev_b64 v[32:33], v5, -1
	v_cndmask_b32_e32 v3, v13, v3, vcc
	v_add_u32_e32 v5, 20, v12
	v_bfi_b32 v32, v32, 0, v3
	v_lshlrev_b64 v[50:51], v5, 1
	v_lshrrev_b64 v[3:4], v12, v[3:4]
	v_bfi_b32 v33, v33, 0, 0
	v_cmp_eq_u64_e64 s[28:29], v[32:33], v[50:51]
	v_mov_b32_e32 v5, v4
	v_mov_b32_e32 v4, v3
	s_and_saveexec_b64 s[38:39], s[28:29]
; %bb.6820:                             ;   in Loop: Header=BB6_4748 Depth=3
	v_bfe_u32 v4, v3, 21, 1
	v_add_co_u32_e64 v4, s[28:29], v3, v4
	v_add_co_u32_e64 v4, s[28:29], -1, v4
; %bb.6821:                             ;   in Loop: Header=BB6_4748 Depth=3
	s_or_b64 exec, exec, s[38:39]
	v_add_u32_e32 v5, 0xffffff81, v6
	v_mov_b32_e32 v6, 0xffffff82
	v_cndmask_b32_e32 v5, v5, v6, vcc
	v_lshrrev_b32_e32 v6, 23, v3
	v_add3_u32 v12, v12, v5, v6
	v_add_u32_e32 v6, 14, v12
	v_and_b32_e32 v4, 0x1fffff, v4
	v_add_u32_e32 v3, v4, v3
	v_mov_b32_e32 v4, v34
	v_cmp_ne_u32_e32 vcc, 0, v6
                                        ; implicit-def: $vgpr5
	s_and_saveexec_b64 s[28:29], vcc
	s_xor_b64 s[28:29], exec, s[28:29]
; %bb.6822:                             ;   in Loop: Header=BB6_4748 Depth=3
	v_cmp_lt_u64_e32 vcc, s[88:89], v[3:4]
	v_add_u32_e32 v5, 15, v12
	v_cndmask_b32_e32 v5, v6, v5, vcc
	v_cndmask_b32_e64 v6, 0, 1, vcc
	v_lshrrev_b64 v[3:4], v6, v[3:4]
; %bb.6823:                             ;   in Loop: Header=BB6_4748 Depth=3
	s_andn2_saveexec_b64 s[28:29], s[28:29]
; %bb.6824:                             ;   in Loop: Header=BB6_4748 Depth=3
	v_bfe_u32 v5, v3, 23, 1
; %bb.6825:                             ;   in Loop: Header=BB6_4748 Depth=3
	s_or_b64 exec, exec, s[28:29]
	v_lshrrev_b64 v[3:4], 21, v[3:4]
	v_cmp_gt_i32_e32 vcc, 32, v5
	v_cndmask_b32_e32 v4, 0, v4, vcc
	v_cndmask_b32_e32 v3, 3, v3, vcc
	v_cmp_eq_u64_e64 s[28:29], 0, v[3:4]
	v_min_i32_e32 v4, 31, v5
	v_lshlrev_b32_e32 v4, 2, v4
	v_cmp_eq_u32_e32 vcc, 0, v5
	v_and_b32_e32 v4, 0xfc, v4
	v_and_or_b32 v3, v3, 3, v4
	s_and_b64 s[28:29], vcc, s[28:29]
	v_cndmask_b32_e64 v3, v3, 0, s[28:29]
	v_or_b32_e32 v12, v3, v0
.LBB6_6826:                             ;   in Loop: Header=BB6_4748 Depth=3
	s_or_b64 exec, exec, s[36:37]
                                        ; implicit-def: $vgpr0
.LBB6_6827:                             ;   in Loop: Header=BB6_4748 Depth=3
	s_andn2_saveexec_b64 s[28:29], s[34:35]
; %bb.6828:                             ;   in Loop: Header=BB6_4748 Depth=3
	v_or_b32_e32 v12, 0x7b, v0
; %bb.6829:                             ;   in Loop: Header=BB6_4748 Depth=3
	s_or_b64 exec, exec, s[28:29]
                                        ; implicit-def: $vgpr5
                                        ; implicit-def: $vgpr3_vgpr4
.LBB6_6830:                             ;   in Loop: Header=BB6_4748 Depth=3
	s_andn2_saveexec_b64 s[28:29], s[30:31]
	s_cbranch_execz .LBB6_6836
; %bb.6831:                             ;   in Loop: Header=BB6_4748 Depth=3
	v_cmp_ne_u64_e32 vcc, 0, v[3:4]
                                        ; implicit-def: $vgpr12
	s_and_saveexec_b64 s[30:31], vcc
	s_xor_b64 vcc, exec, s[30:31]
; %bb.6832:                             ;   in Loop: Header=BB6_4748 Depth=3
	v_or_b32_sdwa v12, v5, s83 dst_sel:DWORD dst_unused:UNUSED_PAD src0_sel:BYTE_3 src1_sel:DWORD
                                        ; implicit-def: $vgpr5
; %bb.6833:                             ;   in Loop: Header=BB6_4748 Depth=3
	s_andn2_saveexec_b64 s[30:31], vcc
; %bb.6834:                             ;   in Loop: Header=BB6_4748 Depth=3
	v_cmp_lt_i32_e32 vcc, -1, v5
	v_bfrev_b32_e32 v0, 0.5
	v_mov_b32_e32 v3, 0x7c
	v_cndmask_b32_e32 v12, v0, v3, vcc
; %bb.6835:                             ;   in Loop: Header=BB6_4748 Depth=3
	s_or_b64 exec, exec, s[30:31]
.LBB6_6836:                             ;   in Loop: Header=BB6_4748 Depth=3
	s_or_b64 exec, exec, s[28:29]
	v_lshrrev_b32_e32 v0, 16, v14
	v_cmp_ne_u16_sdwa vcc, v0, v34 src0_sel:BYTE_0 src1_sel:DWORD
	v_mov_b32_e32 v3, 0
	v_mov_b32_e32 v4, 0
	s_and_saveexec_b64 s[28:29], vcc
	s_cbranch_execz .LBB6_6844
; %bb.6837:                             ;   in Loop: Header=BB6_4748 Depth=3
	v_cmp_ne_u16_sdwa vcc, v0, s44 src0_sel:BYTE_0 src1_sel:DWORD
	v_bfrev_b32_e32 v4, 1
	s_and_saveexec_b64 s[30:31], vcc
	s_cbranch_execz .LBB6_6843
; %bb.6838:                             ;   in Loop: Header=BB6_4748 Depth=3
	v_and_b32_e32 v4, 0x7c0000, v14
	v_bfe_u32 v5, v14, 16, 2
	v_cmp_ne_u32_e32 vcc, s9, v4
                                        ; implicit-def: $vgpr4
	s_and_saveexec_b64 s[34:35], vcc
	s_xor_b64 s[34:35], exec, s[34:35]
	s_cbranch_execz .LBB6_6840
; %bb.6839:                             ;   in Loop: Header=BB6_4748 Depth=3
	v_ffbh_u32_e32 v6, v5
	v_min_u32_e32 v6, 32, v6
	v_subrev_u32_e32 v13, 29, v6
	v_lshlrev_b64 v[32:33], v13, v[0:1]
	v_bfe_u32 v4, v14, 18, 5
	v_sub_u32_e32 v0, 30, v6
	v_and_b32_e32 v6, 3, v32
	v_cmp_eq_u32_e32 vcc, 0, v4
	v_cndmask_b32_e32 v0, v4, v0, vcc
	v_cndmask_b32_e32 v4, v5, v6, vcc
	v_lshlrev_b32_e32 v5, 8, v14
	v_and_b32_e32 v5, 0x80000000, v5
	v_lshl_add_u32 v0, v0, 23, v5
	v_lshl_or_b32 v0, v4, 21, v0
	v_add_u32_e32 v4, 0x38000000, v0
                                        ; implicit-def: $vgpr5
                                        ; implicit-def: $vgpr0
.LBB6_6840:                             ;   in Loop: Header=BB6_4748 Depth=3
	s_andn2_saveexec_b64 s[34:35], s[34:35]
; %bb.6841:                             ;   in Loop: Header=BB6_4748 Depth=3
	v_mov_b32_e32 v4, -1
	v_cmp_gt_i16_sdwa vcc, sext(v0), v4 src0_sel:BYTE_0 src1_sel:DWORD
	v_mov_b32_e32 v0, 0xff800000
	v_mov_b32_e32 v4, 0x7f800000
	v_cndmask_b32_e32 v0, v0, v4, vcc
	v_cmp_eq_u32_e32 vcc, 0, v5
	v_mov_b32_e32 v4, 0x7f800001
	v_cndmask_b32_e32 v4, v4, v0, vcc
; %bb.6842:                             ;   in Loop: Header=BB6_4748 Depth=3
	s_or_b64 exec, exec, s[34:35]
.LBB6_6843:                             ;   in Loop: Header=BB6_4748 Depth=3
	s_or_b64 exec, exec, s[30:31]
.LBB6_6844:                             ;   in Loop: Header=BB6_4748 Depth=3
	s_or_b64 exec, exec, s[28:29]
	v_lshrrev_b32_e32 v0, 16, v10
	v_cmp_ne_u16_sdwa vcc, v0, v34 src0_sel:BYTE_0 src1_sel:DWORD
	s_and_saveexec_b64 s[28:29], vcc
	s_cbranch_execz .LBB6_6852
; %bb.6845:                             ;   in Loop: Header=BB6_4748 Depth=3
	v_cmp_ne_u16_sdwa vcc, v0, s44 src0_sel:BYTE_0 src1_sel:DWORD
	v_bfrev_b32_e32 v3, 1
	s_and_saveexec_b64 s[30:31], vcc
	s_cbranch_execz .LBB6_6851
; %bb.6846:                             ;   in Loop: Header=BB6_4748 Depth=3
	v_and_b32_e32 v3, 0x7c0000, v10
	v_bfe_u32 v5, v10, 16, 2
	v_cmp_ne_u32_e32 vcc, s9, v3
                                        ; implicit-def: $vgpr3
	s_and_saveexec_b64 s[34:35], vcc
	s_xor_b64 s[34:35], exec, s[34:35]
	s_cbranch_execz .LBB6_6848
; %bb.6847:                             ;   in Loop: Header=BB6_4748 Depth=3
	v_ffbh_u32_e32 v6, v5
	v_min_u32_e32 v6, 32, v6
	v_subrev_u32_e32 v13, 29, v6
	v_lshlrev_b64 v[32:33], v13, v[0:1]
	v_bfe_u32 v3, v10, 18, 5
	v_sub_u32_e32 v0, 30, v6
	v_and_b32_e32 v6, 3, v32
	v_cmp_eq_u32_e32 vcc, 0, v3
	v_cndmask_b32_e32 v0, v3, v0, vcc
	v_cndmask_b32_e32 v3, v5, v6, vcc
	v_lshlrev_b32_e32 v5, 8, v10
	v_and_b32_e32 v5, 0x80000000, v5
	v_lshl_add_u32 v0, v0, 23, v5
	v_lshl_or_b32 v0, v3, 21, v0
	v_add_u32_e32 v3, 0x38000000, v0
                                        ; implicit-def: $vgpr5
                                        ; implicit-def: $vgpr0
.LBB6_6848:                             ;   in Loop: Header=BB6_4748 Depth=3
	s_andn2_saveexec_b64 s[34:35], s[34:35]
; %bb.6849:                             ;   in Loop: Header=BB6_4748 Depth=3
	v_mov_b32_e32 v3, -1
	v_cmp_gt_i16_sdwa vcc, sext(v0), v3 src0_sel:BYTE_0 src1_sel:DWORD
	v_mov_b32_e32 v0, 0xff800000
	v_mov_b32_e32 v3, 0x7f800000
	v_cndmask_b32_e32 v0, v0, v3, vcc
	v_cmp_eq_u32_e32 vcc, 0, v5
	v_mov_b32_e32 v3, 0x7f800001
	v_cndmask_b32_e32 v3, v3, v0, vcc
; %bb.6850:                             ;   in Loop: Header=BB6_4748 Depth=3
	s_or_b64 exec, exec, s[34:35]
.LBB6_6851:                             ;   in Loop: Header=BB6_4748 Depth=3
	s_or_b64 exec, exec, s[30:31]
.LBB6_6852:                             ;   in Loop: Header=BB6_4748 Depth=3
	s_or_b64 exec, exec, s[28:29]
	v_mul_f32_e32 v5, v4, v3
	v_and_b32_e32 v32, 0x7f800000, v5
	v_mov_b32_e32 v33, v34
	v_cmp_ne_u64_e32 vcc, s[76:77], v[32:33]
	v_and_b32_e32 v3, 0x7fffff, v5
	v_mov_b32_e32 v4, v34
                                        ; implicit-def: $vgpr13
	s_and_saveexec_b64 s[28:29], vcc
	s_xor_b64 s[30:31], exec, s[28:29]
	s_cbranch_execz .LBB6_6866
; %bb.6853:                             ;   in Loop: Header=BB6_4748 Depth=3
	v_and_b32_e32 v32, 0x7fffffff, v5
	v_mov_b32_e32 v33, v34
	v_cmp_gt_u64_e32 vcc, s[78:79], v[32:33]
	v_and_b32_sdwa v0, v5, s44 dst_sel:DWORD dst_unused:UNUSED_PAD src0_sel:BYTE_3 src1_sel:DWORD
                                        ; implicit-def: $vgpr13
	s_and_saveexec_b64 s[28:29], vcc
	s_xor_b64 s[34:35], exec, s[28:29]
	s_cbranch_execz .LBB6_6863
; %bb.6854:                             ;   in Loop: Header=BB6_4748 Depth=3
	v_mov_b32_e32 v13, 0
	v_cmp_ne_u32_e32 vcc, 0, v5
	s_and_saveexec_b64 s[36:37], vcc
	s_cbranch_execz .LBB6_6862
; %bb.6855:                             ;   in Loop: Header=BB6_4748 Depth=3
	v_bfe_u32 v6, v5, 23, 8
	v_cmp_gt_u32_e64 s[28:29], s45, v6
	v_sub_u32_e32 v5, 0x71, v6
	v_cmp_eq_u32_e32 vcc, 0, v6
	v_cndmask_b32_e64 v5, 0, v5, s[28:29]
	v_mov_b32_e32 v13, 0x70
	v_cndmask_b32_e32 v13, v5, v13, vcc
	v_or_b32_e32 v32, 0x800000, v3
	v_add_u32_e32 v5, 21, v13
	v_cndmask_b32_e32 v3, v32, v3, vcc
	v_lshlrev_b64 v[32:33], v5, -1
	v_add_u32_e32 v5, 20, v13
	v_bfi_b32 v32, v32, 0, v3
	v_lshlrev_b64 v[50:51], v5, 1
	v_lshrrev_b64 v[3:4], v13, v[3:4]
	v_bfi_b32 v33, v33, 0, 0
	v_cmp_eq_u64_e64 s[28:29], v[32:33], v[50:51]
	v_mov_b32_e32 v5, v4
	v_mov_b32_e32 v4, v3
	s_and_saveexec_b64 s[38:39], s[28:29]
; %bb.6856:                             ;   in Loop: Header=BB6_4748 Depth=3
	v_bfe_u32 v4, v3, 21, 1
	v_add_co_u32_e64 v4, s[28:29], v3, v4
	v_add_co_u32_e64 v4, s[28:29], -1, v4
; %bb.6857:                             ;   in Loop: Header=BB6_4748 Depth=3
	s_or_b64 exec, exec, s[38:39]
	v_add_u32_e32 v5, 0xffffff81, v6
	v_mov_b32_e32 v6, 0xffffff82
	v_cndmask_b32_e32 v5, v5, v6, vcc
	v_lshrrev_b32_e32 v6, 23, v3
	v_add3_u32 v13, v13, v5, v6
	v_add_u32_e32 v6, 14, v13
	v_and_b32_e32 v4, 0x1fffff, v4
	v_add_u32_e32 v3, v4, v3
	v_mov_b32_e32 v4, v34
	v_cmp_ne_u32_e32 vcc, 0, v6
                                        ; implicit-def: $vgpr5
	s_and_saveexec_b64 s[28:29], vcc
	s_xor_b64 s[28:29], exec, s[28:29]
; %bb.6858:                             ;   in Loop: Header=BB6_4748 Depth=3
	v_cmp_lt_u64_e32 vcc, s[88:89], v[3:4]
	v_add_u32_e32 v5, 15, v13
	v_cndmask_b32_e32 v5, v6, v5, vcc
	v_cndmask_b32_e64 v6, 0, 1, vcc
	v_lshrrev_b64 v[3:4], v6, v[3:4]
; %bb.6859:                             ;   in Loop: Header=BB6_4748 Depth=3
	s_andn2_saveexec_b64 s[28:29], s[28:29]
; %bb.6860:                             ;   in Loop: Header=BB6_4748 Depth=3
	v_bfe_u32 v5, v3, 23, 1
; %bb.6861:                             ;   in Loop: Header=BB6_4748 Depth=3
	s_or_b64 exec, exec, s[28:29]
	v_lshrrev_b64 v[3:4], 21, v[3:4]
	v_cmp_gt_i32_e32 vcc, 32, v5
	v_cndmask_b32_e32 v4, 0, v4, vcc
	v_cndmask_b32_e32 v3, 3, v3, vcc
	v_cmp_eq_u64_e64 s[28:29], 0, v[3:4]
	v_min_i32_e32 v4, 31, v5
	v_lshlrev_b32_e32 v4, 2, v4
	v_cmp_eq_u32_e32 vcc, 0, v5
	v_and_b32_e32 v4, 0xfc, v4
	v_and_or_b32 v3, v3, 3, v4
	s_and_b64 s[28:29], vcc, s[28:29]
	v_cndmask_b32_e64 v3, v3, 0, s[28:29]
	v_or_b32_e32 v13, v3, v0
.LBB6_6862:                             ;   in Loop: Header=BB6_4748 Depth=3
	s_or_b64 exec, exec, s[36:37]
                                        ; implicit-def: $vgpr0
.LBB6_6863:                             ;   in Loop: Header=BB6_4748 Depth=3
	s_andn2_saveexec_b64 s[28:29], s[34:35]
; %bb.6864:                             ;   in Loop: Header=BB6_4748 Depth=3
	v_or_b32_e32 v13, 0x7b, v0
; %bb.6865:                             ;   in Loop: Header=BB6_4748 Depth=3
	s_or_b64 exec, exec, s[28:29]
                                        ; implicit-def: $vgpr5
                                        ; implicit-def: $vgpr3_vgpr4
.LBB6_6866:                             ;   in Loop: Header=BB6_4748 Depth=3
	s_andn2_saveexec_b64 s[28:29], s[30:31]
	s_cbranch_execz .LBB6_6872
; %bb.6867:                             ;   in Loop: Header=BB6_4748 Depth=3
	v_cmp_ne_u64_e32 vcc, 0, v[3:4]
                                        ; implicit-def: $vgpr13
	s_and_saveexec_b64 s[30:31], vcc
	s_xor_b64 vcc, exec, s[30:31]
; %bb.6868:                             ;   in Loop: Header=BB6_4748 Depth=3
	v_or_b32_sdwa v13, v5, s83 dst_sel:DWORD dst_unused:UNUSED_PAD src0_sel:BYTE_3 src1_sel:DWORD
                                        ; implicit-def: $vgpr5
; %bb.6869:                             ;   in Loop: Header=BB6_4748 Depth=3
	s_andn2_saveexec_b64 s[30:31], vcc
; %bb.6870:                             ;   in Loop: Header=BB6_4748 Depth=3
	v_cmp_lt_i32_e32 vcc, -1, v5
	v_bfrev_b32_e32 v0, 0.5
	v_mov_b32_e32 v3, 0x7c
	v_cndmask_b32_e32 v13, v0, v3, vcc
; %bb.6871:                             ;   in Loop: Header=BB6_4748 Depth=3
	s_or_b64 exec, exec, s[30:31]
.LBB6_6872:                             ;   in Loop: Header=BB6_4748 Depth=3
	s_or_b64 exec, exec, s[28:29]
	v_cmp_lt_u32_e32 vcc, s57, v14
	v_mov_b32_e32 v3, 0
	v_mov_b32_e32 v4, 0
	s_and_saveexec_b64 s[28:29], vcc
	s_cbranch_execz .LBB6_6880
; %bb.6873:                             ;   in Loop: Header=BB6_4748 Depth=3
	v_lshrrev_b32_e32 v0, 24, v14
	v_cmp_ne_u32_e32 vcc, s44, v0
	v_bfrev_b32_e32 v4, 1
	s_and_saveexec_b64 s[30:31], vcc
	s_cbranch_execz .LBB6_6879
; %bb.6874:                             ;   in Loop: Header=BB6_4748 Depth=3
	v_and_b32_e32 v4, 0x7c000000, v14
	v_bfe_u32 v5, v14, 24, 2
	v_cmp_ne_u32_e32 vcc, s8, v4
                                        ; implicit-def: $vgpr4
	s_and_saveexec_b64 s[34:35], vcc
	s_xor_b64 s[34:35], exec, s[34:35]
	s_cbranch_execz .LBB6_6876
; %bb.6875:                             ;   in Loop: Header=BB6_4748 Depth=3
	v_ffbh_u32_e32 v6, v5
	v_min_u32_e32 v6, 32, v6
	v_subrev_u32_e32 v32, 29, v6
	v_lshlrev_b64 v[32:33], v32, v[0:1]
	v_bfe_u32 v4, v14, 26, 5
	v_sub_u32_e32 v0, 30, v6
	v_and_b32_e32 v6, 3, v32
	v_cmp_eq_u32_e32 vcc, 0, v4
	v_cndmask_b32_e32 v0, v4, v0, vcc
	v_cndmask_b32_e32 v4, v5, v6, vcc
	v_and_b32_e32 v5, 0x80000000, v14
	v_lshl_add_u32 v0, v0, 23, v5
	v_lshl_or_b32 v0, v4, 21, v0
	v_add_u32_e32 v4, 0x38000000, v0
                                        ; implicit-def: $vgpr5
.LBB6_6876:                             ;   in Loop: Header=BB6_4748 Depth=3
	s_andn2_saveexec_b64 s[34:35], s[34:35]
; %bb.6877:                             ;   in Loop: Header=BB6_4748 Depth=3
	v_cmp_lt_i32_e32 vcc, -1, v14
	v_mov_b32_e32 v0, 0xff800000
	v_mov_b32_e32 v4, 0x7f800000
	v_cndmask_b32_e32 v0, v0, v4, vcc
	v_cmp_eq_u32_e32 vcc, 0, v5
	v_mov_b32_e32 v4, 0x7f800001
	v_cndmask_b32_e32 v4, v4, v0, vcc
; %bb.6878:                             ;   in Loop: Header=BB6_4748 Depth=3
	s_or_b64 exec, exec, s[34:35]
.LBB6_6879:                             ;   in Loop: Header=BB6_4748 Depth=3
	s_or_b64 exec, exec, s[30:31]
.LBB6_6880:                             ;   in Loop: Header=BB6_4748 Depth=3
	s_or_b64 exec, exec, s[28:29]
	v_cmp_lt_u32_e32 vcc, s57, v10
	s_and_saveexec_b64 s[28:29], vcc
	s_cbranch_execz .LBB6_6888
; %bb.6881:                             ;   in Loop: Header=BB6_4748 Depth=3
	v_lshrrev_b32_e32 v0, 24, v10
	v_cmp_ne_u32_e32 vcc, s44, v0
	v_bfrev_b32_e32 v3, 1
	s_and_saveexec_b64 s[30:31], vcc
	s_cbranch_execz .LBB6_6887
; %bb.6882:                             ;   in Loop: Header=BB6_4748 Depth=3
	v_and_b32_e32 v3, 0x7c000000, v10
	v_bfe_u32 v5, v10, 24, 2
	v_cmp_ne_u32_e32 vcc, s8, v3
                                        ; implicit-def: $vgpr3
	s_and_saveexec_b64 s[34:35], vcc
	s_xor_b64 s[34:35], exec, s[34:35]
	s_cbranch_execz .LBB6_6884
; %bb.6883:                             ;   in Loop: Header=BB6_4748 Depth=3
	v_ffbh_u32_e32 v6, v5
	v_min_u32_e32 v6, 32, v6
	v_subrev_u32_e32 v32, 29, v6
	v_lshlrev_b64 v[32:33], v32, v[0:1]
	v_bfe_u32 v3, v10, 26, 5
	v_sub_u32_e32 v0, 30, v6
	v_and_b32_e32 v6, 3, v32
	v_cmp_eq_u32_e32 vcc, 0, v3
	v_cndmask_b32_e32 v0, v3, v0, vcc
	v_cndmask_b32_e32 v3, v5, v6, vcc
	v_and_b32_e32 v5, 0x80000000, v10
	v_lshl_add_u32 v0, v0, 23, v5
	v_lshl_or_b32 v0, v3, 21, v0
	v_add_u32_e32 v3, 0x38000000, v0
                                        ; implicit-def: $vgpr5
.LBB6_6884:                             ;   in Loop: Header=BB6_4748 Depth=3
	s_andn2_saveexec_b64 s[34:35], s[34:35]
; %bb.6885:                             ;   in Loop: Header=BB6_4748 Depth=3
	v_cmp_lt_i32_e32 vcc, -1, v10
	v_mov_b32_e32 v0, 0xff800000
	v_mov_b32_e32 v3, 0x7f800000
	v_cndmask_b32_e32 v0, v0, v3, vcc
	v_cmp_eq_u32_e32 vcc, 0, v5
	v_mov_b32_e32 v3, 0x7f800001
	v_cndmask_b32_e32 v3, v3, v0, vcc
; %bb.6886:                             ;   in Loop: Header=BB6_4748 Depth=3
	s_or_b64 exec, exec, s[34:35]
.LBB6_6887:                             ;   in Loop: Header=BB6_4748 Depth=3
	s_or_b64 exec, exec, s[30:31]
.LBB6_6888:                             ;   in Loop: Header=BB6_4748 Depth=3
	s_or_b64 exec, exec, s[28:29]
	v_mul_f32_e32 v5, v4, v3
	v_and_b32_e32 v32, 0x7f800000, v5
	v_mov_b32_e32 v33, v34
	v_cmp_ne_u64_e32 vcc, s[76:77], v[32:33]
	v_and_b32_e32 v3, 0x7fffff, v5
	v_mov_b32_e32 v4, v34
                                        ; implicit-def: $vgpr39
	s_and_saveexec_b64 s[28:29], vcc
	s_xor_b64 s[30:31], exec, s[28:29]
	s_cbranch_execz .LBB6_6902
; %bb.6889:                             ;   in Loop: Header=BB6_4748 Depth=3
	v_and_b32_e32 v32, 0x7fffffff, v5
	v_mov_b32_e32 v33, v34
	v_cmp_gt_u64_e32 vcc, s[78:79], v[32:33]
	v_and_b32_sdwa v0, v5, s44 dst_sel:DWORD dst_unused:UNUSED_PAD src0_sel:BYTE_3 src1_sel:DWORD
                                        ; implicit-def: $vgpr39
	s_and_saveexec_b64 s[28:29], vcc
	s_xor_b64 s[34:35], exec, s[28:29]
	s_cbranch_execz .LBB6_6899
; %bb.6890:                             ;   in Loop: Header=BB6_4748 Depth=3
	v_mov_b32_e32 v39, 0
	v_cmp_ne_u32_e32 vcc, 0, v5
	s_and_saveexec_b64 s[36:37], vcc
	s_cbranch_execz .LBB6_6898
; %bb.6891:                             ;   in Loop: Header=BB6_4748 Depth=3
	v_bfe_u32 v6, v5, 23, 8
	v_cmp_gt_u32_e64 s[28:29], s45, v6
	v_sub_u32_e32 v5, 0x71, v6
	v_cmp_eq_u32_e32 vcc, 0, v6
	v_cndmask_b32_e64 v5, 0, v5, s[28:29]
	v_mov_b32_e32 v33, 0x70
	v_cndmask_b32_e32 v39, v5, v33, vcc
	v_or_b32_e32 v32, 0x800000, v3
	v_add_u32_e32 v5, 21, v39
	v_cndmask_b32_e32 v3, v32, v3, vcc
	v_lshlrev_b64 v[32:33], v5, -1
	v_add_u32_e32 v5, 20, v39
	v_bfi_b32 v32, v32, 0, v3
	v_lshlrev_b64 v[50:51], v5, 1
	v_lshrrev_b64 v[3:4], v39, v[3:4]
	v_bfi_b32 v33, v33, 0, 0
	v_cmp_eq_u64_e64 s[28:29], v[32:33], v[50:51]
	v_mov_b32_e32 v5, v4
	v_mov_b32_e32 v4, v3
	s_and_saveexec_b64 s[38:39], s[28:29]
; %bb.6892:                             ;   in Loop: Header=BB6_4748 Depth=3
	v_bfe_u32 v4, v3, 21, 1
	v_add_co_u32_e64 v4, s[28:29], v3, v4
	v_add_co_u32_e64 v4, s[28:29], -1, v4
; %bb.6893:                             ;   in Loop: Header=BB6_4748 Depth=3
	s_or_b64 exec, exec, s[38:39]
	v_add_u32_e32 v5, 0xffffff81, v6
	v_mov_b32_e32 v6, 0xffffff82
	v_cndmask_b32_e32 v5, v5, v6, vcc
	v_lshrrev_b32_e32 v6, 23, v3
	v_add3_u32 v39, v39, v5, v6
	v_add_u32_e32 v6, 14, v39
	v_and_b32_e32 v4, 0x1fffff, v4
	v_add_u32_e32 v3, v4, v3
	v_mov_b32_e32 v4, v34
	v_cmp_ne_u32_e32 vcc, 0, v6
                                        ; implicit-def: $vgpr5
	s_and_saveexec_b64 s[28:29], vcc
	s_xor_b64 s[28:29], exec, s[28:29]
; %bb.6894:                             ;   in Loop: Header=BB6_4748 Depth=3
	v_cmp_lt_u64_e32 vcc, s[88:89], v[3:4]
	v_add_u32_e32 v5, 15, v39
	v_cndmask_b32_e32 v5, v6, v5, vcc
	v_cndmask_b32_e64 v6, 0, 1, vcc
	v_lshrrev_b64 v[3:4], v6, v[3:4]
; %bb.6895:                             ;   in Loop: Header=BB6_4748 Depth=3
	s_andn2_saveexec_b64 s[28:29], s[28:29]
; %bb.6896:                             ;   in Loop: Header=BB6_4748 Depth=3
	v_bfe_u32 v5, v3, 23, 1
; %bb.6897:                             ;   in Loop: Header=BB6_4748 Depth=3
	s_or_b64 exec, exec, s[28:29]
	v_lshrrev_b64 v[3:4], 21, v[3:4]
	v_cmp_gt_i32_e32 vcc, 32, v5
	v_cndmask_b32_e32 v4, 0, v4, vcc
	v_cndmask_b32_e32 v3, 3, v3, vcc
	v_cmp_eq_u64_e64 s[28:29], 0, v[3:4]
	v_min_i32_e32 v4, 31, v5
	v_lshlrev_b32_e32 v4, 2, v4
	v_cmp_eq_u32_e32 vcc, 0, v5
	v_and_b32_e32 v4, 0xfc, v4
	v_and_or_b32 v3, v3, 3, v4
	s_and_b64 s[28:29], vcc, s[28:29]
	v_cndmask_b32_e64 v3, v3, 0, s[28:29]
	v_or_b32_e32 v39, v3, v0
.LBB6_6898:                             ;   in Loop: Header=BB6_4748 Depth=3
	s_or_b64 exec, exec, s[36:37]
                                        ; implicit-def: $vgpr0
.LBB6_6899:                             ;   in Loop: Header=BB6_4748 Depth=3
	s_andn2_saveexec_b64 s[28:29], s[34:35]
; %bb.6900:                             ;   in Loop: Header=BB6_4748 Depth=3
	v_or_b32_e32 v39, 0x7b, v0
; %bb.6901:                             ;   in Loop: Header=BB6_4748 Depth=3
	s_or_b64 exec, exec, s[28:29]
                                        ; implicit-def: $vgpr5
                                        ; implicit-def: $vgpr3_vgpr4
.LBB6_6902:                             ;   in Loop: Header=BB6_4748 Depth=3
	s_andn2_saveexec_b64 s[28:29], s[30:31]
	s_cbranch_execz .LBB6_6908
; %bb.6903:                             ;   in Loop: Header=BB6_4748 Depth=3
	v_cmp_ne_u64_e32 vcc, 0, v[3:4]
                                        ; implicit-def: $vgpr39
	s_and_saveexec_b64 s[30:31], vcc
	s_xor_b64 vcc, exec, s[30:31]
; %bb.6904:                             ;   in Loop: Header=BB6_4748 Depth=3
	v_or_b32_sdwa v39, v5, s83 dst_sel:DWORD dst_unused:UNUSED_PAD src0_sel:BYTE_3 src1_sel:DWORD
                                        ; implicit-def: $vgpr5
; %bb.6905:                             ;   in Loop: Header=BB6_4748 Depth=3
	s_andn2_saveexec_b64 s[30:31], vcc
; %bb.6906:                             ;   in Loop: Header=BB6_4748 Depth=3
	v_cmp_lt_i32_e32 vcc, -1, v5
	v_bfrev_b32_e32 v0, 0.5
	v_mov_b32_e32 v3, 0x7c
	v_cndmask_b32_e32 v39, v0, v3, vcc
; %bb.6907:                             ;   in Loop: Header=BB6_4748 Depth=3
	s_or_b64 exec, exec, s[30:31]
.LBB6_6908:                             ;   in Loop: Header=BB6_4748 Depth=3
	s_or_b64 exec, exec, s[28:29]
	v_mov_b32_e32 v3, v15
	v_mov_b32_e32 v4, v34
	v_cmp_ne_u16_sdwa vcc, v15, v34 src0_sel:BYTE_0 src1_sel:DWORD
	v_mov_b32_e32 v5, 0
	v_mov_b32_e32 v0, 0
	s_and_saveexec_b64 s[28:29], vcc
	s_cbranch_execz .LBB6_6916
; %bb.6909:                             ;   in Loop: Header=BB6_4748 Depth=3
	v_cmp_ne_u16_sdwa vcc, v15, s44 src0_sel:BYTE_0 src1_sel:DWORD
	v_bfrev_b32_e32 v0, 1
	s_and_saveexec_b64 s[30:31], vcc
	s_cbranch_execz .LBB6_6915
; %bb.6910:                             ;   in Loop: Header=BB6_4748 Depth=3
	v_and_b32_e32 v0, 0x7c, v15
	v_and_b32_e32 v6, 3, v15
	v_cmp_ne_u32_e32 vcc, s81, v0
                                        ; implicit-def: $vgpr0
	s_and_saveexec_b64 s[34:35], vcc
	s_xor_b64 s[34:35], exec, s[34:35]
	s_cbranch_execz .LBB6_6912
; %bb.6911:                             ;   in Loop: Header=BB6_4748 Depth=3
	v_ffbh_u32_e32 v32, v6
	v_min_u32_e32 v50, 32, v32
	v_subrev_u32_e32 v32, 29, v50
	v_lshlrev_b64 v[32:33], v32, v[3:4]
	v_bfe_u32 v0, v15, 2, 5
	v_sub_u32_e32 v4, 30, v50
	v_and_b32_e32 v32, 3, v32
	v_cmp_eq_u32_e32 vcc, 0, v0
	v_cndmask_b32_e32 v0, v0, v4, vcc
	v_cndmask_b32_e32 v4, v6, v32, vcc
	v_lshlrev_b32_e32 v6, 24, v15
	v_and_b32_e32 v6, 0x80000000, v6
	v_lshl_add_u32 v0, v0, 23, v6
	v_lshl_or_b32 v0, v4, 21, v0
	v_add_u32_e32 v0, 0x38000000, v0
                                        ; implicit-def: $vgpr6
.LBB6_6912:                             ;   in Loop: Header=BB6_4748 Depth=3
	s_andn2_saveexec_b64 s[34:35], s[34:35]
; %bb.6913:                             ;   in Loop: Header=BB6_4748 Depth=3
	v_mov_b32_e32 v0, -1
	v_cmp_gt_i16_sdwa vcc, sext(v15), v0 src0_sel:BYTE_0 src1_sel:DWORD
	v_mov_b32_e32 v0, 0xff800000
	v_mov_b32_e32 v4, 0x7f800000
	v_cndmask_b32_e32 v0, v0, v4, vcc
	v_cmp_eq_u32_e32 vcc, 0, v6
	v_mov_b32_e32 v4, 0x7f800001
	v_cndmask_b32_e32 v0, v4, v0, vcc
; %bb.6914:                             ;   in Loop: Header=BB6_4748 Depth=3
	s_or_b64 exec, exec, s[34:35]
.LBB6_6915:                             ;   in Loop: Header=BB6_4748 Depth=3
	s_or_b64 exec, exec, s[30:31]
.LBB6_6916:                             ;   in Loop: Header=BB6_4748 Depth=3
	s_or_b64 exec, exec, s[28:29]
	v_cmp_ne_u16_sdwa vcc, v11, v34 src0_sel:BYTE_0 src1_sel:DWORD
	s_and_saveexec_b64 s[28:29], vcc
	s_cbranch_execz .LBB6_6924
; %bb.6917:                             ;   in Loop: Header=BB6_4748 Depth=3
	v_cmp_ne_u16_sdwa vcc, v11, s44 src0_sel:BYTE_0 src1_sel:DWORD
	v_bfrev_b32_e32 v5, 1
	s_and_saveexec_b64 s[30:31], vcc
	s_cbranch_execz .LBB6_6923
; %bb.6918:                             ;   in Loop: Header=BB6_4748 Depth=3
	v_and_b32_e32 v5, 0x7c, v11
	v_and_b32_e32 v4, 3, v11
	v_cmp_ne_u32_e32 vcc, s81, v5
                                        ; implicit-def: $vgpr5
	s_and_saveexec_b64 s[34:35], vcc
	s_xor_b64 s[34:35], exec, s[34:35]
	s_cbranch_execz .LBB6_6920
; %bb.6919:                             ;   in Loop: Header=BB6_4748 Depth=3
	v_ffbh_u32_e32 v33, v4
	v_min_u32_e32 v33, 32, v33
	v_mov_b32_e32 v5, v11
	v_mov_b32_e32 v6, v34
	v_subrev_u32_e32 v50, 29, v33
	v_lshlrev_b64 v[5:6], v50, v[5:6]
	v_bfe_u32 v32, v11, 2, 5
	v_and_b32_e32 v5, 3, v5
	v_cmp_eq_u32_e32 vcc, 0, v32
	v_sub_u32_e32 v6, 30, v33
	v_cndmask_b32_e32 v4, v4, v5, vcc
	v_lshlrev_b32_e32 v5, 24, v11
	v_cndmask_b32_e32 v6, v32, v6, vcc
	v_and_b32_e32 v5, 0x80000000, v5
	v_lshl_add_u32 v5, v6, 23, v5
	v_lshl_or_b32 v4, v4, 21, v5
	v_add_u32_e32 v5, 0x38000000, v4
                                        ; implicit-def: $vgpr4
.LBB6_6920:                             ;   in Loop: Header=BB6_4748 Depth=3
	s_andn2_saveexec_b64 s[34:35], s[34:35]
; %bb.6921:                             ;   in Loop: Header=BB6_4748 Depth=3
	v_mov_b32_e32 v5, -1
	v_cmp_gt_i16_sdwa vcc, sext(v11), v5 src0_sel:BYTE_0 src1_sel:DWORD
	v_mov_b32_e32 v5, 0xff800000
	v_mov_b32_e32 v6, 0x7f800000
	v_cndmask_b32_e32 v5, v5, v6, vcc
	v_cmp_eq_u32_e32 vcc, 0, v4
	v_mov_b32_e32 v4, 0x7f800001
	v_cndmask_b32_e32 v5, v4, v5, vcc
; %bb.6922:                             ;   in Loop: Header=BB6_4748 Depth=3
	s_or_b64 exec, exec, s[34:35]
.LBB6_6923:                             ;   in Loop: Header=BB6_4748 Depth=3
	s_or_b64 exec, exec, s[30:31]
.LBB6_6924:                             ;   in Loop: Header=BB6_4748 Depth=3
	s_or_b64 exec, exec, s[28:29]
	v_mul_f32_e32 v50, v0, v5
	v_and_b32_e32 v5, 0x7f800000, v50
	v_mov_b32_e32 v6, v34
	v_cmp_ne_u64_e32 vcc, s[76:77], v[5:6]
	v_and_b32_e32 v4, 0x7fffff, v50
	v_mov_b32_e32 v5, v34
                                        ; implicit-def: $vgpr6
	s_and_saveexec_b64 s[28:29], vcc
	s_xor_b64 s[30:31], exec, s[28:29]
	s_cbranch_execz .LBB6_6938
; %bb.6925:                             ;   in Loop: Header=BB6_4748 Depth=3
	v_and_b32_e32 v32, 0x7fffffff, v50
	v_mov_b32_e32 v33, v34
	v_cmp_gt_u64_e32 vcc, s[78:79], v[32:33]
	v_and_b32_sdwa v0, v50, s44 dst_sel:DWORD dst_unused:UNUSED_PAD src0_sel:BYTE_3 src1_sel:DWORD
                                        ; implicit-def: $vgpr6
	s_and_saveexec_b64 s[28:29], vcc
	s_xor_b64 s[34:35], exec, s[28:29]
	s_cbranch_execz .LBB6_6935
; %bb.6926:                             ;   in Loop: Header=BB6_4748 Depth=3
	v_mov_b32_e32 v6, 0
	v_cmp_ne_u32_e32 vcc, 0, v50
	s_and_saveexec_b64 s[36:37], vcc
	s_cbranch_execz .LBB6_6934
; %bb.6927:                             ;   in Loop: Header=BB6_4748 Depth=3
	v_bfe_u32 v50, v50, 23, 8
	v_cmp_gt_u32_e64 s[28:29], s45, v50
	v_sub_u32_e32 v6, 0x71, v50
	v_cmp_eq_u32_e32 vcc, 0, v50
	v_cndmask_b32_e64 v6, 0, v6, s[28:29]
	v_mov_b32_e32 v33, 0x70
	v_cndmask_b32_e32 v51, v6, v33, vcc
	v_or_b32_e32 v32, 0x800000, v4
	v_add_u32_e32 v6, 21, v51
	v_cndmask_b32_e32 v4, v32, v4, vcc
	v_lshlrev_b64 v[32:33], v6, -1
	v_add_u32_e32 v6, 20, v51
	v_mov_b32_e32 v35, v57
	v_mov_b32_e32 v47, v56
	v_bfi_b32 v32, v32, 0, v4
	v_lshlrev_b64 v[56:57], v6, 1
	v_lshrrev_b64 v[4:5], v51, v[4:5]
	v_bfi_b32 v33, v33, 0, 0
	v_cmp_eq_u64_e64 s[28:29], v[32:33], v[56:57]
	v_mov_b32_e32 v6, v5
	v_mov_b32_e32 v5, v4
	s_and_saveexec_b64 s[38:39], s[28:29]
; %bb.6928:                             ;   in Loop: Header=BB6_4748 Depth=3
	v_bfe_u32 v5, v4, 21, 1
	v_add_co_u32_e64 v5, s[28:29], v4, v5
	v_add_co_u32_e64 v5, s[28:29], -1, v5
; %bb.6929:                             ;   in Loop: Header=BB6_4748 Depth=3
	s_or_b64 exec, exec, s[38:39]
	v_add_u32_e32 v6, 0xffffff81, v50
	v_mov_b32_e32 v32, 0xffffff82
	v_cndmask_b32_e32 v6, v6, v32, vcc
	v_lshrrev_b32_e32 v32, 23, v4
	v_add3_u32 v51, v51, v6, v32
	v_add_u32_e32 v50, 14, v51
	v_and_b32_e32 v5, 0x1fffff, v5
	v_add_u32_e32 v4, v5, v4
	v_mov_b32_e32 v5, v34
	v_cmp_ne_u32_e32 vcc, 0, v50
                                        ; implicit-def: $vgpr6
	s_and_saveexec_b64 s[28:29], vcc
	s_xor_b64 s[28:29], exec, s[28:29]
; %bb.6930:                             ;   in Loop: Header=BB6_4748 Depth=3
	v_cmp_lt_u64_e32 vcc, s[88:89], v[4:5]
	v_add_u32_e32 v6, 15, v51
	v_cndmask_b32_e64 v32, 0, 1, vcc
	v_lshrrev_b64 v[4:5], v32, v[4:5]
	v_cndmask_b32_e32 v6, v50, v6, vcc
; %bb.6931:                             ;   in Loop: Header=BB6_4748 Depth=3
	s_or_saveexec_b64 s[28:29], s[28:29]
	v_mov_b32_e32 v56, v47
	v_mov_b32_e32 v57, v35
	s_xor_b64 exec, exec, s[28:29]
; %bb.6932:                             ;   in Loop: Header=BB6_4748 Depth=3
	v_bfe_u32 v6, v4, 23, 1
; %bb.6933:                             ;   in Loop: Header=BB6_4748 Depth=3
	s_or_b64 exec, exec, s[28:29]
	v_lshrrev_b64 v[4:5], 21, v[4:5]
	v_cmp_gt_i32_e32 vcc, 32, v6
	v_cndmask_b32_e32 v5, 0, v5, vcc
	v_cndmask_b32_e32 v4, 3, v4, vcc
	v_cmp_eq_u64_e64 s[28:29], 0, v[4:5]
	v_min_i32_e32 v5, 31, v6
	v_lshlrev_b32_e32 v5, 2, v5
	v_cmp_eq_u32_e32 vcc, 0, v6
	v_and_b32_e32 v5, 0xfc, v5
	v_and_or_b32 v4, v4, 3, v5
	s_and_b64 s[28:29], vcc, s[28:29]
	v_cndmask_b32_e64 v4, v4, 0, s[28:29]
	v_or_b32_e32 v6, v4, v0
.LBB6_6934:                             ;   in Loop: Header=BB6_4748 Depth=3
	s_or_b64 exec, exec, s[36:37]
                                        ; implicit-def: $vgpr0
.LBB6_6935:                             ;   in Loop: Header=BB6_4748 Depth=3
	s_andn2_saveexec_b64 s[28:29], s[34:35]
; %bb.6936:                             ;   in Loop: Header=BB6_4748 Depth=3
	v_or_b32_e32 v6, 0x7b, v0
; %bb.6937:                             ;   in Loop: Header=BB6_4748 Depth=3
	s_or_b64 exec, exec, s[28:29]
                                        ; implicit-def: $vgpr50
                                        ; implicit-def: $vgpr4_vgpr5
.LBB6_6938:                             ;   in Loop: Header=BB6_4748 Depth=3
	s_andn2_saveexec_b64 s[28:29], s[30:31]
	s_cbranch_execz .LBB6_6944
; %bb.6939:                             ;   in Loop: Header=BB6_4748 Depth=3
	v_cmp_ne_u64_e32 vcc, 0, v[4:5]
                                        ; implicit-def: $vgpr6
	s_and_saveexec_b64 s[30:31], vcc
	s_xor_b64 vcc, exec, s[30:31]
; %bb.6940:                             ;   in Loop: Header=BB6_4748 Depth=3
	v_or_b32_sdwa v6, v50, s83 dst_sel:DWORD dst_unused:UNUSED_PAD src0_sel:BYTE_3 src1_sel:DWORD
                                        ; implicit-def: $vgpr50
; %bb.6941:                             ;   in Loop: Header=BB6_4748 Depth=3
	s_andn2_saveexec_b64 s[30:31], vcc
; %bb.6942:                             ;   in Loop: Header=BB6_4748 Depth=3
	v_cmp_lt_i32_e32 vcc, -1, v50
	v_bfrev_b32_e32 v0, 0.5
	v_mov_b32_e32 v4, 0x7c
	v_cndmask_b32_e32 v6, v0, v4, vcc
; %bb.6943:                             ;   in Loop: Header=BB6_4748 Depth=3
	s_or_b64 exec, exec, s[30:31]
.LBB6_6944:                             ;   in Loop: Header=BB6_4748 Depth=3
	s_or_b64 exec, exec, s[28:29]
	v_lshrrev_b16_e32 v4, 8, v3
	v_cmp_ne_u16_e32 vcc, 0, v4
	v_mov_b32_e32 v0, 0
	v_mov_b32_e32 v5, 0
	s_and_saveexec_b64 s[28:29], vcc
	s_cbranch_execz .LBB6_6952
; %bb.6945:                             ;   in Loop: Header=BB6_4748 Depth=3
	v_cmp_ne_u16_e32 vcc, s44, v4
	v_bfrev_b32_e32 v5, 1
	s_and_saveexec_b64 s[30:31], vcc
	s_cbranch_execz .LBB6_6951
; %bb.6946:                             ;   in Loop: Header=BB6_4748 Depth=3
	v_and_b32_e32 v5, 0x7c, v4
	v_and_b32_e32 v50, 3, v4
	v_cmp_ne_u32_e32 vcc, s81, v5
                                        ; implicit-def: $vgpr5
	s_and_saveexec_b64 s[34:35], vcc
	s_xor_b64 s[34:35], exec, s[34:35]
	s_cbranch_execz .LBB6_6948
; %bb.6947:                             ;   in Loop: Header=BB6_4748 Depth=3
	v_ffbh_u32_e32 v33, v50
	v_min_u32_e32 v33, 32, v33
	v_mov_b32_e32 v5, v34
	v_subrev_u32_e32 v51, 29, v33
	v_bfe_u32 v32, v4, 2, 5
	v_lshlrev_b64 v[4:5], v51, v[4:5]
	v_sub_u32_e32 v5, 30, v33
	v_cmp_eq_u32_e32 vcc, 0, v32
	v_lshlrev_b32_e32 v3, 16, v3
	v_and_b32_e32 v4, 3, v4
	v_cndmask_b32_e32 v5, v32, v5, vcc
	v_and_b32_e32 v3, 0x80000000, v3
	v_cndmask_b32_e32 v4, v50, v4, vcc
	v_lshl_add_u32 v3, v5, 23, v3
	v_lshl_or_b32 v3, v4, 21, v3
	v_add_u32_e32 v5, 0x38000000, v3
                                        ; implicit-def: $vgpr50
                                        ; implicit-def: $vgpr3_vgpr4
.LBB6_6948:                             ;   in Loop: Header=BB6_4748 Depth=3
	s_andn2_saveexec_b64 s[34:35], s[34:35]
; %bb.6949:                             ;   in Loop: Header=BB6_4748 Depth=3
	v_cmp_lt_i16_e32 vcc, -1, v3
	v_mov_b32_e32 v3, 0xff800000
	v_mov_b32_e32 v4, 0x7f800000
	v_cndmask_b32_e32 v3, v3, v4, vcc
	v_cmp_eq_u32_e32 vcc, 0, v50
	v_mov_b32_e32 v4, 0x7f800001
	v_cndmask_b32_e32 v5, v4, v3, vcc
; %bb.6950:                             ;   in Loop: Header=BB6_4748 Depth=3
	s_or_b64 exec, exec, s[34:35]
.LBB6_6951:                             ;   in Loop: Header=BB6_4748 Depth=3
	s_or_b64 exec, exec, s[30:31]
.LBB6_6952:                             ;   in Loop: Header=BB6_4748 Depth=3
	s_or_b64 exec, exec, s[28:29]
	v_lshrrev_b16_e32 v3, 8, v11
	v_cmp_ne_u16_e32 vcc, 0, v3
	s_and_saveexec_b64 s[28:29], vcc
	s_cbranch_execz .LBB6_6960
; %bb.6953:                             ;   in Loop: Header=BB6_4748 Depth=3
	v_cmp_ne_u16_e32 vcc, s44, v3
	v_bfrev_b32_e32 v0, 1
	s_and_saveexec_b64 s[30:31], vcc
	s_cbranch_execz .LBB6_6959
; %bb.6954:                             ;   in Loop: Header=BB6_4748 Depth=3
	v_and_b32_e32 v0, 0x7c, v3
	v_and_b32_e32 v50, 3, v3
	v_cmp_ne_u32_e32 vcc, s81, v0
                                        ; implicit-def: $vgpr0
	s_and_saveexec_b64 s[34:35], vcc
	s_xor_b64 s[34:35], exec, s[34:35]
	s_cbranch_execz .LBB6_6956
; %bb.6955:                             ;   in Loop: Header=BB6_4748 Depth=3
	v_ffbh_u32_e32 v32, v50
	v_min_u32_e32 v32, 32, v32
	v_mov_b32_e32 v4, v34
	v_subrev_u32_e32 v33, 29, v32
	v_bfe_u32 v0, v3, 2, 5
	v_lshlrev_b64 v[3:4], v33, v[3:4]
	v_sub_u32_e32 v4, 30, v32
	v_cmp_eq_u32_e32 vcc, 0, v0
	v_cndmask_b32_e32 v0, v0, v4, vcc
	v_lshlrev_b32_e32 v4, 16, v11
	v_and_b32_e32 v3, 3, v3
	v_and_b32_e32 v4, 0x80000000, v4
	v_cndmask_b32_e32 v3, v50, v3, vcc
	v_lshl_add_u32 v0, v0, 23, v4
	v_lshl_or_b32 v0, v3, 21, v0
	v_add_u32_e32 v0, 0x38000000, v0
                                        ; implicit-def: $vgpr50
.LBB6_6956:                             ;   in Loop: Header=BB6_4748 Depth=3
	s_andn2_saveexec_b64 s[34:35], s[34:35]
; %bb.6957:                             ;   in Loop: Header=BB6_4748 Depth=3
	v_cmp_lt_i16_e32 vcc, -1, v11
	v_mov_b32_e32 v0, 0xff800000
	v_mov_b32_e32 v3, 0x7f800000
	v_cndmask_b32_e32 v0, v0, v3, vcc
	v_cmp_eq_u32_e32 vcc, 0, v50
	v_mov_b32_e32 v3, 0x7f800001
	v_cndmask_b32_e32 v0, v3, v0, vcc
; %bb.6958:                             ;   in Loop: Header=BB6_4748 Depth=3
	s_or_b64 exec, exec, s[34:35]
.LBB6_6959:                             ;   in Loop: Header=BB6_4748 Depth=3
	s_or_b64 exec, exec, s[30:31]
.LBB6_6960:                             ;   in Loop: Header=BB6_4748 Depth=3
	s_or_b64 exec, exec, s[28:29]
	v_mul_f32_e32 v5, v5, v0
	v_and_b32_e32 v32, 0x7f800000, v5
	v_mov_b32_e32 v33, v34
	v_cmp_ne_u64_e32 vcc, s[76:77], v[32:33]
	v_and_b32_e32 v3, 0x7fffff, v5
	v_mov_b32_e32 v4, v34
                                        ; implicit-def: $vgpr50
	s_and_saveexec_b64 s[28:29], vcc
	s_xor_b64 s[30:31], exec, s[28:29]
	s_cbranch_execz .LBB6_6974
; %bb.6961:                             ;   in Loop: Header=BB6_4748 Depth=3
	v_and_b32_e32 v32, 0x7fffffff, v5
	v_mov_b32_e32 v33, v34
	v_cmp_gt_u64_e32 vcc, s[78:79], v[32:33]
	v_and_b32_sdwa v0, v5, s44 dst_sel:DWORD dst_unused:UNUSED_PAD src0_sel:BYTE_3 src1_sel:DWORD
                                        ; implicit-def: $vgpr50
	s_and_saveexec_b64 s[28:29], vcc
	s_xor_b64 s[34:35], exec, s[28:29]
	s_cbranch_execz .LBB6_6971
; %bb.6962:                             ;   in Loop: Header=BB6_4748 Depth=3
	v_mov_b32_e32 v50, 0
	v_cmp_ne_u32_e32 vcc, 0, v5
	s_and_saveexec_b64 s[36:37], vcc
	s_cbranch_execz .LBB6_6970
; %bb.6963:                             ;   in Loop: Header=BB6_4748 Depth=3
	v_bfe_u32 v50, v5, 23, 8
	v_cmp_gt_u32_e64 s[28:29], s45, v50
	v_sub_u32_e32 v5, 0x71, v50
	v_cmp_eq_u32_e32 vcc, 0, v50
	v_cndmask_b32_e64 v5, 0, v5, s[28:29]
	v_mov_b32_e32 v33, 0x70
	v_cndmask_b32_e32 v51, v5, v33, vcc
	v_or_b32_e32 v32, 0x800000, v3
	v_add_u32_e32 v5, 21, v51
	v_cndmask_b32_e32 v3, v32, v3, vcc
	v_lshlrev_b64 v[32:33], v5, -1
	v_add_u32_e32 v5, 20, v51
	v_mov_b32_e32 v35, v57
	v_mov_b32_e32 v47, v56
	v_bfi_b32 v32, v32, 0, v3
	v_lshlrev_b64 v[56:57], v5, 1
	v_lshrrev_b64 v[3:4], v51, v[3:4]
	v_bfi_b32 v33, v33, 0, 0
	v_cmp_eq_u64_e64 s[28:29], v[32:33], v[56:57]
	v_mov_b32_e32 v5, v4
	v_mov_b32_e32 v4, v3
	s_and_saveexec_b64 s[38:39], s[28:29]
; %bb.6964:                             ;   in Loop: Header=BB6_4748 Depth=3
	v_bfe_u32 v4, v3, 21, 1
	v_add_co_u32_e64 v4, s[28:29], v3, v4
	v_add_co_u32_e64 v4, s[28:29], -1, v4
; %bb.6965:                             ;   in Loop: Header=BB6_4748 Depth=3
	s_or_b64 exec, exec, s[38:39]
	v_add_u32_e32 v5, 0xffffff81, v50
	v_mov_b32_e32 v32, 0xffffff82
	v_cndmask_b32_e32 v5, v5, v32, vcc
	v_lshrrev_b32_e32 v32, 23, v3
	v_add3_u32 v51, v51, v5, v32
	v_add_u32_e32 v50, 14, v51
	v_and_b32_e32 v4, 0x1fffff, v4
	v_add_u32_e32 v3, v4, v3
	v_mov_b32_e32 v4, v34
	v_cmp_ne_u32_e32 vcc, 0, v50
                                        ; implicit-def: $vgpr5
	s_and_saveexec_b64 s[28:29], vcc
	s_xor_b64 s[28:29], exec, s[28:29]
; %bb.6966:                             ;   in Loop: Header=BB6_4748 Depth=3
	v_cmp_lt_u64_e32 vcc, s[88:89], v[3:4]
	v_add_u32_e32 v5, 15, v51
	v_cndmask_b32_e64 v32, 0, 1, vcc
	v_lshrrev_b64 v[3:4], v32, v[3:4]
	v_cndmask_b32_e32 v5, v50, v5, vcc
; %bb.6967:                             ;   in Loop: Header=BB6_4748 Depth=3
	s_or_saveexec_b64 s[28:29], s[28:29]
	v_mov_b32_e32 v56, v47
	v_mov_b32_e32 v57, v35
	s_xor_b64 exec, exec, s[28:29]
; %bb.6968:                             ;   in Loop: Header=BB6_4748 Depth=3
	v_bfe_u32 v5, v3, 23, 1
; %bb.6969:                             ;   in Loop: Header=BB6_4748 Depth=3
	s_or_b64 exec, exec, s[28:29]
	v_lshrrev_b64 v[3:4], 21, v[3:4]
	v_cmp_gt_i32_e32 vcc, 32, v5
	v_cndmask_b32_e32 v4, 0, v4, vcc
	v_cndmask_b32_e32 v3, 3, v3, vcc
	v_cmp_eq_u64_e64 s[28:29], 0, v[3:4]
	v_min_i32_e32 v4, 31, v5
	v_lshlrev_b32_e32 v4, 2, v4
	v_cmp_eq_u32_e32 vcc, 0, v5
	v_and_b32_e32 v4, 0xfc, v4
	v_and_or_b32 v3, v3, 3, v4
	s_and_b64 s[28:29], vcc, s[28:29]
	v_cndmask_b32_e64 v3, v3, 0, s[28:29]
	v_or_b32_e32 v50, v3, v0
.LBB6_6970:                             ;   in Loop: Header=BB6_4748 Depth=3
	s_or_b64 exec, exec, s[36:37]
                                        ; implicit-def: $vgpr0
.LBB6_6971:                             ;   in Loop: Header=BB6_4748 Depth=3
	s_andn2_saveexec_b64 s[28:29], s[34:35]
; %bb.6972:                             ;   in Loop: Header=BB6_4748 Depth=3
	v_or_b32_e32 v50, 0x7b, v0
; %bb.6973:                             ;   in Loop: Header=BB6_4748 Depth=3
	s_or_b64 exec, exec, s[28:29]
                                        ; implicit-def: $vgpr5
                                        ; implicit-def: $vgpr3_vgpr4
.LBB6_6974:                             ;   in Loop: Header=BB6_4748 Depth=3
	s_andn2_saveexec_b64 s[28:29], s[30:31]
	s_cbranch_execz .LBB6_6980
; %bb.6975:                             ;   in Loop: Header=BB6_4748 Depth=3
	v_cmp_ne_u64_e32 vcc, 0, v[3:4]
                                        ; implicit-def: $vgpr50
	s_and_saveexec_b64 s[30:31], vcc
	s_xor_b64 vcc, exec, s[30:31]
; %bb.6976:                             ;   in Loop: Header=BB6_4748 Depth=3
	v_or_b32_sdwa v50, v5, s83 dst_sel:DWORD dst_unused:UNUSED_PAD src0_sel:BYTE_3 src1_sel:DWORD
                                        ; implicit-def: $vgpr5
; %bb.6977:                             ;   in Loop: Header=BB6_4748 Depth=3
	s_andn2_saveexec_b64 s[30:31], vcc
; %bb.6978:                             ;   in Loop: Header=BB6_4748 Depth=3
	v_cmp_lt_i32_e32 vcc, -1, v5
	v_bfrev_b32_e32 v0, 0.5
	v_mov_b32_e32 v3, 0x7c
	v_cndmask_b32_e32 v50, v0, v3, vcc
; %bb.6979:                             ;   in Loop: Header=BB6_4748 Depth=3
	s_or_b64 exec, exec, s[30:31]
.LBB6_6980:                             ;   in Loop: Header=BB6_4748 Depth=3
	s_or_b64 exec, exec, s[28:29]
	v_lshrrev_b32_e32 v0, 16, v15
	v_cmp_ne_u16_sdwa vcc, v0, v34 src0_sel:BYTE_0 src1_sel:DWORD
	v_mov_b32_e32 v3, 0
	v_mov_b32_e32 v4, 0
	s_and_saveexec_b64 s[28:29], vcc
	s_cbranch_execz .LBB6_6988
; %bb.6981:                             ;   in Loop: Header=BB6_4748 Depth=3
	v_cmp_ne_u16_sdwa vcc, v0, s44 src0_sel:BYTE_0 src1_sel:DWORD
	v_bfrev_b32_e32 v4, 1
	s_and_saveexec_b64 s[30:31], vcc
	s_cbranch_execz .LBB6_6987
; %bb.6982:                             ;   in Loop: Header=BB6_4748 Depth=3
	v_and_b32_e32 v4, 0x7c0000, v15
	v_bfe_u32 v5, v15, 16, 2
	v_cmp_ne_u32_e32 vcc, s9, v4
                                        ; implicit-def: $vgpr4
	s_and_saveexec_b64 s[34:35], vcc
	s_xor_b64 s[34:35], exec, s[34:35]
	s_cbranch_execz .LBB6_6984
; %bb.6983:                             ;   in Loop: Header=BB6_4748 Depth=3
	v_ffbh_u32_e32 v32, v5
	v_min_u32_e32 v51, 32, v32
	v_subrev_u32_e32 v32, 29, v51
	v_lshlrev_b64 v[32:33], v32, v[0:1]
	v_bfe_u32 v4, v15, 18, 5
	v_sub_u32_e32 v0, 30, v51
	v_and_b32_e32 v32, 3, v32
	v_cmp_eq_u32_e32 vcc, 0, v4
	v_cndmask_b32_e32 v0, v4, v0, vcc
	v_cndmask_b32_e32 v4, v5, v32, vcc
	v_lshlrev_b32_e32 v5, 8, v15
	v_and_b32_e32 v5, 0x80000000, v5
	v_lshl_add_u32 v0, v0, 23, v5
	v_lshl_or_b32 v0, v4, 21, v0
	v_add_u32_e32 v4, 0x38000000, v0
                                        ; implicit-def: $vgpr5
                                        ; implicit-def: $vgpr0
.LBB6_6984:                             ;   in Loop: Header=BB6_4748 Depth=3
	s_andn2_saveexec_b64 s[34:35], s[34:35]
; %bb.6985:                             ;   in Loop: Header=BB6_4748 Depth=3
	v_mov_b32_e32 v4, -1
	v_cmp_gt_i16_sdwa vcc, sext(v0), v4 src0_sel:BYTE_0 src1_sel:DWORD
	v_mov_b32_e32 v0, 0xff800000
	v_mov_b32_e32 v4, 0x7f800000
	v_cndmask_b32_e32 v0, v0, v4, vcc
	v_cmp_eq_u32_e32 vcc, 0, v5
	v_mov_b32_e32 v4, 0x7f800001
	v_cndmask_b32_e32 v4, v4, v0, vcc
; %bb.6986:                             ;   in Loop: Header=BB6_4748 Depth=3
	s_or_b64 exec, exec, s[34:35]
.LBB6_6987:                             ;   in Loop: Header=BB6_4748 Depth=3
	s_or_b64 exec, exec, s[30:31]
.LBB6_6988:                             ;   in Loop: Header=BB6_4748 Depth=3
	s_or_b64 exec, exec, s[28:29]
	v_lshrrev_b32_e32 v0, 16, v11
	v_cmp_ne_u16_sdwa vcc, v0, v34 src0_sel:BYTE_0 src1_sel:DWORD
	s_and_saveexec_b64 s[28:29], vcc
	s_cbranch_execz .LBB6_6996
; %bb.6989:                             ;   in Loop: Header=BB6_4748 Depth=3
	v_cmp_ne_u16_sdwa vcc, v0, s44 src0_sel:BYTE_0 src1_sel:DWORD
	v_bfrev_b32_e32 v3, 1
	s_and_saveexec_b64 s[30:31], vcc
	s_cbranch_execz .LBB6_6995
; %bb.6990:                             ;   in Loop: Header=BB6_4748 Depth=3
	v_and_b32_e32 v3, 0x7c0000, v11
	v_bfe_u32 v5, v11, 16, 2
	v_cmp_ne_u32_e32 vcc, s9, v3
                                        ; implicit-def: $vgpr3
	s_and_saveexec_b64 s[34:35], vcc
	s_xor_b64 s[34:35], exec, s[34:35]
	s_cbranch_execz .LBB6_6992
; %bb.6991:                             ;   in Loop: Header=BB6_4748 Depth=3
	v_ffbh_u32_e32 v32, v5
	v_min_u32_e32 v51, 32, v32
	v_subrev_u32_e32 v32, 29, v51
	v_lshlrev_b64 v[32:33], v32, v[0:1]
	v_bfe_u32 v3, v11, 18, 5
	v_sub_u32_e32 v0, 30, v51
	v_and_b32_e32 v32, 3, v32
	v_cmp_eq_u32_e32 vcc, 0, v3
	v_cndmask_b32_e32 v0, v3, v0, vcc
	v_cndmask_b32_e32 v3, v5, v32, vcc
	v_lshlrev_b32_e32 v5, 8, v11
	v_and_b32_e32 v5, 0x80000000, v5
	v_lshl_add_u32 v0, v0, 23, v5
	v_lshl_or_b32 v0, v3, 21, v0
	v_add_u32_e32 v3, 0x38000000, v0
                                        ; implicit-def: $vgpr5
                                        ; implicit-def: $vgpr0
.LBB6_6992:                             ;   in Loop: Header=BB6_4748 Depth=3
	s_andn2_saveexec_b64 s[34:35], s[34:35]
; %bb.6993:                             ;   in Loop: Header=BB6_4748 Depth=3
	v_mov_b32_e32 v3, -1
	v_cmp_gt_i16_sdwa vcc, sext(v0), v3 src0_sel:BYTE_0 src1_sel:DWORD
	v_mov_b32_e32 v0, 0xff800000
	v_mov_b32_e32 v3, 0x7f800000
	v_cndmask_b32_e32 v0, v0, v3, vcc
	v_cmp_eq_u32_e32 vcc, 0, v5
	v_mov_b32_e32 v3, 0x7f800001
	v_cndmask_b32_e32 v3, v3, v0, vcc
; %bb.6994:                             ;   in Loop: Header=BB6_4748 Depth=3
	s_or_b64 exec, exec, s[34:35]
.LBB6_6995:                             ;   in Loop: Header=BB6_4748 Depth=3
	s_or_b64 exec, exec, s[30:31]
.LBB6_6996:                             ;   in Loop: Header=BB6_4748 Depth=3
	s_or_b64 exec, exec, s[28:29]
	v_mul_f32_e32 v5, v4, v3
	v_and_b32_e32 v32, 0x7f800000, v5
	v_mov_b32_e32 v33, v34
	v_cmp_ne_u64_e32 vcc, s[76:77], v[32:33]
	v_and_b32_e32 v3, 0x7fffff, v5
	v_mov_b32_e32 v4, v34
                                        ; implicit-def: $vgpr51
	s_and_saveexec_b64 s[28:29], vcc
	s_xor_b64 s[30:31], exec, s[28:29]
	s_cbranch_execz .LBB6_7010
; %bb.6997:                             ;   in Loop: Header=BB6_4748 Depth=3
	v_and_b32_e32 v32, 0x7fffffff, v5
	v_mov_b32_e32 v33, v34
	v_cmp_gt_u64_e32 vcc, s[78:79], v[32:33]
	v_and_b32_sdwa v0, v5, s44 dst_sel:DWORD dst_unused:UNUSED_PAD src0_sel:BYTE_3 src1_sel:DWORD
                                        ; implicit-def: $vgpr51
	s_and_saveexec_b64 s[28:29], vcc
	s_xor_b64 s[34:35], exec, s[28:29]
	s_cbranch_execz .LBB6_7007
; %bb.6998:                             ;   in Loop: Header=BB6_4748 Depth=3
	v_mov_b32_e32 v51, 0
	v_cmp_ne_u32_e32 vcc, 0, v5
	s_and_saveexec_b64 s[36:37], vcc
	s_cbranch_execz .LBB6_7006
; %bb.6999:                             ;   in Loop: Header=BB6_4748 Depth=3
	v_bfe_u32 v51, v5, 23, 8
	v_cmp_gt_u32_e64 s[28:29], s45, v51
	v_sub_u32_e32 v5, 0x71, v51
	v_cmp_eq_u32_e32 vcc, 0, v51
	v_cndmask_b32_e64 v5, 0, v5, s[28:29]
	v_mov_b32_e32 v33, 0x70
	v_cndmask_b32_e32 v47, v5, v33, vcc
	v_or_b32_e32 v32, 0x800000, v3
	v_add_u32_e32 v5, 21, v47
	v_cndmask_b32_e32 v3, v32, v3, vcc
	v_lshlrev_b64 v[32:33], v5, -1
	v_add_u32_e32 v5, 20, v47
	v_mov_b32_e32 v52, v57
	v_mov_b32_e32 v35, v56
	v_bfi_b32 v32, v32, 0, v3
	v_lshlrev_b64 v[56:57], v5, 1
	v_lshrrev_b64 v[3:4], v47, v[3:4]
	v_bfi_b32 v33, v33, 0, 0
	v_cmp_eq_u64_e64 s[28:29], v[32:33], v[56:57]
	v_mov_b32_e32 v5, v4
	v_mov_b32_e32 v4, v3
	s_and_saveexec_b64 s[38:39], s[28:29]
; %bb.7000:                             ;   in Loop: Header=BB6_4748 Depth=3
	v_bfe_u32 v4, v3, 21, 1
	v_add_co_u32_e64 v4, s[28:29], v3, v4
	v_add_co_u32_e64 v4, s[28:29], -1, v4
; %bb.7001:                             ;   in Loop: Header=BB6_4748 Depth=3
	s_or_b64 exec, exec, s[38:39]
	v_add_u32_e32 v5, 0xffffff81, v51
	v_mov_b32_e32 v32, 0xffffff82
	v_cndmask_b32_e32 v5, v5, v32, vcc
	v_lshrrev_b32_e32 v32, 23, v3
	v_add3_u32 v47, v47, v5, v32
	v_add_u32_e32 v51, 14, v47
	v_and_b32_e32 v4, 0x1fffff, v4
	v_add_u32_e32 v3, v4, v3
	v_mov_b32_e32 v4, v34
	v_cmp_ne_u32_e32 vcc, 0, v51
                                        ; implicit-def: $vgpr5
	s_and_saveexec_b64 s[28:29], vcc
	s_xor_b64 s[28:29], exec, s[28:29]
; %bb.7002:                             ;   in Loop: Header=BB6_4748 Depth=3
	v_cmp_lt_u64_e32 vcc, s[88:89], v[3:4]
	v_add_u32_e32 v5, 15, v47
	v_cndmask_b32_e64 v32, 0, 1, vcc
	v_lshrrev_b64 v[3:4], v32, v[3:4]
	v_cndmask_b32_e32 v5, v51, v5, vcc
; %bb.7003:                             ;   in Loop: Header=BB6_4748 Depth=3
	s_or_saveexec_b64 s[28:29], s[28:29]
	v_mov_b32_e32 v56, v35
	v_mov_b32_e32 v57, v52
	s_xor_b64 exec, exec, s[28:29]
; %bb.7004:                             ;   in Loop: Header=BB6_4748 Depth=3
	v_bfe_u32 v5, v3, 23, 1
; %bb.7005:                             ;   in Loop: Header=BB6_4748 Depth=3
	s_or_b64 exec, exec, s[28:29]
	v_lshrrev_b64 v[3:4], 21, v[3:4]
	v_cmp_gt_i32_e32 vcc, 32, v5
	v_cndmask_b32_e32 v4, 0, v4, vcc
	v_cndmask_b32_e32 v3, 3, v3, vcc
	v_cmp_eq_u64_e64 s[28:29], 0, v[3:4]
	v_min_i32_e32 v4, 31, v5
	v_lshlrev_b32_e32 v4, 2, v4
	v_cmp_eq_u32_e32 vcc, 0, v5
	v_and_b32_e32 v4, 0xfc, v4
	v_and_or_b32 v3, v3, 3, v4
	s_and_b64 s[28:29], vcc, s[28:29]
	v_cndmask_b32_e64 v3, v3, 0, s[28:29]
	v_or_b32_e32 v51, v3, v0
.LBB6_7006:                             ;   in Loop: Header=BB6_4748 Depth=3
	s_or_b64 exec, exec, s[36:37]
                                        ; implicit-def: $vgpr0
.LBB6_7007:                             ;   in Loop: Header=BB6_4748 Depth=3
	s_andn2_saveexec_b64 s[28:29], s[34:35]
; %bb.7008:                             ;   in Loop: Header=BB6_4748 Depth=3
	v_or_b32_e32 v51, 0x7b, v0
; %bb.7009:                             ;   in Loop: Header=BB6_4748 Depth=3
	s_or_b64 exec, exec, s[28:29]
                                        ; implicit-def: $vgpr5
                                        ; implicit-def: $vgpr3_vgpr4
.LBB6_7010:                             ;   in Loop: Header=BB6_4748 Depth=3
	s_andn2_saveexec_b64 s[28:29], s[30:31]
	s_cbranch_execz .LBB6_7016
; %bb.7011:                             ;   in Loop: Header=BB6_4748 Depth=3
	v_cmp_ne_u64_e32 vcc, 0, v[3:4]
                                        ; implicit-def: $vgpr51
	s_and_saveexec_b64 s[30:31], vcc
	s_xor_b64 vcc, exec, s[30:31]
; %bb.7012:                             ;   in Loop: Header=BB6_4748 Depth=3
	v_or_b32_sdwa v51, v5, s83 dst_sel:DWORD dst_unused:UNUSED_PAD src0_sel:BYTE_3 src1_sel:DWORD
                                        ; implicit-def: $vgpr5
; %bb.7013:                             ;   in Loop: Header=BB6_4748 Depth=3
	s_andn2_saveexec_b64 s[30:31], vcc
; %bb.7014:                             ;   in Loop: Header=BB6_4748 Depth=3
	v_cmp_lt_i32_e32 vcc, -1, v5
	v_bfrev_b32_e32 v0, 0.5
	v_mov_b32_e32 v3, 0x7c
	v_cndmask_b32_e32 v51, v0, v3, vcc
; %bb.7015:                             ;   in Loop: Header=BB6_4748 Depth=3
	s_or_b64 exec, exec, s[30:31]
.LBB6_7016:                             ;   in Loop: Header=BB6_4748 Depth=3
	s_or_b64 exec, exec, s[28:29]
	v_cmp_lt_u64_e32 vcc, s[56:57], v[14:15]
	v_mov_b32_e32 v3, 0
	v_mov_b32_e32 v4, 0
	s_and_saveexec_b64 s[28:29], vcc
	s_cbranch_execz .LBB6_7024
; %bb.7017:                             ;   in Loop: Header=BB6_4748 Depth=3
	v_lshrrev_b32_e32 v0, 24, v15
	v_cmp_ne_u32_e32 vcc, s44, v0
	v_bfrev_b32_e32 v4, 1
	s_and_saveexec_b64 s[30:31], vcc
	s_cbranch_execz .LBB6_7023
; %bb.7018:                             ;   in Loop: Header=BB6_4748 Depth=3
	v_and_b32_e32 v4, 0x7c000000, v15
	v_bfe_u32 v5, v15, 24, 2
	v_cmp_ne_u32_e32 vcc, s8, v4
                                        ; implicit-def: $vgpr4
	s_and_saveexec_b64 s[34:35], vcc
	s_xor_b64 s[34:35], exec, s[34:35]
	s_cbranch_execz .LBB6_7020
; %bb.7019:                             ;   in Loop: Header=BB6_4748 Depth=3
	v_ffbh_u32_e32 v14, v5
	v_min_u32_e32 v14, 32, v14
	v_subrev_u32_e32 v32, 29, v14
	v_lshlrev_b64 v[32:33], v32, v[0:1]
	v_bfe_u32 v4, v15, 26, 5
	v_sub_u32_e32 v0, 30, v14
	v_and_b32_e32 v14, 3, v32
	v_cmp_eq_u32_e32 vcc, 0, v4
	v_cndmask_b32_e32 v0, v4, v0, vcc
	v_cndmask_b32_e32 v4, v5, v14, vcc
	v_and_b32_e32 v5, 0x80000000, v15
	v_lshl_add_u32 v0, v0, 23, v5
	v_lshl_or_b32 v0, v4, 21, v0
	v_add_u32_e32 v4, 0x38000000, v0
                                        ; implicit-def: $vgpr5
                                        ; implicit-def: $vgpr14_vgpr15
.LBB6_7020:                             ;   in Loop: Header=BB6_4748 Depth=3
	s_andn2_saveexec_b64 s[34:35], s[34:35]
; %bb.7021:                             ;   in Loop: Header=BB6_4748 Depth=3
	v_cmp_lt_i64_e32 vcc, -1, v[14:15]
	v_mov_b32_e32 v0, 0xff800000
	v_mov_b32_e32 v4, 0x7f800000
	v_cndmask_b32_e32 v0, v0, v4, vcc
	v_cmp_eq_u32_e32 vcc, 0, v5
	v_mov_b32_e32 v4, 0x7f800001
	v_cndmask_b32_e32 v4, v4, v0, vcc
; %bb.7022:                             ;   in Loop: Header=BB6_4748 Depth=3
	s_or_b64 exec, exec, s[34:35]
.LBB6_7023:                             ;   in Loop: Header=BB6_4748 Depth=3
	s_or_b64 exec, exec, s[30:31]
.LBB6_7024:                             ;   in Loop: Header=BB6_4748 Depth=3
	s_or_b64 exec, exec, s[28:29]
	v_cmp_lt_u64_e32 vcc, s[56:57], v[10:11]
	s_and_saveexec_b64 s[28:29], vcc
	s_cbranch_execz .LBB6_7032
; %bb.7025:                             ;   in Loop: Header=BB6_4748 Depth=3
	v_lshrrev_b32_e32 v0, 24, v11
	v_cmp_ne_u32_e32 vcc, s44, v0
	v_bfrev_b32_e32 v3, 1
	s_and_saveexec_b64 s[30:31], vcc
	s_cbranch_execz .LBB6_7031
; %bb.7026:                             ;   in Loop: Header=BB6_4748 Depth=3
	v_and_b32_e32 v3, 0x7c000000, v11
	v_bfe_u32 v5, v11, 24, 2
	v_cmp_ne_u32_e32 vcc, s8, v3
                                        ; implicit-def: $vgpr3
	s_and_saveexec_b64 s[34:35], vcc
	s_xor_b64 s[34:35], exec, s[34:35]
	s_cbranch_execz .LBB6_7028
; %bb.7027:                             ;   in Loop: Header=BB6_4748 Depth=3
	v_ffbh_u32_e32 v10, v5
	v_min_u32_e32 v10, 32, v10
	v_subrev_u32_e32 v14, 29, v10
	v_lshlrev_b64 v[14:15], v14, v[0:1]
	v_bfe_u32 v3, v11, 26, 5
	v_sub_u32_e32 v0, 30, v10
	v_and_b32_e32 v10, 3, v14
	v_cmp_eq_u32_e32 vcc, 0, v3
	v_cndmask_b32_e32 v0, v3, v0, vcc
	v_cndmask_b32_e32 v3, v5, v10, vcc
	v_and_b32_e32 v5, 0x80000000, v11
	v_lshl_add_u32 v0, v0, 23, v5
	v_lshl_or_b32 v0, v3, 21, v0
	v_add_u32_e32 v3, 0x38000000, v0
                                        ; implicit-def: $vgpr5
                                        ; implicit-def: $vgpr10_vgpr11
.LBB6_7028:                             ;   in Loop: Header=BB6_4748 Depth=3
	s_andn2_saveexec_b64 s[34:35], s[34:35]
; %bb.7029:                             ;   in Loop: Header=BB6_4748 Depth=3
	v_cmp_lt_i64_e32 vcc, -1, v[10:11]
	v_mov_b32_e32 v0, 0xff800000
	v_mov_b32_e32 v3, 0x7f800000
	v_cndmask_b32_e32 v0, v0, v3, vcc
	v_cmp_eq_u32_e32 vcc, 0, v5
	v_mov_b32_e32 v3, 0x7f800001
	v_cndmask_b32_e32 v3, v3, v0, vcc
; %bb.7030:                             ;   in Loop: Header=BB6_4748 Depth=3
	s_or_b64 exec, exec, s[34:35]
.LBB6_7031:                             ;   in Loop: Header=BB6_4748 Depth=3
	s_or_b64 exec, exec, s[30:31]
.LBB6_7032:                             ;   in Loop: Header=BB6_4748 Depth=3
	s_or_b64 exec, exec, s[28:29]
	v_mul_f32_e32 v5, v4, v3
	v_and_b32_e32 v10, 0x7f800000, v5
	v_mov_b32_e32 v11, v34
	v_cmp_ne_u64_e32 vcc, s[76:77], v[10:11]
	v_and_b32_e32 v3, 0x7fffff, v5
	v_mov_b32_e32 v4, v34
                                        ; implicit-def: $vgpr0
	s_and_saveexec_b64 s[28:29], vcc
	s_xor_b64 s[30:31], exec, s[28:29]
	s_cbranch_execz .LBB6_7046
; %bb.7033:                             ;   in Loop: Header=BB6_4748 Depth=3
	v_and_b32_e32 v10, 0x7fffffff, v5
	v_mov_b32_e32 v11, v34
	v_cmp_gt_u64_e32 vcc, s[78:79], v[10:11]
	v_and_b32_sdwa v10, v5, s44 dst_sel:DWORD dst_unused:UNUSED_PAD src0_sel:BYTE_3 src1_sel:DWORD
                                        ; implicit-def: $vgpr0
	s_and_saveexec_b64 s[28:29], vcc
	s_xor_b64 s[34:35], exec, s[28:29]
	s_cbranch_execz .LBB6_7043
; %bb.7034:                             ;   in Loop: Header=BB6_4748 Depth=3
	v_mov_b32_e32 v0, 0
	v_cmp_ne_u32_e32 vcc, 0, v5
	s_and_saveexec_b64 s[36:37], vcc
	s_cbranch_execz .LBB6_7042
; %bb.7035:                             ;   in Loop: Header=BB6_4748 Depth=3
	v_bfe_u32 v0, v5, 23, 8
	v_cmp_gt_u32_e64 s[28:29], s45, v0
	v_sub_u32_e32 v5, 0x71, v0
	v_cmp_eq_u32_e32 vcc, 0, v0
	v_cndmask_b32_e64 v5, 0, v5, s[28:29]
	v_mov_b32_e32 v11, 0x70
	v_cndmask_b32_e32 v11, v5, v11, vcc
	v_or_b32_e32 v14, 0x800000, v3
	v_add_u32_e32 v5, 21, v11
	v_cndmask_b32_e32 v3, v14, v3, vcc
	v_lshlrev_b64 v[14:15], v5, -1
	v_add_u32_e32 v5, 20, v11
	v_bfi_b32 v14, v14, 0, v3
	v_lshlrev_b64 v[32:33], v5, 1
	v_lshrrev_b64 v[3:4], v11, v[3:4]
	v_bfi_b32 v15, v15, 0, 0
	v_cmp_eq_u64_e64 s[28:29], v[14:15], v[32:33]
	v_mov_b32_e32 v5, v4
	v_mov_b32_e32 v4, v3
	s_and_saveexec_b64 s[38:39], s[28:29]
; %bb.7036:                             ;   in Loop: Header=BB6_4748 Depth=3
	v_bfe_u32 v4, v3, 21, 1
	v_add_co_u32_e64 v4, s[28:29], v3, v4
	v_add_co_u32_e64 v4, s[28:29], -1, v4
; %bb.7037:                             ;   in Loop: Header=BB6_4748 Depth=3
	s_or_b64 exec, exec, s[38:39]
	v_add_u32_e32 v0, 0xffffff81, v0
	v_mov_b32_e32 v5, 0xffffff82
	v_cndmask_b32_e32 v0, v0, v5, vcc
	v_lshrrev_b32_e32 v5, 23, v3
	v_add3_u32 v11, v11, v0, v5
	v_add_u32_e32 v5, 14, v11
	v_and_b32_e32 v0, 0x1fffff, v4
	v_add_u32_e32 v3, v0, v3
	v_mov_b32_e32 v4, v34
	v_cmp_ne_u32_e32 vcc, 0, v5
                                        ; implicit-def: $vgpr0
	s_and_saveexec_b64 s[28:29], vcc
	s_xor_b64 s[28:29], exec, s[28:29]
; %bb.7038:                             ;   in Loop: Header=BB6_4748 Depth=3
	v_cmp_lt_u64_e32 vcc, s[88:89], v[3:4]
	v_add_u32_e32 v0, 15, v11
	v_cndmask_b32_e32 v0, v5, v0, vcc
	v_cndmask_b32_e64 v5, 0, 1, vcc
	v_lshrrev_b64 v[3:4], v5, v[3:4]
; %bb.7039:                             ;   in Loop: Header=BB6_4748 Depth=3
	s_andn2_saveexec_b64 s[28:29], s[28:29]
; %bb.7040:                             ;   in Loop: Header=BB6_4748 Depth=3
	v_bfe_u32 v0, v3, 23, 1
; %bb.7041:                             ;   in Loop: Header=BB6_4748 Depth=3
	s_or_b64 exec, exec, s[28:29]
	v_lshrrev_b64 v[3:4], 21, v[3:4]
	v_cmp_gt_i32_e32 vcc, 32, v0
	v_cndmask_b32_e32 v4, 0, v4, vcc
	v_cndmask_b32_e32 v3, 3, v3, vcc
	v_cmp_eq_u32_e32 vcc, 0, v0
	v_min_i32_e32 v0, 31, v0
	v_cmp_eq_u64_e64 s[28:29], 0, v[3:4]
	v_lshlrev_b32_e32 v0, 2, v0
	v_and_b32_e32 v0, 0xfc, v0
	v_and_or_b32 v0, v3, 3, v0
	s_and_b64 s[28:29], vcc, s[28:29]
	v_cndmask_b32_e64 v0, v0, 0, s[28:29]
	v_or_b32_e32 v0, v0, v10
.LBB6_7042:                             ;   in Loop: Header=BB6_4748 Depth=3
	s_or_b64 exec, exec, s[36:37]
                                        ; implicit-def: $vgpr10
.LBB6_7043:                             ;   in Loop: Header=BB6_4748 Depth=3
	s_andn2_saveexec_b64 s[28:29], s[34:35]
; %bb.7044:                             ;   in Loop: Header=BB6_4748 Depth=3
	v_or_b32_e32 v0, 0x7b, v10
; %bb.7045:                             ;   in Loop: Header=BB6_4748 Depth=3
	s_or_b64 exec, exec, s[28:29]
                                        ; implicit-def: $vgpr5
                                        ; implicit-def: $vgpr3_vgpr4
.LBB6_7046:                             ;   in Loop: Header=BB6_4748 Depth=3
	s_andn2_saveexec_b64 s[28:29], s[30:31]
	s_cbranch_execz .LBB6_4747
; %bb.7047:                             ;   in Loop: Header=BB6_4748 Depth=3
	v_cmp_ne_u64_e32 vcc, 0, v[3:4]
                                        ; implicit-def: $vgpr0
	s_and_saveexec_b64 s[30:31], vcc
	s_xor_b64 vcc, exec, s[30:31]
; %bb.7048:                             ;   in Loop: Header=BB6_4748 Depth=3
	v_or_b32_sdwa v0, v5, s83 dst_sel:DWORD dst_unused:UNUSED_PAD src0_sel:BYTE_3 src1_sel:DWORD
                                        ; implicit-def: $vgpr5
; %bb.7049:                             ;   in Loop: Header=BB6_4748 Depth=3
	s_andn2_saveexec_b64 s[30:31], vcc
	s_cbranch_execz .LBB6_4746
; %bb.7050:                             ;   in Loop: Header=BB6_4748 Depth=3
	v_cmp_lt_i32_e32 vcc, -1, v5
	v_bfrev_b32_e32 v0, 0.5
	v_mov_b32_e32 v3, 0x7c
	v_cndmask_b32_e32 v0, v0, v3, vcc
	s_branch .LBB6_4746
.LBB6_7051:                             ;   in Loop: Header=BB6_4663 Depth=2
	s_or_b64 exec, exec, s[42:43]
	buffer_load_dword v58, off, s[0:3], s33 offset:440 ; 4-byte Folded Reload
	buffer_load_dword v52, off, s[0:3], s33 offset:392 ; 4-byte Folded Reload
	;; [unrolled: 1-line block ×4, first 2 shown]
.LBB6_7052:                             ;   in Loop: Header=BB6_4663 Depth=2
	s_or_b64 exec, exec, s[40:41]
	buffer_load_dword v0, off, s[0:3], s33 offset:432 ; 4-byte Folded Reload
	s_waitcnt vmcnt(1)
	v_lshlrev_b32_e32 v20, 12, v1
	s_mov_b64 s[28:29], 0
	v_mov_b32_e32 v5, 0
                                        ; implicit-def: $vgpr6
                                        ; implicit-def: $vgpr8
                                        ; implicit-def: $vgpr1
	s_waitcnt vmcnt(0)
	v_cmp_ne_u32_e32 vcc, v0, v20
	s_and_saveexec_b64 s[30:31], vcc
	s_cbranch_execz .LBB6_7606
; %bb.7053:                             ;   in Loop: Header=BB6_4663 Depth=2
	buffer_load_dword v0, off, s[0:3], s33 offset:432 ; 4-byte Folded Reload
	buffer_load_dword v2, off, s[0:3], s33 offset:460 ; 4-byte Folded Reload
	s_waitcnt vmcnt(1)
	v_sub_u32_e32 v1, v0, v20
	v_lshlrev_b32_e32 v0, 6, v7
	s_waitcnt vmcnt(0)
	v_sub_u32_e32 v0, v2, v0
	v_ashrrev_i32_e32 v2, 31, v0
	v_lshrrev_b32_e32 v2, 26, v2
	v_add_u32_e32 v2, v0, v2
	v_ashrrev_i32_e32 v3, 6, v2
	v_and_b32_e32 v2, 0xffffffc0, v2
	v_sub_u32_e32 v21, v0, v2
	v_ashrrev_i32_e32 v2, 31, v1
	v_lshrrev_b32_e32 v2, 22, v2
	v_add_u32_e32 v2, v1, v2
	v_and_b32_e32 v22, 0xfffffc00, v2
	v_lshlrev_b32_e32 v0, 4, v21
	v_sub_u32_e32 v24, v1, v22
	v_lshl_add_u32 v0, v3, 10, v0
	v_ashrrev_i32_e32 v4, 10, v2
	v_cmp_lt_i32_e64 s[28:29], 15, v24
	v_sub_u32_e32 v25, v1, v0
	v_addc_co_u32_e64 v1, vcc, 0, v4, s[28:29]
	v_sub_u32_e32 v23, v1, v3
	v_cmp_lt_i32_e32 vcc, 15, v25
	s_and_saveexec_b64 s[34:35], vcc
	s_cbranch_execz .LBB6_7603
; %bb.7054:                             ;   in Loop: Header=BB6_4663 Depth=2
	buffer_load_dword v1, off, s[0:3], s33 offset:444 ; 4-byte Folded Reload
	buffer_load_dword v2, off, s[0:3], s33 offset:448 ; 4-byte Folded Reload
	v_add_u32_e32 v0, v0, v20
	v_ashrrev_i32_e32 v5, 31, v0
	s_trap 2
	ds_read_b64 v[3:4], v0
	s_mov_b64 s[36:37], 0
	s_waitcnt vmcnt(1)
	v_add_co_u32_e32 v26, vcc, v0, v1
	s_waitcnt vmcnt(0)
	v_addc_co_u32_e32 v27, vcc, v5, v2, vcc
	buffer_load_dword v1, off, s[0:3], s33 offset:452 ; 4-byte Folded Reload
	buffer_load_dword v2, off, s[0:3], s33 offset:456 ; 4-byte Folded Reload
	v_add_co_u32_e32 v28, vcc, v0, v52
	v_addc_co_u32_e32 v29, vcc, v5, v53, vcc
	s_waitcnt vmcnt(1)
	v_add_co_u32_e32 v1, vcc, v0, v1
	s_waitcnt vmcnt(0)
	v_addc_co_u32_e32 v2, vcc, v5, v2, vcc
	s_waitcnt lgkmcnt(0)
	v_add_co_u32_e32 v16, vcc, v3, v0
	v_addc_co_u32_e32 v17, vcc, v4, v5, vcc
.LBB6_7055:                             ;   Parent Loop BB6_47 Depth=1
                                        ;     Parent Loop BB6_4663 Depth=2
                                        ; =>    This Loop Header: Depth=3
                                        ;         Child Loop BB6_7580 Depth 4
	global_load_dwordx4 v[12:15], v[1:2], off glc slc
	global_load_dwordx4 v[8:11], v[16:17], off glc slc
	v_mov_b32_e32 v0, 0
	s_waitcnt vmcnt(1)
	v_cmp_ne_u16_sdwa s[42:43], v12, v34 src0_sel:BYTE_0 src1_sel:DWORD
	s_and_saveexec_b64 s[40:41], s[42:43]
	s_cbranch_execz .LBB6_7063
; %bb.7056:                             ;   in Loop: Header=BB6_7055 Depth=3
	v_cmp_ne_u16_sdwa vcc, sext(v12), s80 src0_sel:BYTE_0 src1_sel:DWORD
	v_bfrev_b32_e32 v0, 1
	s_and_saveexec_b64 s[42:43], vcc
	s_cbranch_execz .LBB6_7062
; %bb.7057:                             ;   in Loop: Header=BB6_7055 Depth=3
	v_and_b32_e32 v0, 0x7c, v12
	v_and_b32_e32 v3, 3, v12
	v_cmp_ne_u32_e32 vcc, s81, v0
                                        ; implicit-def: $vgpr0
	s_and_saveexec_b64 s[38:39], vcc
	s_xor_b64 s[38:39], exec, s[38:39]
	s_cbranch_execz .LBB6_7059
; %bb.7058:                             ;   in Loop: Header=BB6_7055 Depth=3
	v_ffbh_u32_e32 v4, v3
	v_min_u32_e32 v6, 32, v4
	v_subrev_u32_e32 v4, 29, v6
	v_lshlrev_b64 v[4:5], v4, v[12:13]
	v_bfe_u32 v0, v12, 2, 5
	v_and_b32_e32 v4, 3, v4
	v_cmp_eq_u32_e32 vcc, 0, v0
	v_sub_u32_e32 v5, 30, v6
	v_cndmask_b32_e32 v3, v3, v4, vcc
	v_lshlrev_b32_e32 v4, 24, v12
	v_cndmask_b32_e32 v0, v0, v5, vcc
	v_and_b32_e32 v4, 0x80000000, v4
	v_lshl_add_u32 v0, v0, 23, v4
	v_lshl_or_b32 v0, v3, 21, v0
	v_add_u32_e32 v0, 0x38000000, v0
                                        ; implicit-def: $vgpr3
.LBB6_7059:                             ;   in Loop: Header=BB6_7055 Depth=3
	s_andn2_saveexec_b64 s[38:39], s[38:39]
; %bb.7060:                             ;   in Loop: Header=BB6_7055 Depth=3
	v_mov_b32_e32 v0, -1
	v_cmp_gt_i16_sdwa vcc, sext(v12), v0 src0_sel:BYTE_0 src1_sel:DWORD
	v_mov_b32_e32 v0, 0xff800000
	v_mov_b32_e32 v4, 0x7f800000
	v_cndmask_b32_e32 v0, v0, v4, vcc
	v_cmp_eq_u32_e32 vcc, 0, v3
	v_mov_b32_e32 v3, 0x7f800001
	v_cndmask_b32_e32 v0, v3, v0, vcc
; %bb.7061:                             ;   in Loop: Header=BB6_7055 Depth=3
	s_or_b64 exec, exec, s[38:39]
.LBB6_7062:                             ;   in Loop: Header=BB6_7055 Depth=3
	s_or_b64 exec, exec, s[42:43]
.LBB6_7063:                             ;   in Loop: Header=BB6_7055 Depth=3
	s_or_b64 exec, exec, s[40:41]
	s_waitcnt vmcnt(0)
	v_cmp_gt_i16_sdwa s[42:43], v8, s83 src0_sel:BYTE_0 src1_sel:DWORD
	s_mov_b64 s[40:41], 0
	s_and_saveexec_b64 vcc, s[42:43]
	s_xor_b64 s[42:43], exec, vcc
	s_cbranch_execz .LBB6_7582
; %bb.7064:                             ;   in Loop: Header=BB6_7055 Depth=3
	v_cmp_eq_u16_sdwa s[38:39], v8, s44 src0_sel:BYTE_0 src1_sel:DWORD
	s_mov_b64 s[40:41], -1
	s_and_saveexec_b64 vcc, s[38:39]
; %bb.7065:                             ;   in Loop: Header=BB6_7055 Depth=3
	s_xor_b64 s[40:41], exec, -1
; %bb.7066:                             ;   in Loop: Header=BB6_7055 Depth=3
	s_or_b64 exec, exec, vcc
	s_and_b64 s[40:41], s[40:41], exec
	s_or_saveexec_b64 s[42:43], s[42:43]
	v_bfrev_b32_e32 v3, 1
	s_xor_b64 exec, exec, s[42:43]
	s_cbranch_execnz .LBB6_7583
.LBB6_7067:                             ;   in Loop: Header=BB6_7055 Depth=3
	s_or_b64 exec, exec, s[42:43]
	s_and_saveexec_b64 s[38:39], s[40:41]
	s_cbranch_execz .LBB6_7069
.LBB6_7068:                             ;   in Loop: Header=BB6_7055 Depth=3
	v_and_b32_e32 v5, 3, v8
	v_and_b32_e32 v3, 0x7c, v8
	v_cmp_eq_u32_e32 vcc, s81, v3
	v_ffbh_u32_e32 v3, v5
	v_min_u32_e32 v7, 32, v3
	v_subrev_u32_e32 v3, 29, v7
	v_bfe_u32 v6, v8, 2, 5
	v_lshlrev_b64 v[3:4], v3, v[8:9]
	v_cmp_eq_u32_e64 s[40:41], 0, v6
	v_sub_u32_e32 v4, 30, v7
	v_cndmask_b32_e64 v4, v6, v4, s[40:41]
	v_lshlrev_b32_e32 v6, 24, v8
	v_and_b32_e32 v3, 3, v3
	v_and_b32_e32 v6, 0x80000000, v6
	v_cndmask_b32_e64 v3, v5, v3, s[40:41]
	v_lshl_add_u32 v4, v4, 23, v6
	v_lshl_or_b32 v3, v3, 21, v4
	v_mov_b32_e32 v4, -1
	v_cmp_eq_u32_e64 s[40:41], 0, v5
	v_cmp_gt_i16_sdwa s[42:43], sext(v8), v4 src0_sel:BYTE_0 src1_sel:DWORD
	v_mov_b32_e32 v4, 0xff800000
	v_mov_b32_e32 v5, 0x7f800000
	v_cndmask_b32_e64 v4, v4, v5, s[42:43]
	v_mov_b32_e32 v5, 0x7f800001
	v_add_u32_e32 v3, 0x38000000, v3
	v_cndmask_b32_e64 v4, v5, v4, s[40:41]
	v_cndmask_b32_e32 v3, v3, v4, vcc
.LBB6_7069:                             ;   in Loop: Header=BB6_7055 Depth=3
	s_or_b64 exec, exec, s[38:39]
	v_mul_f32_e32 v5, v0, v3
	v_and_b32_e32 v6, 0x7f800000, v5
	v_mov_b32_e32 v7, v34
	v_cmp_ne_u64_e32 vcc, s[76:77], v[6:7]
	v_and_b32_e32 v3, 0x7fffff, v5
	v_mov_b32_e32 v4, v34
                                        ; implicit-def: $vgpr30
	s_and_saveexec_b64 s[40:41], vcc
	s_xor_b64 s[42:43], exec, s[40:41]
	s_cbranch_execz .LBB6_7083
; %bb.7070:                             ;   in Loop: Header=BB6_7055 Depth=3
	v_and_b32_e32 v6, 0x7fffffff, v5
	v_mov_b32_e32 v7, v34
	v_cmp_gt_u64_e32 vcc, s[78:79], v[6:7]
	v_and_b32_sdwa v0, v5, s44 dst_sel:DWORD dst_unused:UNUSED_PAD src0_sel:BYTE_3 src1_sel:DWORD
                                        ; implicit-def: $vgpr30
	s_and_saveexec_b64 s[40:41], vcc
	s_xor_b64 s[38:39], exec, s[40:41]
	s_cbranch_execz .LBB6_7080
; %bb.7071:                             ;   in Loop: Header=BB6_7055 Depth=3
	v_mov_b32_e32 v30, 0
	v_cmp_ne_u32_e32 vcc, 0, v5
	s_and_saveexec_b64 s[48:49], vcc
	s_cbranch_execz .LBB6_7079
; %bb.7072:                             ;   in Loop: Header=BB6_7055 Depth=3
	v_bfe_u32 v6, v5, 23, 8
	v_cmp_gt_u32_e64 s[40:41], s45, v6
	v_sub_u32_e32 v5, 0x71, v6
	v_cmp_eq_u32_e32 vcc, 0, v6
	v_cndmask_b32_e64 v5, 0, v5, s[40:41]
	v_mov_b32_e32 v7, 0x70
	v_cndmask_b32_e32 v7, v5, v7, vcc
	v_or_b32_e32 v18, 0x800000, v3
	v_add_u32_e32 v5, 21, v7
	v_cndmask_b32_e32 v3, v18, v3, vcc
	v_lshlrev_b64 v[18:19], v5, -1
	v_add_u32_e32 v5, 20, v7
	v_bfi_b32 v18, v18, 0, v3
	v_lshlrev_b64 v[30:31], v5, 1
	v_lshrrev_b64 v[3:4], v7, v[3:4]
	v_bfi_b32 v19, v19, 0, 0
	v_cmp_eq_u64_e64 s[40:41], v[18:19], v[30:31]
	v_mov_b32_e32 v5, v4
	v_mov_b32_e32 v4, v3
	s_and_saveexec_b64 s[50:51], s[40:41]
; %bb.7073:                             ;   in Loop: Header=BB6_7055 Depth=3
	v_bfe_u32 v4, v3, 21, 1
	v_add_co_u32_e64 v4, s[40:41], v3, v4
	v_add_co_u32_e64 v4, s[40:41], -1, v4
; %bb.7074:                             ;   in Loop: Header=BB6_7055 Depth=3
	s_or_b64 exec, exec, s[50:51]
	v_add_u32_e32 v5, 0xffffff81, v6
	v_mov_b32_e32 v6, 0xffffff82
	v_cndmask_b32_e32 v5, v5, v6, vcc
	v_lshrrev_b32_e32 v6, 23, v3
	v_add3_u32 v7, v7, v5, v6
	v_add_u32_e32 v6, 14, v7
	v_and_b32_e32 v4, 0x1fffff, v4
	v_add_u32_e32 v3, v4, v3
	v_mov_b32_e32 v4, v34
	v_cmp_ne_u32_e32 vcc, 0, v6
                                        ; implicit-def: $vgpr5
	s_and_saveexec_b64 s[40:41], vcc
	s_xor_b64 s[40:41], exec, s[40:41]
; %bb.7075:                             ;   in Loop: Header=BB6_7055 Depth=3
	v_cmp_lt_u64_e32 vcc, s[88:89], v[3:4]
	v_add_u32_e32 v5, 15, v7
	v_cndmask_b32_e32 v5, v6, v5, vcc
	v_cndmask_b32_e64 v6, 0, 1, vcc
	v_lshrrev_b64 v[3:4], v6, v[3:4]
; %bb.7076:                             ;   in Loop: Header=BB6_7055 Depth=3
	s_andn2_saveexec_b64 s[40:41], s[40:41]
; %bb.7077:                             ;   in Loop: Header=BB6_7055 Depth=3
	v_bfe_u32 v5, v3, 23, 1
; %bb.7078:                             ;   in Loop: Header=BB6_7055 Depth=3
	s_or_b64 exec, exec, s[40:41]
	v_lshrrev_b64 v[3:4], 21, v[3:4]
	v_cmp_gt_i32_e32 vcc, 32, v5
	v_cndmask_b32_e32 v4, 0, v4, vcc
	v_cndmask_b32_e32 v3, 3, v3, vcc
	v_cmp_eq_u64_e64 s[40:41], 0, v[3:4]
	v_min_i32_e32 v4, 31, v5
	v_lshlrev_b32_e32 v4, 2, v4
	v_cmp_eq_u32_e32 vcc, 0, v5
	v_and_b32_e32 v4, 0xfc, v4
	v_and_or_b32 v3, v3, 3, v4
	s_and_b64 s[40:41], vcc, s[40:41]
	v_cndmask_b32_e64 v3, v3, 0, s[40:41]
	v_or_b32_e32 v30, v3, v0
.LBB6_7079:                             ;   in Loop: Header=BB6_7055 Depth=3
	s_or_b64 exec, exec, s[48:49]
                                        ; implicit-def: $vgpr0
.LBB6_7080:                             ;   in Loop: Header=BB6_7055 Depth=3
	s_andn2_saveexec_b64 s[40:41], s[38:39]
; %bb.7081:                             ;   in Loop: Header=BB6_7055 Depth=3
	v_or_b32_e32 v30, 0x7b, v0
; %bb.7082:                             ;   in Loop: Header=BB6_7055 Depth=3
	s_or_b64 exec, exec, s[40:41]
                                        ; implicit-def: $vgpr5
                                        ; implicit-def: $vgpr3_vgpr4
.LBB6_7083:                             ;   in Loop: Header=BB6_7055 Depth=3
	s_andn2_saveexec_b64 s[40:41], s[42:43]
	s_cbranch_execz .LBB6_7089
; %bb.7084:                             ;   in Loop: Header=BB6_7055 Depth=3
	v_cmp_ne_u64_e32 vcc, 0, v[3:4]
                                        ; implicit-def: $vgpr30
	s_and_saveexec_b64 s[42:43], vcc
	s_xor_b64 s[42:43], exec, s[42:43]
; %bb.7085:                             ;   in Loop: Header=BB6_7055 Depth=3
	v_or_b32_sdwa v30, v5, s83 dst_sel:DWORD dst_unused:UNUSED_PAD src0_sel:BYTE_3 src1_sel:DWORD
                                        ; implicit-def: $vgpr5
; %bb.7086:                             ;   in Loop: Header=BB6_7055 Depth=3
	s_andn2_saveexec_b64 s[42:43], s[42:43]
; %bb.7087:                             ;   in Loop: Header=BB6_7055 Depth=3
	v_cmp_lt_i32_e32 vcc, -1, v5
	v_bfrev_b32_e32 v0, 0.5
	v_mov_b32_e32 v3, 0x7c
	v_cndmask_b32_e32 v30, v0, v3, vcc
; %bb.7088:                             ;   in Loop: Header=BB6_7055 Depth=3
	s_or_b64 exec, exec, s[42:43]
.LBB6_7089:                             ;   in Loop: Header=BB6_7055 Depth=3
	s_or_b64 exec, exec, s[40:41]
	v_lshrrev_b16_e32 v3, 8, v12
	v_cmp_ne_u16_e32 vcc, 0, v3
	v_mov_b32_e32 v0, 0
	s_and_saveexec_b64 s[40:41], vcc
	s_cbranch_execz .LBB6_7097
; %bb.7090:                             ;   in Loop: Header=BB6_7055 Depth=3
	v_cmp_ne_u16_e32 vcc, s44, v3
	v_bfrev_b32_e32 v0, 1
	s_and_saveexec_b64 s[42:43], vcc
	s_cbranch_execz .LBB6_7096
; %bb.7091:                             ;   in Loop: Header=BB6_7055 Depth=3
	v_and_b32_e32 v0, 0x7c, v3
	v_and_b32_e32 v5, 3, v3
	v_cmp_ne_u32_e32 vcc, s81, v0
                                        ; implicit-def: $vgpr0
	s_and_saveexec_b64 s[38:39], vcc
	s_xor_b64 s[38:39], exec, s[38:39]
	s_cbranch_execz .LBB6_7093
; %bb.7092:                             ;   in Loop: Header=BB6_7055 Depth=3
	v_ffbh_u32_e32 v6, v5
	v_min_u32_e32 v6, 32, v6
	v_mov_b32_e32 v4, v34
	v_subrev_u32_e32 v7, 29, v6
	v_bfe_u32 v0, v3, 2, 5
	v_lshlrev_b64 v[3:4], v7, v[3:4]
	v_sub_u32_e32 v4, 30, v6
	v_cmp_eq_u32_e32 vcc, 0, v0
	v_cndmask_b32_e32 v0, v0, v4, vcc
	v_lshlrev_b32_e32 v4, 16, v12
	v_and_b32_e32 v3, 3, v3
	v_and_b32_e32 v4, 0x80000000, v4
	v_cndmask_b32_e32 v3, v5, v3, vcc
	v_lshl_add_u32 v0, v0, 23, v4
	v_lshl_or_b32 v0, v3, 21, v0
	v_add_u32_e32 v0, 0x38000000, v0
                                        ; implicit-def: $vgpr5
.LBB6_7093:                             ;   in Loop: Header=BB6_7055 Depth=3
	s_andn2_saveexec_b64 s[38:39], s[38:39]
; %bb.7094:                             ;   in Loop: Header=BB6_7055 Depth=3
	v_cmp_lt_i16_e32 vcc, -1, v12
	v_mov_b32_e32 v0, 0xff800000
	v_mov_b32_e32 v3, 0x7f800000
	v_cndmask_b32_e32 v0, v0, v3, vcc
	v_cmp_eq_u32_e32 vcc, 0, v5
	v_mov_b32_e32 v3, 0x7f800001
	v_cndmask_b32_e32 v0, v3, v0, vcc
; %bb.7095:                             ;   in Loop: Header=BB6_7055 Depth=3
	s_or_b64 exec, exec, s[38:39]
.LBB6_7096:                             ;   in Loop: Header=BB6_7055 Depth=3
	s_or_b64 exec, exec, s[42:43]
.LBB6_7097:                             ;   in Loop: Header=BB6_7055 Depth=3
	s_or_b64 exec, exec, s[40:41]
	v_lshrrev_b16_e32 v3, 8, v8
	v_cmp_lt_i16_e32 vcc, s83, v3
	s_mov_b64 s[40:41], 0
	s_and_saveexec_b64 s[42:43], vcc
	s_xor_b64 s[42:43], exec, s[42:43]
	s_cbranch_execz .LBB6_7584
; %bb.7098:                             ;   in Loop: Header=BB6_7055 Depth=3
	v_cmp_eq_u16_e32 vcc, s44, v3
	s_mov_b64 s[40:41], -1
	s_and_saveexec_b64 s[38:39], vcc
; %bb.7099:                             ;   in Loop: Header=BB6_7055 Depth=3
	s_xor_b64 s[40:41], exec, -1
; %bb.7100:                             ;   in Loop: Header=BB6_7055 Depth=3
	s_or_b64 exec, exec, s[38:39]
	s_and_b64 s[40:41], s[40:41], exec
	s_or_saveexec_b64 s[42:43], s[42:43]
	v_bfrev_b32_e32 v4, 1
	s_xor_b64 exec, exec, s[42:43]
	s_cbranch_execnz .LBB6_7585
.LBB6_7101:                             ;   in Loop: Header=BB6_7055 Depth=3
	s_or_b64 exec, exec, s[42:43]
	s_and_saveexec_b64 s[38:39], s[40:41]
	s_cbranch_execz .LBB6_7103
.LBB6_7102:                             ;   in Loop: Header=BB6_7055 Depth=3
	v_and_b32_e32 v6, 3, v3
	v_and_b32_e32 v5, 0x7c, v3
	v_cmp_eq_u32_e32 vcc, s81, v5
	v_ffbh_u32_e32 v5, v6
	v_min_u32_e32 v18, 32, v5
	v_mov_b32_e32 v4, v34
	v_subrev_u32_e32 v5, 29, v18
	v_bfe_u32 v7, v3, 2, 5
	v_lshlrev_b64 v[4:5], v5, v[3:4]
	v_cmp_eq_u32_e64 s[40:41], 0, v7
	v_sub_u32_e32 v5, 30, v18
	v_lshlrev_b32_e32 v3, 24, v3
	v_and_b32_e32 v4, 3, v4
	v_cndmask_b32_e64 v5, v7, v5, s[40:41]
	v_and_b32_e32 v3, 0x80000000, v3
	v_cndmask_b32_e64 v4, v6, v4, s[40:41]
	v_lshl_add_u32 v3, v5, 23, v3
	v_lshl_or_b32 v3, v4, 21, v3
	v_cmp_lt_i16_e64 s[42:43], -1, v8
	v_mov_b32_e32 v4, 0xff800000
	v_mov_b32_e32 v5, 0x7f800000
	v_cmp_eq_u32_e64 s[40:41], 0, v6
	v_cndmask_b32_e64 v4, v4, v5, s[42:43]
	v_mov_b32_e32 v5, 0x7f800001
	v_add_u32_e32 v3, 0x38000000, v3
	v_cndmask_b32_e64 v4, v5, v4, s[40:41]
	v_cndmask_b32_e32 v4, v3, v4, vcc
.LBB6_7103:                             ;   in Loop: Header=BB6_7055 Depth=3
	s_or_b64 exec, exec, s[38:39]
	v_mul_f32_e32 v5, v0, v4
	v_and_b32_e32 v6, 0x7f800000, v5
	v_mov_b32_e32 v7, v34
	v_cmp_ne_u64_e32 vcc, s[76:77], v[6:7]
	v_and_b32_e32 v3, 0x7fffff, v5
	v_mov_b32_e32 v4, v34
                                        ; implicit-def: $vgpr31
	s_and_saveexec_b64 s[40:41], vcc
	s_xor_b64 s[42:43], exec, s[40:41]
	s_cbranch_execz .LBB6_7117
; %bb.7104:                             ;   in Loop: Header=BB6_7055 Depth=3
	v_and_b32_e32 v6, 0x7fffffff, v5
	v_mov_b32_e32 v7, v34
	v_cmp_gt_u64_e32 vcc, s[78:79], v[6:7]
	v_and_b32_sdwa v0, v5, s44 dst_sel:DWORD dst_unused:UNUSED_PAD src0_sel:BYTE_3 src1_sel:DWORD
                                        ; implicit-def: $vgpr31
	s_and_saveexec_b64 s[40:41], vcc
	s_xor_b64 s[38:39], exec, s[40:41]
	s_cbranch_execz .LBB6_7114
; %bb.7105:                             ;   in Loop: Header=BB6_7055 Depth=3
	v_mov_b32_e32 v31, 0
	v_cmp_ne_u32_e32 vcc, 0, v5
	s_and_saveexec_b64 s[48:49], vcc
	s_cbranch_execz .LBB6_7113
; %bb.7106:                             ;   in Loop: Header=BB6_7055 Depth=3
	v_bfe_u32 v6, v5, 23, 8
	v_cmp_gt_u32_e64 s[40:41], s45, v6
	v_sub_u32_e32 v5, 0x71, v6
	v_cmp_eq_u32_e32 vcc, 0, v6
	v_cndmask_b32_e64 v5, 0, v5, s[40:41]
	v_mov_b32_e32 v7, 0x70
	v_cndmask_b32_e32 v7, v5, v7, vcc
	v_or_b32_e32 v18, 0x800000, v3
	v_add_u32_e32 v5, 21, v7
	v_cndmask_b32_e32 v3, v18, v3, vcc
	v_lshlrev_b64 v[18:19], v5, -1
	v_add_u32_e32 v5, 20, v7
	v_bfi_b32 v18, v18, 0, v3
	v_lshlrev_b64 v[31:32], v5, 1
	v_lshrrev_b64 v[3:4], v7, v[3:4]
	v_bfi_b32 v19, v19, 0, 0
	v_cmp_eq_u64_e64 s[40:41], v[18:19], v[31:32]
	v_mov_b32_e32 v5, v4
	v_mov_b32_e32 v4, v3
	s_and_saveexec_b64 s[50:51], s[40:41]
; %bb.7107:                             ;   in Loop: Header=BB6_7055 Depth=3
	v_bfe_u32 v4, v3, 21, 1
	v_add_co_u32_e64 v4, s[40:41], v3, v4
	v_add_co_u32_e64 v4, s[40:41], -1, v4
; %bb.7108:                             ;   in Loop: Header=BB6_7055 Depth=3
	s_or_b64 exec, exec, s[50:51]
	v_add_u32_e32 v5, 0xffffff81, v6
	v_mov_b32_e32 v6, 0xffffff82
	v_cndmask_b32_e32 v5, v5, v6, vcc
	v_lshrrev_b32_e32 v6, 23, v3
	v_add3_u32 v7, v7, v5, v6
	v_add_u32_e32 v6, 14, v7
	v_and_b32_e32 v4, 0x1fffff, v4
	v_add_u32_e32 v3, v4, v3
	v_mov_b32_e32 v4, v34
	v_cmp_ne_u32_e32 vcc, 0, v6
                                        ; implicit-def: $vgpr5
	s_and_saveexec_b64 s[40:41], vcc
	s_xor_b64 s[40:41], exec, s[40:41]
; %bb.7109:                             ;   in Loop: Header=BB6_7055 Depth=3
	v_cmp_lt_u64_e32 vcc, s[88:89], v[3:4]
	v_add_u32_e32 v5, 15, v7
	v_cndmask_b32_e32 v5, v6, v5, vcc
	v_cndmask_b32_e64 v6, 0, 1, vcc
	v_lshrrev_b64 v[3:4], v6, v[3:4]
; %bb.7110:                             ;   in Loop: Header=BB6_7055 Depth=3
	s_andn2_saveexec_b64 s[40:41], s[40:41]
; %bb.7111:                             ;   in Loop: Header=BB6_7055 Depth=3
	v_bfe_u32 v5, v3, 23, 1
; %bb.7112:                             ;   in Loop: Header=BB6_7055 Depth=3
	s_or_b64 exec, exec, s[40:41]
	v_lshrrev_b64 v[3:4], 21, v[3:4]
	v_cmp_gt_i32_e32 vcc, 32, v5
	v_cndmask_b32_e32 v4, 0, v4, vcc
	v_cndmask_b32_e32 v3, 3, v3, vcc
	v_cmp_eq_u64_e64 s[40:41], 0, v[3:4]
	v_min_i32_e32 v4, 31, v5
	v_lshlrev_b32_e32 v4, 2, v4
	v_cmp_eq_u32_e32 vcc, 0, v5
	v_and_b32_e32 v4, 0xfc, v4
	v_and_or_b32 v3, v3, 3, v4
	s_and_b64 s[40:41], vcc, s[40:41]
	v_cndmask_b32_e64 v3, v3, 0, s[40:41]
	v_or_b32_e32 v31, v3, v0
.LBB6_7113:                             ;   in Loop: Header=BB6_7055 Depth=3
	s_or_b64 exec, exec, s[48:49]
                                        ; implicit-def: $vgpr0
.LBB6_7114:                             ;   in Loop: Header=BB6_7055 Depth=3
	s_andn2_saveexec_b64 s[40:41], s[38:39]
; %bb.7115:                             ;   in Loop: Header=BB6_7055 Depth=3
	v_or_b32_e32 v31, 0x7b, v0
; %bb.7116:                             ;   in Loop: Header=BB6_7055 Depth=3
	s_or_b64 exec, exec, s[40:41]
                                        ; implicit-def: $vgpr5
                                        ; implicit-def: $vgpr3_vgpr4
.LBB6_7117:                             ;   in Loop: Header=BB6_7055 Depth=3
	s_andn2_saveexec_b64 s[40:41], s[42:43]
	s_cbranch_execz .LBB6_7123
; %bb.7118:                             ;   in Loop: Header=BB6_7055 Depth=3
	v_cmp_ne_u64_e32 vcc, 0, v[3:4]
                                        ; implicit-def: $vgpr31
	s_and_saveexec_b64 s[42:43], vcc
	s_xor_b64 s[42:43], exec, s[42:43]
; %bb.7119:                             ;   in Loop: Header=BB6_7055 Depth=3
	v_or_b32_sdwa v31, v5, s83 dst_sel:DWORD dst_unused:UNUSED_PAD src0_sel:BYTE_3 src1_sel:DWORD
                                        ; implicit-def: $vgpr5
; %bb.7120:                             ;   in Loop: Header=BB6_7055 Depth=3
	s_andn2_saveexec_b64 s[42:43], s[42:43]
; %bb.7121:                             ;   in Loop: Header=BB6_7055 Depth=3
	v_cmp_lt_i32_e32 vcc, -1, v5
	v_bfrev_b32_e32 v0, 0.5
	v_mov_b32_e32 v3, 0x7c
	v_cndmask_b32_e32 v31, v0, v3, vcc
; %bb.7122:                             ;   in Loop: Header=BB6_7055 Depth=3
	s_or_b64 exec, exec, s[42:43]
.LBB6_7123:                             ;   in Loop: Header=BB6_7055 Depth=3
	s_or_b64 exec, exec, s[40:41]
	v_lshrrev_b32_e32 v0, 16, v12
	v_cmp_ne_u16_sdwa s[42:43], v0, v34 src0_sel:BYTE_0 src1_sel:DWORD
	v_mov_b32_e32 v3, 0
	s_and_saveexec_b64 s[40:41], s[42:43]
	s_cbranch_execz .LBB6_7131
; %bb.7124:                             ;   in Loop: Header=BB6_7055 Depth=3
	v_cmp_ne_u16_sdwa vcc, v0, s44 src0_sel:BYTE_0 src1_sel:DWORD
	v_bfrev_b32_e32 v3, 1
	s_and_saveexec_b64 s[42:43], vcc
	s_cbranch_execz .LBB6_7130
; %bb.7125:                             ;   in Loop: Header=BB6_7055 Depth=3
	v_and_b32_e32 v3, 0x7c0000, v12
	v_bfe_u32 v4, v12, 16, 2
	v_cmp_ne_u32_e32 vcc, s9, v3
                                        ; implicit-def: $vgpr3
	s_and_saveexec_b64 s[38:39], vcc
	s_xor_b64 s[38:39], exec, s[38:39]
	s_cbranch_execz .LBB6_7127
; %bb.7126:                             ;   in Loop: Header=BB6_7055 Depth=3
	v_ffbh_u32_e32 v5, v4
	v_min_u32_e32 v7, 32, v5
	v_subrev_u32_e32 v5, 29, v7
	v_lshlrev_b64 v[5:6], v5, v[0:1]
	v_bfe_u32 v3, v12, 18, 5
	v_sub_u32_e32 v0, 30, v7
	v_and_b32_e32 v5, 3, v5
	v_cmp_eq_u32_e32 vcc, 0, v3
	v_cndmask_b32_e32 v0, v3, v0, vcc
	v_cndmask_b32_e32 v3, v4, v5, vcc
	v_lshlrev_b32_e32 v4, 8, v12
	v_and_b32_e32 v4, 0x80000000, v4
	v_lshl_add_u32 v0, v0, 23, v4
	v_lshl_or_b32 v0, v3, 21, v0
	v_add_u32_e32 v3, 0x38000000, v0
                                        ; implicit-def: $vgpr4
                                        ; implicit-def: $vgpr0
.LBB6_7127:                             ;   in Loop: Header=BB6_7055 Depth=3
	s_andn2_saveexec_b64 s[38:39], s[38:39]
; %bb.7128:                             ;   in Loop: Header=BB6_7055 Depth=3
	v_mov_b32_e32 v3, -1
	v_cmp_gt_i16_sdwa vcc, sext(v0), v3 src0_sel:BYTE_0 src1_sel:DWORD
	v_mov_b32_e32 v0, 0xff800000
	v_mov_b32_e32 v3, 0x7f800000
	v_cndmask_b32_e32 v0, v0, v3, vcc
	v_cmp_eq_u32_e32 vcc, 0, v4
	v_mov_b32_e32 v3, 0x7f800001
	v_cndmask_b32_e32 v3, v3, v0, vcc
; %bb.7129:                             ;   in Loop: Header=BB6_7055 Depth=3
	s_or_b64 exec, exec, s[38:39]
.LBB6_7130:                             ;   in Loop: Header=BB6_7055 Depth=3
	s_or_b64 exec, exec, s[42:43]
.LBB6_7131:                             ;   in Loop: Header=BB6_7055 Depth=3
	s_or_b64 exec, exec, s[40:41]
	v_lshrrev_b32_e32 v0, 16, v8
	v_cmp_gt_i16_sdwa s[42:43], v0, s83 src0_sel:BYTE_0 src1_sel:DWORD
	s_mov_b64 s[40:41], 0
	s_and_saveexec_b64 vcc, s[42:43]
	s_xor_b64 s[42:43], exec, vcc
	s_cbranch_execz .LBB6_7586
; %bb.7132:                             ;   in Loop: Header=BB6_7055 Depth=3
	v_cmp_eq_u16_sdwa s[38:39], v0, s44 src0_sel:BYTE_0 src1_sel:DWORD
	s_mov_b64 s[40:41], -1
	s_and_saveexec_b64 vcc, s[38:39]
; %bb.7133:                             ;   in Loop: Header=BB6_7055 Depth=3
	s_xor_b64 s[40:41], exec, -1
; %bb.7134:                             ;   in Loop: Header=BB6_7055 Depth=3
	s_or_b64 exec, exec, vcc
	s_and_b64 s[40:41], s[40:41], exec
	s_or_saveexec_b64 s[42:43], s[42:43]
	v_bfrev_b32_e32 v4, 1
	s_xor_b64 exec, exec, s[42:43]
	s_cbranch_execnz .LBB6_7587
.LBB6_7135:                             ;   in Loop: Header=BB6_7055 Depth=3
	s_or_b64 exec, exec, s[42:43]
	s_and_saveexec_b64 s[38:39], s[40:41]
	s_cbranch_execz .LBB6_7137
.LBB6_7136:                             ;   in Loop: Header=BB6_7055 Depth=3
	v_and_b32_e32 v6, 3, v0
	v_and_b32_e32 v4, 0x7c0000, v8
	v_cmp_eq_u32_e32 vcc, s9, v4
	v_ffbh_u32_e32 v4, v6
	v_min_u32_e32 v18, 32, v4
	v_subrev_u32_e32 v4, 29, v18
	v_bfe_u32 v7, v8, 18, 5
	v_lshlrev_b64 v[4:5], v4, v[0:1]
	v_cmp_eq_u32_e64 s[40:41], 0, v7
	v_sub_u32_e32 v5, 30, v18
	v_cndmask_b32_e64 v5, v7, v5, s[40:41]
	v_lshlrev_b32_e32 v7, 24, v0
	v_and_b32_e32 v4, 3, v4
	v_and_b32_e32 v7, 0x80000000, v7
	v_cndmask_b32_e64 v4, v6, v4, s[40:41]
	v_lshl_add_u32 v5, v5, 23, v7
	v_lshl_or_b32 v4, v4, 21, v5
	v_mov_b32_e32 v5, -1
	v_cmp_gt_i16_sdwa s[42:43], sext(v0), v5 src0_sel:BYTE_0 src1_sel:DWORD
	v_mov_b32_e32 v0, 0xff800000
	v_mov_b32_e32 v5, 0x7f800000
	v_cmp_eq_u32_e64 s[40:41], 0, v6
	v_cndmask_b32_e64 v0, v0, v5, s[42:43]
	v_mov_b32_e32 v5, 0x7f800001
	v_add_u32_e32 v4, 0x38000000, v4
	v_cndmask_b32_e64 v0, v5, v0, s[40:41]
	v_cndmask_b32_e32 v4, v4, v0, vcc
.LBB6_7137:                             ;   in Loop: Header=BB6_7055 Depth=3
	s_or_b64 exec, exec, s[38:39]
	v_mul_f32_e32 v5, v3, v4
	v_and_b32_e32 v6, 0x7f800000, v5
	v_mov_b32_e32 v7, v34
	v_cmp_ne_u64_e32 vcc, s[76:77], v[6:7]
	v_and_b32_e32 v3, 0x7fffff, v5
	v_mov_b32_e32 v4, v34
                                        ; implicit-def: $vgpr32
	s_and_saveexec_b64 s[40:41], vcc
	s_xor_b64 s[42:43], exec, s[40:41]
	s_cbranch_execz .LBB6_7151
; %bb.7138:                             ;   in Loop: Header=BB6_7055 Depth=3
	v_and_b32_e32 v6, 0x7fffffff, v5
	v_mov_b32_e32 v7, v34
	v_cmp_gt_u64_e32 vcc, s[78:79], v[6:7]
	v_and_b32_sdwa v0, v5, s44 dst_sel:DWORD dst_unused:UNUSED_PAD src0_sel:BYTE_3 src1_sel:DWORD
                                        ; implicit-def: $vgpr32
	s_and_saveexec_b64 s[40:41], vcc
	s_xor_b64 s[38:39], exec, s[40:41]
	s_cbranch_execz .LBB6_7148
; %bb.7139:                             ;   in Loop: Header=BB6_7055 Depth=3
	v_mov_b32_e32 v32, 0
	v_cmp_ne_u32_e32 vcc, 0, v5
	s_and_saveexec_b64 s[48:49], vcc
	s_cbranch_execz .LBB6_7147
; %bb.7140:                             ;   in Loop: Header=BB6_7055 Depth=3
	v_bfe_u32 v6, v5, 23, 8
	v_cmp_gt_u32_e64 s[40:41], s45, v6
	v_sub_u32_e32 v5, 0x71, v6
	v_cmp_eq_u32_e32 vcc, 0, v6
	v_cndmask_b32_e64 v5, 0, v5, s[40:41]
	v_mov_b32_e32 v7, 0x70
	v_cndmask_b32_e32 v7, v5, v7, vcc
	v_or_b32_e32 v18, 0x800000, v3
	v_add_u32_e32 v5, 21, v7
	v_cndmask_b32_e32 v3, v18, v3, vcc
	v_lshlrev_b64 v[18:19], v5, -1
	v_add_u32_e32 v5, 20, v7
	v_bfi_b32 v18, v18, 0, v3
	v_lshlrev_b64 v[32:33], v5, 1
	v_lshrrev_b64 v[3:4], v7, v[3:4]
	v_bfi_b32 v19, v19, 0, 0
	v_cmp_eq_u64_e64 s[40:41], v[18:19], v[32:33]
	v_mov_b32_e32 v5, v4
	v_mov_b32_e32 v4, v3
	s_and_saveexec_b64 s[50:51], s[40:41]
; %bb.7141:                             ;   in Loop: Header=BB6_7055 Depth=3
	v_bfe_u32 v4, v3, 21, 1
	v_add_co_u32_e64 v4, s[40:41], v3, v4
	v_add_co_u32_e64 v4, s[40:41], -1, v4
; %bb.7142:                             ;   in Loop: Header=BB6_7055 Depth=3
	s_or_b64 exec, exec, s[50:51]
	v_add_u32_e32 v5, 0xffffff81, v6
	v_mov_b32_e32 v6, 0xffffff82
	v_cndmask_b32_e32 v5, v5, v6, vcc
	v_lshrrev_b32_e32 v6, 23, v3
	v_add3_u32 v7, v7, v5, v6
	v_add_u32_e32 v6, 14, v7
	v_and_b32_e32 v4, 0x1fffff, v4
	v_add_u32_e32 v3, v4, v3
	v_mov_b32_e32 v4, v34
	v_cmp_ne_u32_e32 vcc, 0, v6
                                        ; implicit-def: $vgpr5
	s_and_saveexec_b64 s[40:41], vcc
	s_xor_b64 s[40:41], exec, s[40:41]
; %bb.7143:                             ;   in Loop: Header=BB6_7055 Depth=3
	v_cmp_lt_u64_e32 vcc, s[88:89], v[3:4]
	v_add_u32_e32 v5, 15, v7
	v_cndmask_b32_e32 v5, v6, v5, vcc
	v_cndmask_b32_e64 v6, 0, 1, vcc
	v_lshrrev_b64 v[3:4], v6, v[3:4]
; %bb.7144:                             ;   in Loop: Header=BB6_7055 Depth=3
	s_andn2_saveexec_b64 s[40:41], s[40:41]
; %bb.7145:                             ;   in Loop: Header=BB6_7055 Depth=3
	v_bfe_u32 v5, v3, 23, 1
; %bb.7146:                             ;   in Loop: Header=BB6_7055 Depth=3
	s_or_b64 exec, exec, s[40:41]
	v_lshrrev_b64 v[3:4], 21, v[3:4]
	v_cmp_gt_i32_e32 vcc, 32, v5
	v_cndmask_b32_e32 v4, 0, v4, vcc
	v_cndmask_b32_e32 v3, 3, v3, vcc
	v_cmp_eq_u64_e64 s[40:41], 0, v[3:4]
	v_min_i32_e32 v4, 31, v5
	v_lshlrev_b32_e32 v4, 2, v4
	v_cmp_eq_u32_e32 vcc, 0, v5
	v_and_b32_e32 v4, 0xfc, v4
	v_and_or_b32 v3, v3, 3, v4
	s_and_b64 s[40:41], vcc, s[40:41]
	v_cndmask_b32_e64 v3, v3, 0, s[40:41]
	v_or_b32_e32 v32, v3, v0
.LBB6_7147:                             ;   in Loop: Header=BB6_7055 Depth=3
	s_or_b64 exec, exec, s[48:49]
                                        ; implicit-def: $vgpr0
.LBB6_7148:                             ;   in Loop: Header=BB6_7055 Depth=3
	s_andn2_saveexec_b64 s[40:41], s[38:39]
; %bb.7149:                             ;   in Loop: Header=BB6_7055 Depth=3
	v_or_b32_e32 v32, 0x7b, v0
; %bb.7150:                             ;   in Loop: Header=BB6_7055 Depth=3
	s_or_b64 exec, exec, s[40:41]
                                        ; implicit-def: $vgpr5
                                        ; implicit-def: $vgpr3_vgpr4
.LBB6_7151:                             ;   in Loop: Header=BB6_7055 Depth=3
	s_andn2_saveexec_b64 s[40:41], s[42:43]
	s_cbranch_execz .LBB6_7157
; %bb.7152:                             ;   in Loop: Header=BB6_7055 Depth=3
	v_cmp_ne_u64_e32 vcc, 0, v[3:4]
                                        ; implicit-def: $vgpr32
	s_and_saveexec_b64 s[42:43], vcc
	s_xor_b64 s[42:43], exec, s[42:43]
; %bb.7153:                             ;   in Loop: Header=BB6_7055 Depth=3
	v_or_b32_sdwa v32, v5, s83 dst_sel:DWORD dst_unused:UNUSED_PAD src0_sel:BYTE_3 src1_sel:DWORD
                                        ; implicit-def: $vgpr5
; %bb.7154:                             ;   in Loop: Header=BB6_7055 Depth=3
	s_andn2_saveexec_b64 s[42:43], s[42:43]
; %bb.7155:                             ;   in Loop: Header=BB6_7055 Depth=3
	v_cmp_lt_i32_e32 vcc, -1, v5
	v_bfrev_b32_e32 v0, 0.5
	v_mov_b32_e32 v3, 0x7c
	v_cndmask_b32_e32 v32, v0, v3, vcc
; %bb.7156:                             ;   in Loop: Header=BB6_7055 Depth=3
	s_or_b64 exec, exec, s[42:43]
.LBB6_7157:                             ;   in Loop: Header=BB6_7055 Depth=3
	s_or_b64 exec, exec, s[40:41]
	v_cmp_lt_u32_e32 vcc, s57, v12
	v_mov_b32_e32 v3, 0
	s_and_saveexec_b64 s[40:41], vcc
	s_cbranch_execz .LBB6_7165
; %bb.7158:                             ;   in Loop: Header=BB6_7055 Depth=3
	v_lshrrev_b32_e32 v0, 24, v12
	v_cmp_ne_u32_e32 vcc, s44, v0
	v_bfrev_b32_e32 v3, 1
	s_and_saveexec_b64 s[42:43], vcc
	s_cbranch_execz .LBB6_7164
; %bb.7159:                             ;   in Loop: Header=BB6_7055 Depth=3
	v_and_b32_e32 v3, 0x7c000000, v12
	v_bfe_u32 v4, v12, 24, 2
	v_cmp_ne_u32_e32 vcc, s8, v3
                                        ; implicit-def: $vgpr3
	s_and_saveexec_b64 s[38:39], vcc
	s_xor_b64 s[38:39], exec, s[38:39]
	s_cbranch_execz .LBB6_7161
; %bb.7160:                             ;   in Loop: Header=BB6_7055 Depth=3
	v_ffbh_u32_e32 v5, v4
	v_min_u32_e32 v7, 32, v5
	v_subrev_u32_e32 v5, 29, v7
	v_lshlrev_b64 v[5:6], v5, v[0:1]
	v_bfe_u32 v3, v12, 26, 5
	v_sub_u32_e32 v0, 30, v7
	v_and_b32_e32 v5, 3, v5
	v_cmp_eq_u32_e32 vcc, 0, v3
	v_cndmask_b32_e32 v0, v3, v0, vcc
	v_cndmask_b32_e32 v3, v4, v5, vcc
	v_and_b32_e32 v4, 0x80000000, v12
	v_lshl_add_u32 v0, v0, 23, v4
	v_lshl_or_b32 v0, v3, 21, v0
	v_add_u32_e32 v3, 0x38000000, v0
                                        ; implicit-def: $vgpr4
.LBB6_7161:                             ;   in Loop: Header=BB6_7055 Depth=3
	s_andn2_saveexec_b64 s[38:39], s[38:39]
; %bb.7162:                             ;   in Loop: Header=BB6_7055 Depth=3
	v_cmp_lt_i32_e32 vcc, -1, v12
	v_mov_b32_e32 v0, 0xff800000
	v_mov_b32_e32 v3, 0x7f800000
	v_cndmask_b32_e32 v0, v0, v3, vcc
	v_cmp_eq_u32_e32 vcc, 0, v4
	v_mov_b32_e32 v3, 0x7f800001
	v_cndmask_b32_e32 v3, v3, v0, vcc
; %bb.7163:                             ;   in Loop: Header=BB6_7055 Depth=3
	s_or_b64 exec, exec, s[38:39]
.LBB6_7164:                             ;   in Loop: Header=BB6_7055 Depth=3
	s_or_b64 exec, exec, s[42:43]
.LBB6_7165:                             ;   in Loop: Header=BB6_7055 Depth=3
	s_or_b64 exec, exec, s[40:41]
	v_bfe_u32 v6, v8, 24, 2
	v_and_b32_e32 v4, 0x7c000000, v8
	v_cmp_eq_u32_e32 vcc, s8, v4
	v_ffbh_u32_e32 v4, v6
	v_min_u32_e32 v18, 32, v4
	v_lshrrev_b32_e32 v0, 24, v8
	v_subrev_u32_e32 v4, 29, v18
	v_bfe_u32 v7, v8, 26, 5
	v_lshlrev_b64 v[4:5], v4, v[0:1]
	v_cmp_eq_u32_e64 s[40:41], 0, v7
	v_sub_u32_e32 v5, 30, v18
	v_and_b32_e32 v4, 3, v4
	v_cndmask_b32_e64 v5, v7, v5, s[40:41]
	v_and_b32_e32 v7, 0x80000000, v8
	v_cndmask_b32_e64 v4, v6, v4, s[40:41]
	v_lshl_add_u32 v5, v5, 23, v7
	v_lshl_or_b32 v4, v4, 21, v5
	v_cmp_eq_u32_e64 s[40:41], 0, v6
	v_cmp_lt_i32_e64 s[42:43], -1, v8
	v_mov_b32_e32 v5, 0xff800000
	v_mov_b32_e32 v6, 0x7f800000
	v_cndmask_b32_e64 v5, v5, v6, s[42:43]
	v_mov_b32_e32 v6, 0x7f800001
	v_add_u32_e32 v4, 0x38000000, v4
	v_cndmask_b32_e64 v5, v6, v5, s[40:41]
	v_cndmask_b32_e32 v4, v4, v5, vcc
	v_cmp_ne_u32_e32 vcc, s44, v0
	v_bfrev_b32_e32 v0, 1
	v_cndmask_b32_e32 v0, v0, v4, vcc
	v_cmp_lt_u32_e32 vcc, s57, v8
	v_cndmask_b32_e32 v0, 0, v0, vcc
	v_mul_f32_e32 v5, v0, v3
	v_and_b32_e32 v6, 0x7f800000, v5
	v_mov_b32_e32 v7, v34
	v_cmp_ne_u64_e32 vcc, s[76:77], v[6:7]
	v_and_b32_e32 v3, 0x7fffff, v5
	v_mov_b32_e32 v4, v34
                                        ; implicit-def: $vgpr33
	s_and_saveexec_b64 s[40:41], vcc
	s_xor_b64 s[42:43], exec, s[40:41]
	s_cbranch_execz .LBB6_7179
; %bb.7166:                             ;   in Loop: Header=BB6_7055 Depth=3
	v_and_b32_e32 v6, 0x7fffffff, v5
	v_mov_b32_e32 v7, v34
	v_cmp_gt_u64_e32 vcc, s[78:79], v[6:7]
	v_and_b32_sdwa v0, v5, s44 dst_sel:DWORD dst_unused:UNUSED_PAD src0_sel:BYTE_3 src1_sel:DWORD
                                        ; implicit-def: $vgpr33
	s_and_saveexec_b64 s[40:41], vcc
	s_xor_b64 s[38:39], exec, s[40:41]
	s_cbranch_execz .LBB6_7176
; %bb.7167:                             ;   in Loop: Header=BB6_7055 Depth=3
	v_mov_b32_e32 v33, 0
	v_cmp_ne_u32_e32 vcc, 0, v5
	s_and_saveexec_b64 s[48:49], vcc
	s_cbranch_execz .LBB6_7175
; %bb.7168:                             ;   in Loop: Header=BB6_7055 Depth=3
	v_bfe_u32 v6, v5, 23, 8
	v_cmp_gt_u32_e64 s[40:41], s45, v6
	v_sub_u32_e32 v5, 0x71, v6
	v_cmp_eq_u32_e32 vcc, 0, v6
	v_cndmask_b32_e64 v5, 0, v5, s[40:41]
	v_mov_b32_e32 v7, 0x70
	v_cndmask_b32_e32 v7, v5, v7, vcc
	v_or_b32_e32 v18, 0x800000, v3
	v_add_u32_e32 v5, 21, v7
	v_cndmask_b32_e32 v3, v18, v3, vcc
	v_lshlrev_b64 v[18:19], v5, -1
	v_add_u32_e32 v5, 20, v7
	v_bfi_b32 v18, v18, 0, v3
	v_lshlrev_b64 v[35:36], v5, 1
	v_lshrrev_b64 v[3:4], v7, v[3:4]
	v_bfi_b32 v19, v19, 0, 0
	v_cmp_eq_u64_e64 s[40:41], v[18:19], v[35:36]
	v_mov_b32_e32 v5, v4
	v_mov_b32_e32 v4, v3
	s_and_saveexec_b64 s[50:51], s[40:41]
; %bb.7169:                             ;   in Loop: Header=BB6_7055 Depth=3
	v_bfe_u32 v4, v3, 21, 1
	v_add_co_u32_e64 v4, s[40:41], v3, v4
	v_add_co_u32_e64 v4, s[40:41], -1, v4
; %bb.7170:                             ;   in Loop: Header=BB6_7055 Depth=3
	s_or_b64 exec, exec, s[50:51]
	v_add_u32_e32 v5, 0xffffff81, v6
	v_mov_b32_e32 v6, 0xffffff82
	v_cndmask_b32_e32 v5, v5, v6, vcc
	v_lshrrev_b32_e32 v6, 23, v3
	v_add3_u32 v7, v7, v5, v6
	v_add_u32_e32 v6, 14, v7
	v_and_b32_e32 v4, 0x1fffff, v4
	v_add_u32_e32 v3, v4, v3
	v_mov_b32_e32 v4, v34
	v_cmp_ne_u32_e32 vcc, 0, v6
                                        ; implicit-def: $vgpr5
	s_and_saveexec_b64 s[40:41], vcc
	s_xor_b64 s[40:41], exec, s[40:41]
; %bb.7171:                             ;   in Loop: Header=BB6_7055 Depth=3
	v_cmp_lt_u64_e32 vcc, s[88:89], v[3:4]
	v_add_u32_e32 v5, 15, v7
	v_cndmask_b32_e32 v5, v6, v5, vcc
	v_cndmask_b32_e64 v6, 0, 1, vcc
	v_lshrrev_b64 v[3:4], v6, v[3:4]
; %bb.7172:                             ;   in Loop: Header=BB6_7055 Depth=3
	s_andn2_saveexec_b64 s[40:41], s[40:41]
; %bb.7173:                             ;   in Loop: Header=BB6_7055 Depth=3
	v_bfe_u32 v5, v3, 23, 1
; %bb.7174:                             ;   in Loop: Header=BB6_7055 Depth=3
	s_or_b64 exec, exec, s[40:41]
	v_lshrrev_b64 v[3:4], 21, v[3:4]
	v_cmp_gt_i32_e32 vcc, 32, v5
	v_cndmask_b32_e32 v4, 0, v4, vcc
	v_cndmask_b32_e32 v3, 3, v3, vcc
	v_cmp_eq_u64_e64 s[40:41], 0, v[3:4]
	v_min_i32_e32 v4, 31, v5
	v_lshlrev_b32_e32 v4, 2, v4
	v_cmp_eq_u32_e32 vcc, 0, v5
	v_and_b32_e32 v4, 0xfc, v4
	v_and_or_b32 v3, v3, 3, v4
	s_and_b64 s[40:41], vcc, s[40:41]
	v_cndmask_b32_e64 v3, v3, 0, s[40:41]
	v_or_b32_e32 v33, v3, v0
.LBB6_7175:                             ;   in Loop: Header=BB6_7055 Depth=3
	s_or_b64 exec, exec, s[48:49]
                                        ; implicit-def: $vgpr0
.LBB6_7176:                             ;   in Loop: Header=BB6_7055 Depth=3
	s_andn2_saveexec_b64 s[40:41], s[38:39]
; %bb.7177:                             ;   in Loop: Header=BB6_7055 Depth=3
	v_or_b32_e32 v33, 0x7b, v0
; %bb.7178:                             ;   in Loop: Header=BB6_7055 Depth=3
	s_or_b64 exec, exec, s[40:41]
                                        ; implicit-def: $vgpr5
                                        ; implicit-def: $vgpr3_vgpr4
.LBB6_7179:                             ;   in Loop: Header=BB6_7055 Depth=3
	s_andn2_saveexec_b64 s[40:41], s[42:43]
	s_cbranch_execz .LBB6_7185
; %bb.7180:                             ;   in Loop: Header=BB6_7055 Depth=3
	v_cmp_ne_u64_e32 vcc, 0, v[3:4]
                                        ; implicit-def: $vgpr33
	s_and_saveexec_b64 s[42:43], vcc
	s_xor_b64 s[42:43], exec, s[42:43]
; %bb.7181:                             ;   in Loop: Header=BB6_7055 Depth=3
	v_or_b32_sdwa v33, v5, s83 dst_sel:DWORD dst_unused:UNUSED_PAD src0_sel:BYTE_3 src1_sel:DWORD
                                        ; implicit-def: $vgpr5
; %bb.7182:                             ;   in Loop: Header=BB6_7055 Depth=3
	s_andn2_saveexec_b64 s[42:43], s[42:43]
; %bb.7183:                             ;   in Loop: Header=BB6_7055 Depth=3
	v_cmp_lt_i32_e32 vcc, -1, v5
	v_bfrev_b32_e32 v0, 0.5
	v_mov_b32_e32 v3, 0x7c
	v_cndmask_b32_e32 v33, v0, v3, vcc
; %bb.7184:                             ;   in Loop: Header=BB6_7055 Depth=3
	s_or_b64 exec, exec, s[42:43]
.LBB6_7185:                             ;   in Loop: Header=BB6_7055 Depth=3
	s_or_b64 exec, exec, s[40:41]
	v_mov_b32_e32 v3, v13
	v_mov_b32_e32 v4, v34
	v_cmp_ne_u16_sdwa s[42:43], v13, v34 src0_sel:BYTE_0 src1_sel:DWORD
	v_mov_b32_e32 v0, 0
	s_and_saveexec_b64 s[40:41], s[42:43]
	s_cbranch_execz .LBB6_7193
; %bb.7186:                             ;   in Loop: Header=BB6_7055 Depth=3
	v_cmp_ne_u16_sdwa vcc, v13, s44 src0_sel:BYTE_0 src1_sel:DWORD
	v_bfrev_b32_e32 v0, 1
	s_and_saveexec_b64 s[42:43], vcc
	s_cbranch_execz .LBB6_7192
; %bb.7187:                             ;   in Loop: Header=BB6_7055 Depth=3
	v_and_b32_e32 v0, 0x7c, v13
	v_and_b32_e32 v5, 3, v13
	v_cmp_ne_u32_e32 vcc, s81, v0
                                        ; implicit-def: $vgpr0
	s_and_saveexec_b64 s[38:39], vcc
	s_xor_b64 s[38:39], exec, s[38:39]
	s_cbranch_execz .LBB6_7189
; %bb.7188:                             ;   in Loop: Header=BB6_7055 Depth=3
	v_ffbh_u32_e32 v6, v5
	v_min_u32_e32 v18, 32, v6
	v_subrev_u32_e32 v6, 29, v18
	v_lshlrev_b64 v[6:7], v6, v[3:4]
	v_bfe_u32 v0, v13, 2, 5
	v_sub_u32_e32 v4, 30, v18
	v_and_b32_e32 v6, 3, v6
	v_cmp_eq_u32_e32 vcc, 0, v0
	v_cndmask_b32_e32 v0, v0, v4, vcc
	v_cndmask_b32_e32 v4, v5, v6, vcc
	v_lshlrev_b32_e32 v5, 24, v13
	v_and_b32_e32 v5, 0x80000000, v5
	v_lshl_add_u32 v0, v0, 23, v5
	v_lshl_or_b32 v0, v4, 21, v0
	v_add_u32_e32 v0, 0x38000000, v0
                                        ; implicit-def: $vgpr5
.LBB6_7189:                             ;   in Loop: Header=BB6_7055 Depth=3
	s_andn2_saveexec_b64 s[38:39], s[38:39]
; %bb.7190:                             ;   in Loop: Header=BB6_7055 Depth=3
	v_mov_b32_e32 v0, -1
	v_cmp_gt_i16_sdwa vcc, sext(v13), v0 src0_sel:BYTE_0 src1_sel:DWORD
	v_mov_b32_e32 v0, 0xff800000
	v_mov_b32_e32 v4, 0x7f800000
	v_cndmask_b32_e32 v0, v0, v4, vcc
	v_cmp_eq_u32_e32 vcc, 0, v5
	v_mov_b32_e32 v4, 0x7f800001
	v_cndmask_b32_e32 v0, v4, v0, vcc
; %bb.7191:                             ;   in Loop: Header=BB6_7055 Depth=3
	s_or_b64 exec, exec, s[38:39]
.LBB6_7192:                             ;   in Loop: Header=BB6_7055 Depth=3
	s_or_b64 exec, exec, s[42:43]
.LBB6_7193:                             ;   in Loop: Header=BB6_7055 Depth=3
	s_or_b64 exec, exec, s[40:41]
	v_cmp_gt_i16_sdwa s[42:43], v9, s83 src0_sel:BYTE_0 src1_sel:DWORD
	s_mov_b64 s[40:41], 0
	s_and_saveexec_b64 vcc, s[42:43]
	s_xor_b64 s[42:43], exec, vcc
	s_cbranch_execz .LBB6_7197
; %bb.7194:                             ;   in Loop: Header=BB6_7055 Depth=3
	v_cmp_eq_u16_sdwa s[38:39], v9, s44 src0_sel:BYTE_0 src1_sel:DWORD
	s_mov_b64 s[40:41], -1
	s_and_saveexec_b64 vcc, s[38:39]
; %bb.7195:                             ;   in Loop: Header=BB6_7055 Depth=3
	s_xor_b64 s[40:41], exec, -1
; %bb.7196:                             ;   in Loop: Header=BB6_7055 Depth=3
	s_or_b64 exec, exec, vcc
	s_and_b64 s[40:41], s[40:41], exec
.LBB6_7197:                             ;   in Loop: Header=BB6_7055 Depth=3
	s_or_saveexec_b64 s[42:43], s[42:43]
	v_bfrev_b32_e32 v4, 1
	s_xor_b64 exec, exec, s[42:43]
; %bb.7198:                             ;   in Loop: Header=BB6_7055 Depth=3
	v_cmp_ne_u16_sdwa vcc, v9, v34 src0_sel:BYTE_0 src1_sel:DWORD
	s_andn2_b64 s[40:41], s[40:41], exec
	s_and_b64 vcc, vcc, exec
	v_mov_b32_e32 v4, 0
	s_or_b64 s[40:41], s[40:41], vcc
; %bb.7199:                             ;   in Loop: Header=BB6_7055 Depth=3
	s_or_b64 exec, exec, s[42:43]
	v_mov_b32_e32 v5, v9
	v_mov_b32_e32 v6, v34
	s_and_saveexec_b64 s[38:39], s[40:41]
	s_cbranch_execz .LBB6_7201
; %bb.7200:                             ;   in Loop: Header=BB6_7055 Depth=3
	v_and_b32_e32 v4, 3, v9
	v_and_b32_e32 v7, 0x7c, v9
	v_cmp_eq_u32_e32 vcc, s81, v7
	v_ffbh_u32_e32 v7, v4
	v_min_u32_e32 v19, 32, v7
	v_subrev_u32_e32 v7, 29, v19
	v_bfe_u32 v18, v9, 2, 5
	v_lshlrev_b64 v[6:7], v7, v[5:6]
	v_cmp_eq_u32_e64 s[40:41], 0, v18
	v_sub_u32_e32 v7, 30, v19
	v_cndmask_b32_e64 v7, v18, v7, s[40:41]
	v_lshlrev_b32_e32 v18, 24, v9
	v_and_b32_e32 v6, 3, v6
	v_and_b32_e32 v18, 0x80000000, v18
	v_cndmask_b32_e64 v6, v4, v6, s[40:41]
	v_lshl_add_u32 v7, v7, 23, v18
	v_cmp_eq_u32_e64 s[40:41], 0, v4
	v_mov_b32_e32 v4, -1
	v_lshl_or_b32 v6, v6, 21, v7
	v_cmp_gt_i16_sdwa s[42:43], sext(v9), v4 src0_sel:BYTE_0 src1_sel:DWORD
	v_mov_b32_e32 v4, 0xff800000
	v_mov_b32_e32 v7, 0x7f800000
	v_cndmask_b32_e64 v4, v4, v7, s[42:43]
	v_mov_b32_e32 v7, 0x7f800001
	v_add_u32_e32 v6, 0x38000000, v6
	v_cndmask_b32_e64 v4, v7, v4, s[40:41]
	v_cndmask_b32_e32 v4, v6, v4, vcc
.LBB6_7201:                             ;   in Loop: Header=BB6_7055 Depth=3
	s_or_b64 exec, exec, s[38:39]
	v_mul_f32_e32 v4, v0, v4
	v_and_b32_e32 v18, 0x7f800000, v4
	v_mov_b32_e32 v19, v34
	v_cmp_ne_u64_e32 vcc, s[76:77], v[18:19]
	v_and_b32_e32 v6, 0x7fffff, v4
	v_mov_b32_e32 v7, v34
                                        ; implicit-def: $vgpr18
	s_and_saveexec_b64 s[40:41], vcc
	s_xor_b64 s[42:43], exec, s[40:41]
	s_cbranch_execz .LBB6_7215
; %bb.7202:                             ;   in Loop: Header=BB6_7055 Depth=3
	v_and_b32_e32 v18, 0x7fffffff, v4
	v_mov_b32_e32 v19, v34
	v_cmp_gt_u64_e32 vcc, s[78:79], v[18:19]
	v_and_b32_sdwa v0, v4, s44 dst_sel:DWORD dst_unused:UNUSED_PAD src0_sel:BYTE_3 src1_sel:DWORD
                                        ; implicit-def: $vgpr18
	s_and_saveexec_b64 s[40:41], vcc
	s_xor_b64 s[38:39], exec, s[40:41]
	s_cbranch_execz .LBB6_7212
; %bb.7203:                             ;   in Loop: Header=BB6_7055 Depth=3
	v_mov_b32_e32 v18, 0
	v_cmp_ne_u32_e32 vcc, 0, v4
	s_and_saveexec_b64 s[48:49], vcc
	s_cbranch_execz .LBB6_7211
; %bb.7204:                             ;   in Loop: Header=BB6_7055 Depth=3
	v_bfe_u32 v4, v4, 23, 8
	v_cmp_gt_u32_e64 s[40:41], s45, v4
	v_sub_u32_e32 v18, 0x71, v4
	v_cmp_eq_u32_e32 vcc, 0, v4
	v_cndmask_b32_e64 v18, 0, v18, s[40:41]
	v_mov_b32_e32 v35, 0x70
	v_cndmask_b32_e32 v35, v18, v35, vcc
	v_or_b32_e32 v19, 0x800000, v6
	v_add_u32_e32 v18, 21, v35
	v_cndmask_b32_e32 v6, v19, v6, vcc
	v_lshlrev_b64 v[18:19], v18, -1
	v_add_u32_e32 v36, 20, v35
	v_bfi_b32 v18, v18, 0, v6
	v_lshlrev_b64 v[36:37], v36, 1
	v_lshrrev_b64 v[6:7], v35, v[6:7]
	v_bfi_b32 v19, v19, 0, 0
	v_cmp_eq_u64_e64 s[40:41], v[18:19], v[36:37]
	v_mov_b32_e32 v19, v7
	v_mov_b32_e32 v18, v6
	s_and_saveexec_b64 s[50:51], s[40:41]
; %bb.7205:                             ;   in Loop: Header=BB6_7055 Depth=3
	v_bfe_u32 v7, v6, 21, 1
	v_add_co_u32_e64 v7, s[40:41], v6, v7
	v_add_co_u32_e64 v18, s[40:41], -1, v7
; %bb.7206:                             ;   in Loop: Header=BB6_7055 Depth=3
	s_or_b64 exec, exec, s[50:51]
	v_add_u32_e32 v4, 0xffffff81, v4
	v_mov_b32_e32 v7, 0xffffff82
	v_cndmask_b32_e32 v4, v4, v7, vcc
	v_lshrrev_b32_e32 v7, 23, v6
	v_add3_u32 v35, v35, v4, v7
	v_add_u32_e32 v19, 14, v35
	v_and_b32_e32 v4, 0x1fffff, v18
	v_add_u32_e32 v6, v4, v6
	v_mov_b32_e32 v7, v34
	v_cmp_ne_u32_e32 vcc, 0, v19
                                        ; implicit-def: $vgpr4
	s_and_saveexec_b64 s[40:41], vcc
	s_xor_b64 s[40:41], exec, s[40:41]
; %bb.7207:                             ;   in Loop: Header=BB6_7055 Depth=3
	v_cmp_lt_u64_e32 vcc, s[88:89], v[6:7]
	v_add_u32_e32 v4, 15, v35
	v_cndmask_b32_e64 v18, 0, 1, vcc
	v_cndmask_b32_e32 v4, v19, v4, vcc
	v_lshrrev_b64 v[6:7], v18, v[6:7]
; %bb.7208:                             ;   in Loop: Header=BB6_7055 Depth=3
	s_andn2_saveexec_b64 s[40:41], s[40:41]
; %bb.7209:                             ;   in Loop: Header=BB6_7055 Depth=3
	v_bfe_u32 v4, v6, 23, 1
; %bb.7210:                             ;   in Loop: Header=BB6_7055 Depth=3
	s_or_b64 exec, exec, s[40:41]
	v_lshrrev_b64 v[6:7], 21, v[6:7]
	v_cmp_gt_i32_e32 vcc, 32, v4
	v_cndmask_b32_e32 v7, 0, v7, vcc
	v_cndmask_b32_e32 v6, 3, v6, vcc
	v_cmp_eq_u32_e32 vcc, 0, v4
	v_min_i32_e32 v4, 31, v4
	v_cmp_eq_u64_e64 s[40:41], 0, v[6:7]
	v_lshlrev_b32_e32 v4, 2, v4
	v_and_b32_e32 v4, 0xfc, v4
	v_and_or_b32 v4, v6, 3, v4
	s_and_b64 s[40:41], vcc, s[40:41]
	v_cndmask_b32_e64 v4, v4, 0, s[40:41]
	v_or_b32_e32 v18, v4, v0
.LBB6_7211:                             ;   in Loop: Header=BB6_7055 Depth=3
	s_or_b64 exec, exec, s[48:49]
                                        ; implicit-def: $vgpr0
.LBB6_7212:                             ;   in Loop: Header=BB6_7055 Depth=3
	s_andn2_saveexec_b64 s[40:41], s[38:39]
; %bb.7213:                             ;   in Loop: Header=BB6_7055 Depth=3
	v_or_b32_e32 v18, 0x7b, v0
; %bb.7214:                             ;   in Loop: Header=BB6_7055 Depth=3
	s_or_b64 exec, exec, s[40:41]
                                        ; implicit-def: $vgpr4
                                        ; implicit-def: $vgpr6_vgpr7
.LBB6_7215:                             ;   in Loop: Header=BB6_7055 Depth=3
	s_andn2_saveexec_b64 s[40:41], s[42:43]
	s_cbranch_execz .LBB6_7221
; %bb.7216:                             ;   in Loop: Header=BB6_7055 Depth=3
	v_cmp_ne_u64_e32 vcc, 0, v[6:7]
                                        ; implicit-def: $vgpr18
	s_and_saveexec_b64 s[42:43], vcc
	s_xor_b64 s[42:43], exec, s[42:43]
; %bb.7217:                             ;   in Loop: Header=BB6_7055 Depth=3
	v_or_b32_sdwa v18, v4, s83 dst_sel:DWORD dst_unused:UNUSED_PAD src0_sel:BYTE_3 src1_sel:DWORD
                                        ; implicit-def: $vgpr4
; %bb.7218:                             ;   in Loop: Header=BB6_7055 Depth=3
	s_andn2_saveexec_b64 s[42:43], s[42:43]
; %bb.7219:                             ;   in Loop: Header=BB6_7055 Depth=3
	v_cmp_lt_i32_e32 vcc, -1, v4
	v_bfrev_b32_e32 v0, 0.5
	v_mov_b32_e32 v4, 0x7c
	v_cndmask_b32_e32 v18, v0, v4, vcc
; %bb.7220:                             ;   in Loop: Header=BB6_7055 Depth=3
	s_or_b64 exec, exec, s[42:43]
.LBB6_7221:                             ;   in Loop: Header=BB6_7055 Depth=3
	s_or_b64 exec, exec, s[40:41]
	v_lshrrev_b16_e32 v6, 8, v3
	v_cmp_ne_u16_e32 vcc, 0, v6
	v_mov_b32_e32 v0, 0
	s_and_saveexec_b64 s[40:41], vcc
	s_cbranch_execz .LBB6_7229
; %bb.7222:                             ;   in Loop: Header=BB6_7055 Depth=3
	v_cmp_ne_u16_e32 vcc, s44, v6
	v_bfrev_b32_e32 v0, 1
	s_and_saveexec_b64 s[42:43], vcc
	s_cbranch_execz .LBB6_7228
; %bb.7223:                             ;   in Loop: Header=BB6_7055 Depth=3
	v_and_b32_e32 v0, 0x7c, v6
	v_and_b32_e32 v19, 3, v6
	v_cmp_ne_u32_e32 vcc, s81, v0
                                        ; implicit-def: $vgpr0
	s_and_saveexec_b64 s[38:39], vcc
	s_xor_b64 s[38:39], exec, s[38:39]
	s_cbranch_execz .LBB6_7225
; %bb.7224:                             ;   in Loop: Header=BB6_7055 Depth=3
	v_ffbh_u32_e32 v4, v19
	v_min_u32_e32 v4, 32, v4
	v_mov_b32_e32 v7, v34
	v_subrev_u32_e32 v35, 29, v4
	v_bfe_u32 v0, v6, 2, 5
	v_lshlrev_b64 v[6:7], v35, v[6:7]
	v_sub_u32_e32 v4, 30, v4
	v_cmp_eq_u32_e32 vcc, 0, v0
	v_lshlrev_b32_e32 v3, 16, v3
	v_and_b32_e32 v6, 3, v6
	v_cndmask_b32_e32 v0, v0, v4, vcc
	v_and_b32_e32 v3, 0x80000000, v3
	v_cndmask_b32_e32 v4, v19, v6, vcc
	v_lshl_add_u32 v0, v0, 23, v3
	v_lshl_or_b32 v0, v4, 21, v0
	v_add_u32_e32 v0, 0x38000000, v0
                                        ; implicit-def: $vgpr19
                                        ; implicit-def: $vgpr3_vgpr4
.LBB6_7225:                             ;   in Loop: Header=BB6_7055 Depth=3
	s_andn2_saveexec_b64 s[38:39], s[38:39]
; %bb.7226:                             ;   in Loop: Header=BB6_7055 Depth=3
	v_cmp_lt_i16_e32 vcc, -1, v3
	v_mov_b32_e32 v0, 0xff800000
	v_mov_b32_e32 v3, 0x7f800000
	v_cndmask_b32_e32 v0, v0, v3, vcc
	v_cmp_eq_u32_e32 vcc, 0, v19
	v_mov_b32_e32 v3, 0x7f800001
	v_cndmask_b32_e32 v0, v3, v0, vcc
; %bb.7227:                             ;   in Loop: Header=BB6_7055 Depth=3
	s_or_b64 exec, exec, s[38:39]
.LBB6_7228:                             ;   in Loop: Header=BB6_7055 Depth=3
	s_or_b64 exec, exec, s[42:43]
.LBB6_7229:                             ;   in Loop: Header=BB6_7055 Depth=3
	s_or_b64 exec, exec, s[40:41]
	v_lshrrev_b16_e32 v3, 8, v5
	v_cmp_lt_i16_e32 vcc, s83, v3
	s_mov_b64 s[40:41], 0
	s_and_saveexec_b64 s[42:43], vcc
	s_xor_b64 s[42:43], exec, s[42:43]
	s_cbranch_execz .LBB6_7588
; %bb.7230:                             ;   in Loop: Header=BB6_7055 Depth=3
	v_cmp_eq_u16_e32 vcc, s44, v3
	s_mov_b64 s[40:41], -1
	s_and_saveexec_b64 s[38:39], vcc
; %bb.7231:                             ;   in Loop: Header=BB6_7055 Depth=3
	s_xor_b64 s[40:41], exec, -1
; %bb.7232:                             ;   in Loop: Header=BB6_7055 Depth=3
	s_or_b64 exec, exec, s[38:39]
	s_and_b64 s[40:41], s[40:41], exec
	s_or_saveexec_b64 s[42:43], s[42:43]
	v_bfrev_b32_e32 v4, 1
	s_xor_b64 exec, exec, s[42:43]
	s_cbranch_execnz .LBB6_7589
.LBB6_7233:                             ;   in Loop: Header=BB6_7055 Depth=3
	s_or_b64 exec, exec, s[42:43]
	s_and_saveexec_b64 s[38:39], s[40:41]
	s_cbranch_execz .LBB6_7235
.LBB6_7234:                             ;   in Loop: Header=BB6_7055 Depth=3
	v_and_b32_e32 v19, 3, v3
	v_and_b32_e32 v6, 0x7c, v3
	v_cmp_eq_u32_e32 vcc, s81, v6
	v_ffbh_u32_e32 v6, v19
	v_min_u32_e32 v36, 32, v6
	v_mov_b32_e32 v4, v34
	v_subrev_u32_e32 v6, 29, v36
	v_bfe_u32 v35, v3, 2, 5
	v_lshlrev_b64 v[6:7], v6, v[3:4]
	v_cmp_eq_u32_e64 s[40:41], 0, v35
	v_sub_u32_e32 v4, 30, v36
	v_lshlrev_b32_e32 v3, 24, v3
	v_and_b32_e32 v6, 3, v6
	v_cndmask_b32_e64 v4, v35, v4, s[40:41]
	v_and_b32_e32 v3, 0x80000000, v3
	v_cndmask_b32_e64 v6, v19, v6, s[40:41]
	v_lshl_add_u32 v3, v4, 23, v3
	v_cmp_lt_i16_e64 s[42:43], -1, v5
	v_mov_b32_e32 v4, 0xff800000
	v_mov_b32_e32 v5, 0x7f800000
	v_lshl_or_b32 v3, v6, 21, v3
	v_cmp_eq_u32_e64 s[40:41], 0, v19
	v_cndmask_b32_e64 v4, v4, v5, s[42:43]
	v_mov_b32_e32 v5, 0x7f800001
	v_add_u32_e32 v3, 0x38000000, v3
	v_cndmask_b32_e64 v4, v5, v4, s[40:41]
	v_cndmask_b32_e32 v4, v3, v4, vcc
.LBB6_7235:                             ;   in Loop: Header=BB6_7055 Depth=3
	s_or_b64 exec, exec, s[38:39]
	v_mul_f32_e32 v5, v0, v4
	v_and_b32_e32 v6, 0x7f800000, v5
	v_mov_b32_e32 v7, v34
	v_cmp_ne_u64_e32 vcc, s[76:77], v[6:7]
	v_and_b32_e32 v3, 0x7fffff, v5
	v_mov_b32_e32 v4, v34
                                        ; implicit-def: $vgpr19
	s_and_saveexec_b64 s[40:41], vcc
	s_xor_b64 s[42:43], exec, s[40:41]
	s_cbranch_execz .LBB6_7249
; %bb.7236:                             ;   in Loop: Header=BB6_7055 Depth=3
	v_and_b32_e32 v6, 0x7fffffff, v5
	v_mov_b32_e32 v7, v34
	v_cmp_gt_u64_e32 vcc, s[78:79], v[6:7]
	v_and_b32_sdwa v0, v5, s44 dst_sel:DWORD dst_unused:UNUSED_PAD src0_sel:BYTE_3 src1_sel:DWORD
                                        ; implicit-def: $vgpr19
	s_and_saveexec_b64 s[40:41], vcc
	s_xor_b64 s[38:39], exec, s[40:41]
	s_cbranch_execz .LBB6_7246
; %bb.7237:                             ;   in Loop: Header=BB6_7055 Depth=3
	v_mov_b32_e32 v19, 0
	v_cmp_ne_u32_e32 vcc, 0, v5
	s_and_saveexec_b64 s[48:49], vcc
	s_cbranch_execz .LBB6_7245
; %bb.7238:                             ;   in Loop: Header=BB6_7055 Depth=3
	v_bfe_u32 v6, v5, 23, 8
	v_cmp_gt_u32_e64 s[40:41], s45, v6
	v_sub_u32_e32 v5, 0x71, v6
	v_cmp_eq_u32_e32 vcc, 0, v6
	v_cndmask_b32_e64 v5, 0, v5, s[40:41]
	v_mov_b32_e32 v7, 0x70
	v_cndmask_b32_e32 v7, v5, v7, vcc
	v_add_u32_e32 v5, 21, v7
	v_or_b32_e32 v19, 0x800000, v3
	v_lshlrev_b64 v[35:36], v5, -1
	v_cndmask_b32_e32 v3, v19, v3, vcc
	v_add_u32_e32 v5, 20, v7
	v_bfi_b32 v35, v35, 0, v3
	v_lshlrev_b64 v[37:38], v5, 1
	v_lshrrev_b64 v[3:4], v7, v[3:4]
	v_bfi_b32 v36, v36, 0, 0
	v_cmp_eq_u64_e64 s[40:41], v[35:36], v[37:38]
	v_mov_b32_e32 v5, v4
	v_mov_b32_e32 v4, v3
	s_and_saveexec_b64 s[50:51], s[40:41]
; %bb.7239:                             ;   in Loop: Header=BB6_7055 Depth=3
	v_bfe_u32 v4, v3, 21, 1
	v_add_co_u32_e64 v4, s[40:41], v3, v4
	v_add_co_u32_e64 v4, s[40:41], -1, v4
; %bb.7240:                             ;   in Loop: Header=BB6_7055 Depth=3
	s_or_b64 exec, exec, s[50:51]
	v_add_u32_e32 v5, 0xffffff81, v6
	v_mov_b32_e32 v6, 0xffffff82
	v_cndmask_b32_e32 v5, v5, v6, vcc
	v_lshrrev_b32_e32 v6, 23, v3
	v_add3_u32 v7, v7, v5, v6
	v_add_u32_e32 v6, 14, v7
	v_and_b32_e32 v4, 0x1fffff, v4
	v_add_u32_e32 v3, v4, v3
	v_mov_b32_e32 v4, v34
	v_cmp_ne_u32_e32 vcc, 0, v6
                                        ; implicit-def: $vgpr5
	s_and_saveexec_b64 s[40:41], vcc
	s_xor_b64 s[40:41], exec, s[40:41]
; %bb.7241:                             ;   in Loop: Header=BB6_7055 Depth=3
	v_cmp_lt_u64_e32 vcc, s[88:89], v[3:4]
	v_add_u32_e32 v5, 15, v7
	v_cndmask_b32_e32 v5, v6, v5, vcc
	v_cndmask_b32_e64 v6, 0, 1, vcc
	v_lshrrev_b64 v[3:4], v6, v[3:4]
; %bb.7242:                             ;   in Loop: Header=BB6_7055 Depth=3
	s_andn2_saveexec_b64 s[40:41], s[40:41]
; %bb.7243:                             ;   in Loop: Header=BB6_7055 Depth=3
	v_bfe_u32 v5, v3, 23, 1
; %bb.7244:                             ;   in Loop: Header=BB6_7055 Depth=3
	s_or_b64 exec, exec, s[40:41]
	v_lshrrev_b64 v[3:4], 21, v[3:4]
	v_cmp_gt_i32_e32 vcc, 32, v5
	v_cndmask_b32_e32 v4, 0, v4, vcc
	v_cndmask_b32_e32 v3, 3, v3, vcc
	v_cmp_eq_u64_e64 s[40:41], 0, v[3:4]
	v_min_i32_e32 v4, 31, v5
	v_lshlrev_b32_e32 v4, 2, v4
	v_cmp_eq_u32_e32 vcc, 0, v5
	v_and_b32_e32 v4, 0xfc, v4
	v_and_or_b32 v3, v3, 3, v4
	s_and_b64 s[40:41], vcc, s[40:41]
	v_cndmask_b32_e64 v3, v3, 0, s[40:41]
	v_or_b32_e32 v19, v3, v0
.LBB6_7245:                             ;   in Loop: Header=BB6_7055 Depth=3
	s_or_b64 exec, exec, s[48:49]
                                        ; implicit-def: $vgpr0
.LBB6_7246:                             ;   in Loop: Header=BB6_7055 Depth=3
	s_andn2_saveexec_b64 s[40:41], s[38:39]
; %bb.7247:                             ;   in Loop: Header=BB6_7055 Depth=3
	v_or_b32_e32 v19, 0x7b, v0
; %bb.7248:                             ;   in Loop: Header=BB6_7055 Depth=3
	s_or_b64 exec, exec, s[40:41]
                                        ; implicit-def: $vgpr5
                                        ; implicit-def: $vgpr3_vgpr4
.LBB6_7249:                             ;   in Loop: Header=BB6_7055 Depth=3
	s_andn2_saveexec_b64 s[40:41], s[42:43]
	s_cbranch_execz .LBB6_7255
; %bb.7250:                             ;   in Loop: Header=BB6_7055 Depth=3
	v_cmp_ne_u64_e32 vcc, 0, v[3:4]
                                        ; implicit-def: $vgpr19
	s_and_saveexec_b64 s[42:43], vcc
	s_xor_b64 s[42:43], exec, s[42:43]
; %bb.7251:                             ;   in Loop: Header=BB6_7055 Depth=3
	v_or_b32_sdwa v19, v5, s83 dst_sel:DWORD dst_unused:UNUSED_PAD src0_sel:BYTE_3 src1_sel:DWORD
                                        ; implicit-def: $vgpr5
; %bb.7252:                             ;   in Loop: Header=BB6_7055 Depth=3
	s_andn2_saveexec_b64 s[42:43], s[42:43]
; %bb.7253:                             ;   in Loop: Header=BB6_7055 Depth=3
	v_cmp_lt_i32_e32 vcc, -1, v5
	v_bfrev_b32_e32 v0, 0.5
	v_mov_b32_e32 v3, 0x7c
	v_cndmask_b32_e32 v19, v0, v3, vcc
; %bb.7254:                             ;   in Loop: Header=BB6_7055 Depth=3
	s_or_b64 exec, exec, s[42:43]
.LBB6_7255:                             ;   in Loop: Header=BB6_7055 Depth=3
	s_or_b64 exec, exec, s[40:41]
	v_lshrrev_b32_e32 v0, 16, v13
	v_cmp_ne_u16_sdwa s[42:43], v0, v34 src0_sel:BYTE_0 src1_sel:DWORD
	v_mov_b32_e32 v3, 0
	s_and_saveexec_b64 s[40:41], s[42:43]
	s_cbranch_execz .LBB6_7263
; %bb.7256:                             ;   in Loop: Header=BB6_7055 Depth=3
	v_cmp_ne_u16_sdwa vcc, v0, s44 src0_sel:BYTE_0 src1_sel:DWORD
	v_bfrev_b32_e32 v3, 1
	s_and_saveexec_b64 s[42:43], vcc
	s_cbranch_execz .LBB6_7262
; %bb.7257:                             ;   in Loop: Header=BB6_7055 Depth=3
	v_and_b32_e32 v3, 0x7c0000, v13
	v_bfe_u32 v4, v13, 16, 2
	v_cmp_ne_u32_e32 vcc, s9, v3
                                        ; implicit-def: $vgpr3
	s_and_saveexec_b64 s[38:39], vcc
	s_xor_b64 s[38:39], exec, s[38:39]
	s_cbranch_execz .LBB6_7259
; %bb.7258:                             ;   in Loop: Header=BB6_7055 Depth=3
	v_ffbh_u32_e32 v5, v4
	v_min_u32_e32 v7, 32, v5
	v_subrev_u32_e32 v5, 29, v7
	v_lshlrev_b64 v[5:6], v5, v[0:1]
	v_bfe_u32 v3, v13, 18, 5
	v_sub_u32_e32 v0, 30, v7
	v_and_b32_e32 v5, 3, v5
	v_cmp_eq_u32_e32 vcc, 0, v3
	v_cndmask_b32_e32 v0, v3, v0, vcc
	v_cndmask_b32_e32 v3, v4, v5, vcc
	v_lshlrev_b32_e32 v4, 8, v13
	v_and_b32_e32 v4, 0x80000000, v4
	v_lshl_add_u32 v0, v0, 23, v4
	v_lshl_or_b32 v0, v3, 21, v0
	v_add_u32_e32 v3, 0x38000000, v0
                                        ; implicit-def: $vgpr4
                                        ; implicit-def: $vgpr0
.LBB6_7259:                             ;   in Loop: Header=BB6_7055 Depth=3
	s_andn2_saveexec_b64 s[38:39], s[38:39]
; %bb.7260:                             ;   in Loop: Header=BB6_7055 Depth=3
	v_mov_b32_e32 v3, -1
	v_cmp_gt_i16_sdwa vcc, sext(v0), v3 src0_sel:BYTE_0 src1_sel:DWORD
	v_mov_b32_e32 v0, 0xff800000
	v_mov_b32_e32 v3, 0x7f800000
	v_cndmask_b32_e32 v0, v0, v3, vcc
	v_cmp_eq_u32_e32 vcc, 0, v4
	v_mov_b32_e32 v3, 0x7f800001
	v_cndmask_b32_e32 v3, v3, v0, vcc
; %bb.7261:                             ;   in Loop: Header=BB6_7055 Depth=3
	s_or_b64 exec, exec, s[38:39]
.LBB6_7262:                             ;   in Loop: Header=BB6_7055 Depth=3
	s_or_b64 exec, exec, s[42:43]
.LBB6_7263:                             ;   in Loop: Header=BB6_7055 Depth=3
	s_or_b64 exec, exec, s[40:41]
	v_lshrrev_b32_e32 v0, 16, v9
	v_cmp_gt_i16_sdwa s[42:43], v0, s83 src0_sel:BYTE_0 src1_sel:DWORD
	s_mov_b64 s[40:41], 0
	s_and_saveexec_b64 vcc, s[42:43]
	s_xor_b64 s[42:43], exec, vcc
	s_cbranch_execz .LBB6_7590
; %bb.7264:                             ;   in Loop: Header=BB6_7055 Depth=3
	v_cmp_eq_u16_sdwa s[38:39], v0, s44 src0_sel:BYTE_0 src1_sel:DWORD
	s_mov_b64 s[40:41], -1
	s_and_saveexec_b64 vcc, s[38:39]
; %bb.7265:                             ;   in Loop: Header=BB6_7055 Depth=3
	s_xor_b64 s[40:41], exec, -1
; %bb.7266:                             ;   in Loop: Header=BB6_7055 Depth=3
	s_or_b64 exec, exec, vcc
	s_and_b64 s[40:41], s[40:41], exec
	s_or_saveexec_b64 s[42:43], s[42:43]
	v_bfrev_b32_e32 v4, 1
	s_xor_b64 exec, exec, s[42:43]
	s_cbranch_execnz .LBB6_7591
.LBB6_7267:                             ;   in Loop: Header=BB6_7055 Depth=3
	s_or_b64 exec, exec, s[42:43]
	s_and_saveexec_b64 s[38:39], s[40:41]
	s_cbranch_execz .LBB6_7269
.LBB6_7268:                             ;   in Loop: Header=BB6_7055 Depth=3
	v_and_b32_e32 v6, 3, v0
	v_and_b32_e32 v4, 0x7c0000, v9
	v_cmp_eq_u32_e32 vcc, s9, v4
	v_ffbh_u32_e32 v4, v6
	v_min_u32_e32 v35, 32, v4
	v_subrev_u32_e32 v4, 29, v35
	v_bfe_u32 v7, v9, 18, 5
	v_lshlrev_b64 v[4:5], v4, v[0:1]
	v_cmp_eq_u32_e64 s[40:41], 0, v7
	v_sub_u32_e32 v5, 30, v35
	v_cndmask_b32_e64 v5, v7, v5, s[40:41]
	v_lshlrev_b32_e32 v7, 24, v0
	v_and_b32_e32 v4, 3, v4
	v_and_b32_e32 v7, 0x80000000, v7
	v_cndmask_b32_e64 v4, v6, v4, s[40:41]
	v_lshl_add_u32 v5, v5, 23, v7
	v_lshl_or_b32 v4, v4, 21, v5
	v_mov_b32_e32 v5, -1
	v_cmp_gt_i16_sdwa s[42:43], sext(v0), v5 src0_sel:BYTE_0 src1_sel:DWORD
	v_mov_b32_e32 v0, 0xff800000
	v_mov_b32_e32 v5, 0x7f800000
	v_cmp_eq_u32_e64 s[40:41], 0, v6
	v_cndmask_b32_e64 v0, v0, v5, s[42:43]
	v_mov_b32_e32 v5, 0x7f800001
	v_add_u32_e32 v4, 0x38000000, v4
	v_cndmask_b32_e64 v0, v5, v0, s[40:41]
	v_cndmask_b32_e32 v4, v4, v0, vcc
.LBB6_7269:                             ;   in Loop: Header=BB6_7055 Depth=3
	s_or_b64 exec, exec, s[38:39]
	v_mul_f32_e32 v5, v3, v4
	v_and_b32_e32 v6, 0x7f800000, v5
	v_mov_b32_e32 v7, v34
	v_cmp_ne_u64_e32 vcc, s[76:77], v[6:7]
	v_and_b32_e32 v3, 0x7fffff, v5
	v_mov_b32_e32 v4, v34
                                        ; implicit-def: $vgpr35
	s_and_saveexec_b64 s[40:41], vcc
	s_xor_b64 s[42:43], exec, s[40:41]
	s_cbranch_execz .LBB6_7283
; %bb.7270:                             ;   in Loop: Header=BB6_7055 Depth=3
	v_and_b32_e32 v6, 0x7fffffff, v5
	v_mov_b32_e32 v7, v34
	v_cmp_gt_u64_e32 vcc, s[78:79], v[6:7]
	v_and_b32_sdwa v0, v5, s44 dst_sel:DWORD dst_unused:UNUSED_PAD src0_sel:BYTE_3 src1_sel:DWORD
                                        ; implicit-def: $vgpr35
	s_and_saveexec_b64 s[40:41], vcc
	s_xor_b64 s[38:39], exec, s[40:41]
	s_cbranch_execz .LBB6_7280
; %bb.7271:                             ;   in Loop: Header=BB6_7055 Depth=3
	v_mov_b32_e32 v35, 0
	v_cmp_ne_u32_e32 vcc, 0, v5
	s_and_saveexec_b64 s[48:49], vcc
	s_cbranch_execz .LBB6_7279
; %bb.7272:                             ;   in Loop: Header=BB6_7055 Depth=3
	v_bfe_u32 v6, v5, 23, 8
	v_cmp_gt_u32_e64 s[40:41], s45, v6
	v_sub_u32_e32 v5, 0x71, v6
	v_cmp_eq_u32_e32 vcc, 0, v6
	v_cndmask_b32_e64 v5, 0, v5, s[40:41]
	v_mov_b32_e32 v7, 0x70
	v_cndmask_b32_e32 v7, v5, v7, vcc
	v_or_b32_e32 v35, 0x800000, v3
	v_add_u32_e32 v5, 21, v7
	v_cndmask_b32_e32 v3, v35, v3, vcc
	v_lshlrev_b64 v[35:36], v5, -1
	v_add_u32_e32 v5, 20, v7
	v_bfi_b32 v35, v35, 0, v3
	v_lshlrev_b64 v[37:38], v5, 1
	v_lshrrev_b64 v[3:4], v7, v[3:4]
	v_bfi_b32 v36, v36, 0, 0
	v_cmp_eq_u64_e64 s[40:41], v[35:36], v[37:38]
	v_mov_b32_e32 v5, v4
	v_mov_b32_e32 v4, v3
	s_and_saveexec_b64 s[50:51], s[40:41]
; %bb.7273:                             ;   in Loop: Header=BB6_7055 Depth=3
	v_bfe_u32 v4, v3, 21, 1
	v_add_co_u32_e64 v4, s[40:41], v3, v4
	v_add_co_u32_e64 v4, s[40:41], -1, v4
; %bb.7274:                             ;   in Loop: Header=BB6_7055 Depth=3
	s_or_b64 exec, exec, s[50:51]
	v_add_u32_e32 v5, 0xffffff81, v6
	v_mov_b32_e32 v6, 0xffffff82
	v_cndmask_b32_e32 v5, v5, v6, vcc
	v_lshrrev_b32_e32 v6, 23, v3
	v_add3_u32 v7, v7, v5, v6
	v_add_u32_e32 v6, 14, v7
	v_and_b32_e32 v4, 0x1fffff, v4
	v_add_u32_e32 v3, v4, v3
	v_mov_b32_e32 v4, v34
	v_cmp_ne_u32_e32 vcc, 0, v6
                                        ; implicit-def: $vgpr5
	s_and_saveexec_b64 s[40:41], vcc
	s_xor_b64 s[40:41], exec, s[40:41]
; %bb.7275:                             ;   in Loop: Header=BB6_7055 Depth=3
	v_cmp_lt_u64_e32 vcc, s[88:89], v[3:4]
	v_add_u32_e32 v5, 15, v7
	v_cndmask_b32_e32 v5, v6, v5, vcc
	v_cndmask_b32_e64 v6, 0, 1, vcc
	v_lshrrev_b64 v[3:4], v6, v[3:4]
; %bb.7276:                             ;   in Loop: Header=BB6_7055 Depth=3
	s_andn2_saveexec_b64 s[40:41], s[40:41]
; %bb.7277:                             ;   in Loop: Header=BB6_7055 Depth=3
	v_bfe_u32 v5, v3, 23, 1
; %bb.7278:                             ;   in Loop: Header=BB6_7055 Depth=3
	s_or_b64 exec, exec, s[40:41]
	v_lshrrev_b64 v[3:4], 21, v[3:4]
	v_cmp_gt_i32_e32 vcc, 32, v5
	v_cndmask_b32_e32 v4, 0, v4, vcc
	v_cndmask_b32_e32 v3, 3, v3, vcc
	v_cmp_eq_u64_e64 s[40:41], 0, v[3:4]
	v_min_i32_e32 v4, 31, v5
	v_lshlrev_b32_e32 v4, 2, v4
	v_cmp_eq_u32_e32 vcc, 0, v5
	v_and_b32_e32 v4, 0xfc, v4
	v_and_or_b32 v3, v3, 3, v4
	s_and_b64 s[40:41], vcc, s[40:41]
	v_cndmask_b32_e64 v3, v3, 0, s[40:41]
	v_or_b32_e32 v35, v3, v0
.LBB6_7279:                             ;   in Loop: Header=BB6_7055 Depth=3
	s_or_b64 exec, exec, s[48:49]
                                        ; implicit-def: $vgpr0
.LBB6_7280:                             ;   in Loop: Header=BB6_7055 Depth=3
	s_andn2_saveexec_b64 s[40:41], s[38:39]
; %bb.7281:                             ;   in Loop: Header=BB6_7055 Depth=3
	v_or_b32_e32 v35, 0x7b, v0
; %bb.7282:                             ;   in Loop: Header=BB6_7055 Depth=3
	s_or_b64 exec, exec, s[40:41]
                                        ; implicit-def: $vgpr5
                                        ; implicit-def: $vgpr3_vgpr4
.LBB6_7283:                             ;   in Loop: Header=BB6_7055 Depth=3
	s_andn2_saveexec_b64 s[40:41], s[42:43]
	s_cbranch_execz .LBB6_7289
; %bb.7284:                             ;   in Loop: Header=BB6_7055 Depth=3
	v_cmp_ne_u64_e32 vcc, 0, v[3:4]
                                        ; implicit-def: $vgpr35
	s_and_saveexec_b64 s[42:43], vcc
	s_xor_b64 s[42:43], exec, s[42:43]
; %bb.7285:                             ;   in Loop: Header=BB6_7055 Depth=3
	v_or_b32_sdwa v35, v5, s83 dst_sel:DWORD dst_unused:UNUSED_PAD src0_sel:BYTE_3 src1_sel:DWORD
                                        ; implicit-def: $vgpr5
; %bb.7286:                             ;   in Loop: Header=BB6_7055 Depth=3
	s_andn2_saveexec_b64 s[42:43], s[42:43]
; %bb.7287:                             ;   in Loop: Header=BB6_7055 Depth=3
	v_cmp_lt_i32_e32 vcc, -1, v5
	v_bfrev_b32_e32 v0, 0.5
	v_mov_b32_e32 v3, 0x7c
	v_cndmask_b32_e32 v35, v0, v3, vcc
; %bb.7288:                             ;   in Loop: Header=BB6_7055 Depth=3
	s_or_b64 exec, exec, s[42:43]
.LBB6_7289:                             ;   in Loop: Header=BB6_7055 Depth=3
	s_or_b64 exec, exec, s[40:41]
	v_cmp_lt_u64_e32 vcc, s[56:57], v[12:13]
	v_mov_b32_e32 v3, 0
	s_and_saveexec_b64 s[40:41], vcc
	s_cbranch_execz .LBB6_7297
; %bb.7290:                             ;   in Loop: Header=BB6_7055 Depth=3
	v_lshrrev_b32_e32 v0, 24, v13
	v_cmp_ne_u32_e32 vcc, s44, v0
	v_bfrev_b32_e32 v3, 1
	s_and_saveexec_b64 s[42:43], vcc
	s_cbranch_execz .LBB6_7296
; %bb.7291:                             ;   in Loop: Header=BB6_7055 Depth=3
	v_and_b32_e32 v3, 0x7c000000, v13
	v_bfe_u32 v4, v13, 24, 2
	v_cmp_ne_u32_e32 vcc, s8, v3
                                        ; implicit-def: $vgpr3
	s_and_saveexec_b64 s[38:39], vcc
	s_xor_b64 s[38:39], exec, s[38:39]
	s_cbranch_execz .LBB6_7293
; %bb.7292:                             ;   in Loop: Header=BB6_7055 Depth=3
	v_ffbh_u32_e32 v5, v4
	v_min_u32_e32 v7, 32, v5
	v_subrev_u32_e32 v5, 29, v7
	v_lshlrev_b64 v[5:6], v5, v[0:1]
	v_bfe_u32 v3, v13, 26, 5
	v_sub_u32_e32 v0, 30, v7
	v_and_b32_e32 v5, 3, v5
	v_cmp_eq_u32_e32 vcc, 0, v3
	v_cndmask_b32_e32 v0, v3, v0, vcc
	v_cndmask_b32_e32 v3, v4, v5, vcc
	v_and_b32_e32 v4, 0x80000000, v13
	v_lshl_add_u32 v0, v0, 23, v4
	v_lshl_or_b32 v0, v3, 21, v0
	v_add_u32_e32 v3, 0x38000000, v0
                                        ; implicit-def: $vgpr4
.LBB6_7293:                             ;   in Loop: Header=BB6_7055 Depth=3
	s_andn2_saveexec_b64 s[38:39], s[38:39]
; %bb.7294:                             ;   in Loop: Header=BB6_7055 Depth=3
	v_cmp_lt_i64_e32 vcc, -1, v[12:13]
	v_mov_b32_e32 v0, 0xff800000
	v_mov_b32_e32 v3, 0x7f800000
	v_cndmask_b32_e32 v0, v0, v3, vcc
	v_cmp_eq_u32_e32 vcc, 0, v4
	v_mov_b32_e32 v3, 0x7f800001
	v_cndmask_b32_e32 v3, v3, v0, vcc
; %bb.7295:                             ;   in Loop: Header=BB6_7055 Depth=3
	s_or_b64 exec, exec, s[38:39]
.LBB6_7296:                             ;   in Loop: Header=BB6_7055 Depth=3
	s_or_b64 exec, exec, s[42:43]
.LBB6_7297:                             ;   in Loop: Header=BB6_7055 Depth=3
	s_or_b64 exec, exec, s[40:41]
	v_bfe_u32 v6, v9, 24, 2
	v_and_b32_e32 v4, 0x7c000000, v9
	v_cmp_eq_u32_e32 vcc, s8, v4
	v_ffbh_u32_e32 v4, v6
	v_min_u32_e32 v12, 32, v4
	v_lshrrev_b32_e32 v0, 24, v9
	v_subrev_u32_e32 v4, 29, v12
	v_bfe_u32 v7, v9, 26, 5
	v_lshlrev_b64 v[4:5], v4, v[0:1]
	v_cmp_eq_u32_e64 s[40:41], 0, v7
	v_sub_u32_e32 v5, 30, v12
	v_and_b32_e32 v4, 3, v4
	v_cndmask_b32_e64 v5, v7, v5, s[40:41]
	v_and_b32_e32 v7, 0x80000000, v9
	v_cndmask_b32_e64 v4, v6, v4, s[40:41]
	v_lshl_add_u32 v5, v5, 23, v7
	v_cmp_lt_i64_e64 s[42:43], -1, v[8:9]
	v_lshl_or_b32 v4, v4, 21, v5
	v_cmp_eq_u32_e64 s[40:41], 0, v6
	v_mov_b32_e32 v5, 0xff800000
	v_mov_b32_e32 v6, 0x7f800000
	v_cndmask_b32_e64 v5, v5, v6, s[42:43]
	v_mov_b32_e32 v6, 0x7f800001
	v_add_u32_e32 v4, 0x38000000, v4
	v_cndmask_b32_e64 v5, v6, v5, s[40:41]
	v_cndmask_b32_e32 v4, v4, v5, vcc
	v_cmp_ne_u32_e32 vcc, s44, v0
	v_bfrev_b32_e32 v0, 1
	v_cndmask_b32_e32 v0, v0, v4, vcc
	v_cmp_lt_u64_e32 vcc, s[56:57], v[8:9]
	v_mov_b32_e32 v7, v34
	v_cndmask_b32_e32 v0, 0, v0, vcc
	v_mul_f32_e32 v5, v0, v3
	v_and_b32_e32 v6, 0x7f800000, v5
	v_cmp_ne_u64_e32 vcc, s[76:77], v[6:7]
	v_and_b32_e32 v3, 0x7fffff, v5
	v_mov_b32_e32 v4, v34
                                        ; implicit-def: $vgpr9
	s_and_saveexec_b64 s[40:41], vcc
	s_xor_b64 s[42:43], exec, s[40:41]
	s_cbranch_execz .LBB6_7311
; %bb.7298:                             ;   in Loop: Header=BB6_7055 Depth=3
	v_and_b32_e32 v6, 0x7fffffff, v5
	v_mov_b32_e32 v7, v34
	v_cmp_gt_u64_e32 vcc, s[78:79], v[6:7]
	v_and_b32_sdwa v0, v5, s44 dst_sel:DWORD dst_unused:UNUSED_PAD src0_sel:BYTE_3 src1_sel:DWORD
                                        ; implicit-def: $vgpr9
	s_and_saveexec_b64 s[40:41], vcc
	s_xor_b64 s[38:39], exec, s[40:41]
	s_cbranch_execz .LBB6_7308
; %bb.7299:                             ;   in Loop: Header=BB6_7055 Depth=3
	v_mov_b32_e32 v9, 0
	v_cmp_ne_u32_e32 vcc, 0, v5
	s_and_saveexec_b64 s[48:49], vcc
	s_cbranch_execz .LBB6_7307
; %bb.7300:                             ;   in Loop: Header=BB6_7055 Depth=3
	v_bfe_u32 v6, v5, 23, 8
	v_cmp_gt_u32_e64 s[40:41], s45, v6
	v_sub_u32_e32 v5, 0x71, v6
	v_cmp_eq_u32_e32 vcc, 0, v6
	v_cndmask_b32_e64 v5, 0, v5, s[40:41]
	v_mov_b32_e32 v7, 0x70
	v_cndmask_b32_e32 v7, v5, v7, vcc
	v_or_b32_e32 v8, 0x800000, v3
	v_add_u32_e32 v5, 21, v7
	v_cndmask_b32_e32 v3, v8, v3, vcc
	v_lshlrev_b64 v[8:9], v5, -1
	v_add_u32_e32 v5, 20, v7
	v_bfi_b32 v8, v8, 0, v3
	v_lshlrev_b64 v[12:13], v5, 1
	v_lshrrev_b64 v[3:4], v7, v[3:4]
	v_bfi_b32 v9, v9, 0, 0
	v_cmp_eq_u64_e64 s[40:41], v[8:9], v[12:13]
	v_mov_b32_e32 v5, v4
	v_mov_b32_e32 v4, v3
	s_and_saveexec_b64 s[50:51], s[40:41]
; %bb.7301:                             ;   in Loop: Header=BB6_7055 Depth=3
	v_bfe_u32 v4, v3, 21, 1
	v_add_co_u32_e64 v4, s[40:41], v3, v4
	v_add_co_u32_e64 v4, s[40:41], -1, v4
; %bb.7302:                             ;   in Loop: Header=BB6_7055 Depth=3
	s_or_b64 exec, exec, s[50:51]
	v_add_u32_e32 v5, 0xffffff81, v6
	v_mov_b32_e32 v6, 0xffffff82
	v_cndmask_b32_e32 v5, v5, v6, vcc
	v_lshrrev_b32_e32 v6, 23, v3
	v_add3_u32 v7, v7, v5, v6
	v_add_u32_e32 v6, 14, v7
	v_and_b32_e32 v4, 0x1fffff, v4
	v_add_u32_e32 v3, v4, v3
	v_mov_b32_e32 v4, v34
	v_cmp_ne_u32_e32 vcc, 0, v6
                                        ; implicit-def: $vgpr5
	s_and_saveexec_b64 s[40:41], vcc
	s_xor_b64 s[40:41], exec, s[40:41]
; %bb.7303:                             ;   in Loop: Header=BB6_7055 Depth=3
	v_cmp_lt_u64_e32 vcc, s[88:89], v[3:4]
	v_add_u32_e32 v5, 15, v7
	v_cndmask_b32_e32 v5, v6, v5, vcc
	v_cndmask_b32_e64 v6, 0, 1, vcc
	v_lshrrev_b64 v[3:4], v6, v[3:4]
; %bb.7304:                             ;   in Loop: Header=BB6_7055 Depth=3
	s_andn2_saveexec_b64 s[40:41], s[40:41]
; %bb.7305:                             ;   in Loop: Header=BB6_7055 Depth=3
	v_bfe_u32 v5, v3, 23, 1
; %bb.7306:                             ;   in Loop: Header=BB6_7055 Depth=3
	s_or_b64 exec, exec, s[40:41]
	v_lshrrev_b64 v[3:4], 21, v[3:4]
	v_cmp_gt_i32_e32 vcc, 32, v5
	v_cndmask_b32_e32 v4, 0, v4, vcc
	v_cndmask_b32_e32 v3, 3, v3, vcc
	v_cmp_eq_u64_e64 s[40:41], 0, v[3:4]
	v_min_i32_e32 v4, 31, v5
	v_lshlrev_b32_e32 v4, 2, v4
	v_cmp_eq_u32_e32 vcc, 0, v5
	v_and_b32_e32 v4, 0xfc, v4
	v_and_or_b32 v3, v3, 3, v4
	s_and_b64 s[40:41], vcc, s[40:41]
	v_cndmask_b32_e64 v3, v3, 0, s[40:41]
	v_or_b32_e32 v9, v3, v0
.LBB6_7307:                             ;   in Loop: Header=BB6_7055 Depth=3
	s_or_b64 exec, exec, s[48:49]
                                        ; implicit-def: $vgpr0
.LBB6_7308:                             ;   in Loop: Header=BB6_7055 Depth=3
	s_andn2_saveexec_b64 s[40:41], s[38:39]
; %bb.7309:                             ;   in Loop: Header=BB6_7055 Depth=3
	v_or_b32_e32 v9, 0x7b, v0
; %bb.7310:                             ;   in Loop: Header=BB6_7055 Depth=3
	s_or_b64 exec, exec, s[40:41]
                                        ; implicit-def: $vgpr5
                                        ; implicit-def: $vgpr3_vgpr4
.LBB6_7311:                             ;   in Loop: Header=BB6_7055 Depth=3
	s_andn2_saveexec_b64 s[40:41], s[42:43]
	s_cbranch_execz .LBB6_7317
; %bb.7312:                             ;   in Loop: Header=BB6_7055 Depth=3
	v_cmp_ne_u64_e32 vcc, 0, v[3:4]
                                        ; implicit-def: $vgpr9
	s_and_saveexec_b64 s[42:43], vcc
	s_xor_b64 s[42:43], exec, s[42:43]
; %bb.7313:                             ;   in Loop: Header=BB6_7055 Depth=3
	v_or_b32_sdwa v9, v5, s83 dst_sel:DWORD dst_unused:UNUSED_PAD src0_sel:BYTE_3 src1_sel:DWORD
                                        ; implicit-def: $vgpr5
; %bb.7314:                             ;   in Loop: Header=BB6_7055 Depth=3
	s_andn2_saveexec_b64 s[42:43], s[42:43]
; %bb.7315:                             ;   in Loop: Header=BB6_7055 Depth=3
	v_cmp_lt_i32_e32 vcc, -1, v5
	v_bfrev_b32_e32 v0, 0.5
	v_mov_b32_e32 v3, 0x7c
	v_cndmask_b32_e32 v9, v0, v3, vcc
; %bb.7316:                             ;   in Loop: Header=BB6_7055 Depth=3
	s_or_b64 exec, exec, s[42:43]
.LBB6_7317:                             ;   in Loop: Header=BB6_7055 Depth=3
	s_or_b64 exec, exec, s[40:41]
	v_cmp_ne_u16_sdwa s[42:43], v14, v34 src0_sel:BYTE_0 src1_sel:DWORD
	v_mov_b32_e32 v0, 0
	s_and_saveexec_b64 s[40:41], s[42:43]
	s_cbranch_execz .LBB6_7325
; %bb.7318:                             ;   in Loop: Header=BB6_7055 Depth=3
	v_cmp_ne_u16_sdwa vcc, sext(v14), s80 src0_sel:BYTE_0 src1_sel:DWORD
	v_bfrev_b32_e32 v0, 1
	s_and_saveexec_b64 s[42:43], vcc
	s_cbranch_execz .LBB6_7324
; %bb.7319:                             ;   in Loop: Header=BB6_7055 Depth=3
	v_and_b32_e32 v0, 0x7c, v14
	v_and_b32_e32 v3, 3, v14
	v_cmp_ne_u32_e32 vcc, s81, v0
                                        ; implicit-def: $vgpr0
	s_and_saveexec_b64 s[38:39], vcc
	s_xor_b64 s[38:39], exec, s[38:39]
	s_cbranch_execz .LBB6_7321
; %bb.7320:                             ;   in Loop: Header=BB6_7055 Depth=3
	v_ffbh_u32_e32 v4, v3
	v_min_u32_e32 v6, 32, v4
	v_subrev_u32_e32 v4, 29, v6
	v_lshlrev_b64 v[4:5], v4, v[14:15]
	v_bfe_u32 v0, v14, 2, 5
	v_and_b32_e32 v4, 3, v4
	v_cmp_eq_u32_e32 vcc, 0, v0
	v_sub_u32_e32 v5, 30, v6
	v_cndmask_b32_e32 v3, v3, v4, vcc
	v_lshlrev_b32_e32 v4, 24, v14
	v_cndmask_b32_e32 v0, v0, v5, vcc
	v_and_b32_e32 v4, 0x80000000, v4
	v_lshl_add_u32 v0, v0, 23, v4
	v_lshl_or_b32 v0, v3, 21, v0
	v_add_u32_e32 v0, 0x38000000, v0
                                        ; implicit-def: $vgpr3
.LBB6_7321:                             ;   in Loop: Header=BB6_7055 Depth=3
	s_andn2_saveexec_b64 s[38:39], s[38:39]
; %bb.7322:                             ;   in Loop: Header=BB6_7055 Depth=3
	v_mov_b32_e32 v0, -1
	v_cmp_gt_i16_sdwa vcc, sext(v14), v0 src0_sel:BYTE_0 src1_sel:DWORD
	v_mov_b32_e32 v0, 0xff800000
	v_mov_b32_e32 v4, 0x7f800000
	v_cndmask_b32_e32 v0, v0, v4, vcc
	v_cmp_eq_u32_e32 vcc, 0, v3
	v_mov_b32_e32 v3, 0x7f800001
	v_cndmask_b32_e32 v0, v3, v0, vcc
; %bb.7323:                             ;   in Loop: Header=BB6_7055 Depth=3
	s_or_b64 exec, exec, s[38:39]
.LBB6_7324:                             ;   in Loop: Header=BB6_7055 Depth=3
	s_or_b64 exec, exec, s[42:43]
.LBB6_7325:                             ;   in Loop: Header=BB6_7055 Depth=3
	s_or_b64 exec, exec, s[40:41]
	v_cmp_gt_i16_sdwa s[42:43], v10, s83 src0_sel:BYTE_0 src1_sel:DWORD
	s_mov_b64 s[40:41], 0
	s_and_saveexec_b64 vcc, s[42:43]
	s_xor_b64 s[42:43], exec, vcc
	s_cbranch_execz .LBB6_7592
; %bb.7326:                             ;   in Loop: Header=BB6_7055 Depth=3
	v_cmp_eq_u16_sdwa s[38:39], v10, s44 src0_sel:BYTE_0 src1_sel:DWORD
	s_mov_b64 s[40:41], -1
	s_and_saveexec_b64 vcc, s[38:39]
; %bb.7327:                             ;   in Loop: Header=BB6_7055 Depth=3
	s_xor_b64 s[40:41], exec, -1
; %bb.7328:                             ;   in Loop: Header=BB6_7055 Depth=3
	s_or_b64 exec, exec, vcc
	s_and_b64 s[40:41], s[40:41], exec
	s_or_saveexec_b64 s[42:43], s[42:43]
	v_bfrev_b32_e32 v3, 1
	s_xor_b64 exec, exec, s[42:43]
	s_cbranch_execnz .LBB6_7593
.LBB6_7329:                             ;   in Loop: Header=BB6_7055 Depth=3
	s_or_b64 exec, exec, s[42:43]
	s_and_saveexec_b64 s[38:39], s[40:41]
	s_cbranch_execz .LBB6_7331
.LBB6_7330:                             ;   in Loop: Header=BB6_7055 Depth=3
	v_and_b32_e32 v5, 3, v10
	v_and_b32_e32 v3, 0x7c, v10
	v_cmp_eq_u32_e32 vcc, s81, v3
	v_ffbh_u32_e32 v3, v5
	v_min_u32_e32 v7, 32, v3
	v_subrev_u32_e32 v3, 29, v7
	v_bfe_u32 v6, v10, 2, 5
	v_lshlrev_b64 v[3:4], v3, v[10:11]
	v_cmp_eq_u32_e64 s[40:41], 0, v6
	v_sub_u32_e32 v4, 30, v7
	v_cndmask_b32_e64 v4, v6, v4, s[40:41]
	v_lshlrev_b32_e32 v6, 24, v10
	v_and_b32_e32 v3, 3, v3
	v_and_b32_e32 v6, 0x80000000, v6
	v_cndmask_b32_e64 v3, v5, v3, s[40:41]
	v_lshl_add_u32 v4, v4, 23, v6
	v_lshl_or_b32 v3, v3, 21, v4
	v_mov_b32_e32 v4, -1
	v_cmp_eq_u32_e64 s[40:41], 0, v5
	v_cmp_gt_i16_sdwa s[42:43], sext(v10), v4 src0_sel:BYTE_0 src1_sel:DWORD
	v_mov_b32_e32 v4, 0xff800000
	v_mov_b32_e32 v5, 0x7f800000
	v_cndmask_b32_e64 v4, v4, v5, s[42:43]
	v_mov_b32_e32 v5, 0x7f800001
	v_add_u32_e32 v3, 0x38000000, v3
	v_cndmask_b32_e64 v4, v5, v4, s[40:41]
	v_cndmask_b32_e32 v3, v3, v4, vcc
.LBB6_7331:                             ;   in Loop: Header=BB6_7055 Depth=3
	s_or_b64 exec, exec, s[38:39]
	v_mul_f32_e32 v5, v0, v3
	v_and_b32_e32 v6, 0x7f800000, v5
	v_mov_b32_e32 v7, v34
	v_cmp_ne_u64_e32 vcc, s[76:77], v[6:7]
	v_and_b32_e32 v3, 0x7fffff, v5
	v_mov_b32_e32 v4, v34
                                        ; implicit-def: $vgpr12
	s_and_saveexec_b64 s[40:41], vcc
	s_xor_b64 s[42:43], exec, s[40:41]
	s_cbranch_execz .LBB6_7345
; %bb.7332:                             ;   in Loop: Header=BB6_7055 Depth=3
	v_and_b32_e32 v6, 0x7fffffff, v5
	v_mov_b32_e32 v7, v34
	v_cmp_gt_u64_e32 vcc, s[78:79], v[6:7]
	v_and_b32_sdwa v0, v5, s44 dst_sel:DWORD dst_unused:UNUSED_PAD src0_sel:BYTE_3 src1_sel:DWORD
                                        ; implicit-def: $vgpr12
	s_and_saveexec_b64 s[40:41], vcc
	s_xor_b64 s[38:39], exec, s[40:41]
	s_cbranch_execz .LBB6_7342
; %bb.7333:                             ;   in Loop: Header=BB6_7055 Depth=3
	v_mov_b32_e32 v12, 0
	v_cmp_ne_u32_e32 vcc, 0, v5
	s_and_saveexec_b64 s[48:49], vcc
	s_cbranch_execz .LBB6_7341
; %bb.7334:                             ;   in Loop: Header=BB6_7055 Depth=3
	v_bfe_u32 v6, v5, 23, 8
	v_cmp_gt_u32_e64 s[40:41], s45, v6
	v_sub_u32_e32 v5, 0x71, v6
	v_cmp_eq_u32_e32 vcc, 0, v6
	v_cndmask_b32_e64 v5, 0, v5, s[40:41]
	v_mov_b32_e32 v7, 0x70
	v_cndmask_b32_e32 v7, v5, v7, vcc
	v_add_u32_e32 v5, 21, v7
	v_or_b32_e32 v8, 0x800000, v3
	v_lshlrev_b64 v[12:13], v5, -1
	v_cndmask_b32_e32 v3, v8, v3, vcc
	v_add_u32_e32 v5, 20, v7
	v_bfi_b32 v12, v12, 0, v3
	v_lshlrev_b64 v[36:37], v5, 1
	v_lshrrev_b64 v[3:4], v7, v[3:4]
	v_bfi_b32 v13, v13, 0, 0
	v_cmp_eq_u64_e64 s[40:41], v[12:13], v[36:37]
	v_mov_b32_e32 v5, v4
	v_mov_b32_e32 v4, v3
	s_and_saveexec_b64 s[50:51], s[40:41]
; %bb.7335:                             ;   in Loop: Header=BB6_7055 Depth=3
	v_bfe_u32 v4, v3, 21, 1
	v_add_co_u32_e64 v4, s[40:41], v3, v4
	v_add_co_u32_e64 v4, s[40:41], -1, v4
; %bb.7336:                             ;   in Loop: Header=BB6_7055 Depth=3
	s_or_b64 exec, exec, s[50:51]
	v_add_u32_e32 v5, 0xffffff81, v6
	v_mov_b32_e32 v6, 0xffffff82
	v_cndmask_b32_e32 v5, v5, v6, vcc
	v_lshrrev_b32_e32 v6, 23, v3
	v_add3_u32 v7, v7, v5, v6
	v_add_u32_e32 v6, 14, v7
	v_and_b32_e32 v4, 0x1fffff, v4
	v_add_u32_e32 v3, v4, v3
	v_mov_b32_e32 v4, v34
	v_cmp_ne_u32_e32 vcc, 0, v6
                                        ; implicit-def: $vgpr5
	s_and_saveexec_b64 s[40:41], vcc
	s_xor_b64 s[40:41], exec, s[40:41]
; %bb.7337:                             ;   in Loop: Header=BB6_7055 Depth=3
	v_cmp_lt_u64_e32 vcc, s[88:89], v[3:4]
	v_add_u32_e32 v5, 15, v7
	v_cndmask_b32_e32 v5, v6, v5, vcc
	v_cndmask_b32_e64 v6, 0, 1, vcc
	v_lshrrev_b64 v[3:4], v6, v[3:4]
; %bb.7338:                             ;   in Loop: Header=BB6_7055 Depth=3
	s_andn2_saveexec_b64 s[40:41], s[40:41]
; %bb.7339:                             ;   in Loop: Header=BB6_7055 Depth=3
	v_bfe_u32 v5, v3, 23, 1
; %bb.7340:                             ;   in Loop: Header=BB6_7055 Depth=3
	s_or_b64 exec, exec, s[40:41]
	v_lshrrev_b64 v[3:4], 21, v[3:4]
	v_cmp_gt_i32_e32 vcc, 32, v5
	v_cndmask_b32_e32 v4, 0, v4, vcc
	v_cndmask_b32_e32 v3, 3, v3, vcc
	v_cmp_eq_u64_e64 s[40:41], 0, v[3:4]
	v_min_i32_e32 v4, 31, v5
	v_lshlrev_b32_e32 v4, 2, v4
	v_cmp_eq_u32_e32 vcc, 0, v5
	v_and_b32_e32 v4, 0xfc, v4
	v_and_or_b32 v3, v3, 3, v4
	s_and_b64 s[40:41], vcc, s[40:41]
	v_cndmask_b32_e64 v3, v3, 0, s[40:41]
	v_or_b32_e32 v12, v3, v0
.LBB6_7341:                             ;   in Loop: Header=BB6_7055 Depth=3
	s_or_b64 exec, exec, s[48:49]
                                        ; implicit-def: $vgpr0
.LBB6_7342:                             ;   in Loop: Header=BB6_7055 Depth=3
	s_andn2_saveexec_b64 s[40:41], s[38:39]
; %bb.7343:                             ;   in Loop: Header=BB6_7055 Depth=3
	v_or_b32_e32 v12, 0x7b, v0
; %bb.7344:                             ;   in Loop: Header=BB6_7055 Depth=3
	s_or_b64 exec, exec, s[40:41]
                                        ; implicit-def: $vgpr5
                                        ; implicit-def: $vgpr3_vgpr4
.LBB6_7345:                             ;   in Loop: Header=BB6_7055 Depth=3
	s_andn2_saveexec_b64 s[40:41], s[42:43]
	s_cbranch_execz .LBB6_7351
; %bb.7346:                             ;   in Loop: Header=BB6_7055 Depth=3
	v_cmp_ne_u64_e32 vcc, 0, v[3:4]
                                        ; implicit-def: $vgpr12
	s_and_saveexec_b64 s[42:43], vcc
	s_xor_b64 s[42:43], exec, s[42:43]
; %bb.7347:                             ;   in Loop: Header=BB6_7055 Depth=3
	v_or_b32_sdwa v12, v5, s83 dst_sel:DWORD dst_unused:UNUSED_PAD src0_sel:BYTE_3 src1_sel:DWORD
                                        ; implicit-def: $vgpr5
; %bb.7348:                             ;   in Loop: Header=BB6_7055 Depth=3
	s_andn2_saveexec_b64 s[42:43], s[42:43]
; %bb.7349:                             ;   in Loop: Header=BB6_7055 Depth=3
	v_cmp_lt_i32_e32 vcc, -1, v5
	v_bfrev_b32_e32 v0, 0.5
	v_mov_b32_e32 v3, 0x7c
	v_cndmask_b32_e32 v12, v0, v3, vcc
; %bb.7350:                             ;   in Loop: Header=BB6_7055 Depth=3
	s_or_b64 exec, exec, s[42:43]
.LBB6_7351:                             ;   in Loop: Header=BB6_7055 Depth=3
	s_or_b64 exec, exec, s[40:41]
	v_lshrrev_b16_e32 v3, 8, v14
	v_cmp_ne_u16_e32 vcc, 0, v3
	v_mov_b32_e32 v0, 0
	s_and_saveexec_b64 s[40:41], vcc
	s_cbranch_execz .LBB6_7359
; %bb.7352:                             ;   in Loop: Header=BB6_7055 Depth=3
	v_cmp_ne_u16_e32 vcc, s44, v3
	v_bfrev_b32_e32 v0, 1
	s_and_saveexec_b64 s[42:43], vcc
	s_cbranch_execz .LBB6_7358
; %bb.7353:                             ;   in Loop: Header=BB6_7055 Depth=3
	v_and_b32_e32 v0, 0x7c, v3
	v_and_b32_e32 v5, 3, v3
	v_cmp_ne_u32_e32 vcc, s81, v0
                                        ; implicit-def: $vgpr0
	s_and_saveexec_b64 s[38:39], vcc
	s_xor_b64 s[38:39], exec, s[38:39]
	s_cbranch_execz .LBB6_7355
; %bb.7354:                             ;   in Loop: Header=BB6_7055 Depth=3
	v_ffbh_u32_e32 v6, v5
	v_min_u32_e32 v6, 32, v6
	v_mov_b32_e32 v4, v34
	v_subrev_u32_e32 v7, 29, v6
	v_bfe_u32 v0, v3, 2, 5
	v_lshlrev_b64 v[3:4], v7, v[3:4]
	v_sub_u32_e32 v4, 30, v6
	v_cmp_eq_u32_e32 vcc, 0, v0
	v_cndmask_b32_e32 v0, v0, v4, vcc
	v_lshlrev_b32_e32 v4, 16, v14
	v_and_b32_e32 v3, 3, v3
	v_and_b32_e32 v4, 0x80000000, v4
	v_cndmask_b32_e32 v3, v5, v3, vcc
	v_lshl_add_u32 v0, v0, 23, v4
	v_lshl_or_b32 v0, v3, 21, v0
	v_add_u32_e32 v0, 0x38000000, v0
                                        ; implicit-def: $vgpr5
.LBB6_7355:                             ;   in Loop: Header=BB6_7055 Depth=3
	s_andn2_saveexec_b64 s[38:39], s[38:39]
; %bb.7356:                             ;   in Loop: Header=BB6_7055 Depth=3
	v_cmp_lt_i16_e32 vcc, -1, v14
	v_mov_b32_e32 v0, 0xff800000
	v_mov_b32_e32 v3, 0x7f800000
	v_cndmask_b32_e32 v0, v0, v3, vcc
	v_cmp_eq_u32_e32 vcc, 0, v5
	v_mov_b32_e32 v3, 0x7f800001
	v_cndmask_b32_e32 v0, v3, v0, vcc
; %bb.7357:                             ;   in Loop: Header=BB6_7055 Depth=3
	s_or_b64 exec, exec, s[38:39]
.LBB6_7358:                             ;   in Loop: Header=BB6_7055 Depth=3
	s_or_b64 exec, exec, s[42:43]
.LBB6_7359:                             ;   in Loop: Header=BB6_7055 Depth=3
	s_or_b64 exec, exec, s[40:41]
	v_lshrrev_b16_e32 v3, 8, v10
	v_cmp_lt_i16_e32 vcc, s83, v3
	s_mov_b64 s[40:41], 0
	s_and_saveexec_b64 s[42:43], vcc
	s_xor_b64 s[42:43], exec, s[42:43]
	s_cbranch_execz .LBB6_7594
; %bb.7360:                             ;   in Loop: Header=BB6_7055 Depth=3
	v_cmp_eq_u16_e32 vcc, s44, v3
	s_mov_b64 s[40:41], -1
	s_and_saveexec_b64 s[38:39], vcc
; %bb.7361:                             ;   in Loop: Header=BB6_7055 Depth=3
	s_xor_b64 s[40:41], exec, -1
; %bb.7362:                             ;   in Loop: Header=BB6_7055 Depth=3
	s_or_b64 exec, exec, s[38:39]
	s_and_b64 s[40:41], s[40:41], exec
	s_or_saveexec_b64 s[42:43], s[42:43]
	v_bfrev_b32_e32 v4, 1
	s_xor_b64 exec, exec, s[42:43]
	s_cbranch_execnz .LBB6_7595
.LBB6_7363:                             ;   in Loop: Header=BB6_7055 Depth=3
	s_or_b64 exec, exec, s[42:43]
	s_and_saveexec_b64 s[38:39], s[40:41]
	s_cbranch_execz .LBB6_7365
.LBB6_7364:                             ;   in Loop: Header=BB6_7055 Depth=3
	v_and_b32_e32 v6, 3, v3
	v_and_b32_e32 v5, 0x7c, v3
	v_cmp_eq_u32_e32 vcc, s81, v5
	v_ffbh_u32_e32 v5, v6
	v_min_u32_e32 v8, 32, v5
	v_mov_b32_e32 v4, v34
	v_subrev_u32_e32 v5, 29, v8
	v_bfe_u32 v7, v3, 2, 5
	v_lshlrev_b64 v[4:5], v5, v[3:4]
	v_cmp_eq_u32_e64 s[40:41], 0, v7
	v_sub_u32_e32 v5, 30, v8
	v_lshlrev_b32_e32 v3, 24, v3
	v_and_b32_e32 v4, 3, v4
	v_cndmask_b32_e64 v5, v7, v5, s[40:41]
	v_and_b32_e32 v3, 0x80000000, v3
	v_cndmask_b32_e64 v4, v6, v4, s[40:41]
	v_lshl_add_u32 v3, v5, 23, v3
	v_lshl_or_b32 v3, v4, 21, v3
	v_cmp_lt_i16_e64 s[42:43], -1, v10
	v_mov_b32_e32 v4, 0xff800000
	v_mov_b32_e32 v5, 0x7f800000
	v_cmp_eq_u32_e64 s[40:41], 0, v6
	v_cndmask_b32_e64 v4, v4, v5, s[42:43]
	v_mov_b32_e32 v5, 0x7f800001
	v_add_u32_e32 v3, 0x38000000, v3
	v_cndmask_b32_e64 v4, v5, v4, s[40:41]
	v_cndmask_b32_e32 v4, v3, v4, vcc
.LBB6_7365:                             ;   in Loop: Header=BB6_7055 Depth=3
	s_or_b64 exec, exec, s[38:39]
	v_mul_f32_e32 v5, v0, v4
	v_and_b32_e32 v6, 0x7f800000, v5
	v_mov_b32_e32 v7, v34
	v_cmp_ne_u64_e32 vcc, s[76:77], v[6:7]
	v_and_b32_e32 v3, 0x7fffff, v5
	v_mov_b32_e32 v4, v34
                                        ; implicit-def: $vgpr13
	s_and_saveexec_b64 s[40:41], vcc
	s_xor_b64 s[42:43], exec, s[40:41]
	s_cbranch_execz .LBB6_7379
; %bb.7366:                             ;   in Loop: Header=BB6_7055 Depth=3
	v_and_b32_e32 v6, 0x7fffffff, v5
	v_mov_b32_e32 v7, v34
	v_cmp_gt_u64_e32 vcc, s[78:79], v[6:7]
	v_and_b32_sdwa v0, v5, s44 dst_sel:DWORD dst_unused:UNUSED_PAD src0_sel:BYTE_3 src1_sel:DWORD
                                        ; implicit-def: $vgpr13
	s_and_saveexec_b64 s[40:41], vcc
	s_xor_b64 s[38:39], exec, s[40:41]
	s_cbranch_execz .LBB6_7376
; %bb.7367:                             ;   in Loop: Header=BB6_7055 Depth=3
	v_mov_b32_e32 v13, 0
	v_cmp_ne_u32_e32 vcc, 0, v5
	s_and_saveexec_b64 s[48:49], vcc
	s_cbranch_execz .LBB6_7375
; %bb.7368:                             ;   in Loop: Header=BB6_7055 Depth=3
	v_bfe_u32 v6, v5, 23, 8
	v_cmp_gt_u32_e64 s[40:41], s45, v6
	v_sub_u32_e32 v5, 0x71, v6
	v_cmp_eq_u32_e32 vcc, 0, v6
	v_cndmask_b32_e64 v5, 0, v5, s[40:41]
	v_mov_b32_e32 v7, 0x70
	v_cndmask_b32_e32 v7, v5, v7, vcc
	v_add_u32_e32 v5, 21, v7
	v_or_b32_e32 v8, 0x800000, v3
	v_lshlrev_b64 v[36:37], v5, -1
	v_cndmask_b32_e32 v3, v8, v3, vcc
	v_add_u32_e32 v5, 20, v7
	v_bfi_b32 v36, v36, 0, v3
	v_lshlrev_b64 v[38:39], v5, 1
	v_lshrrev_b64 v[3:4], v7, v[3:4]
	v_bfi_b32 v37, v37, 0, 0
	v_cmp_eq_u64_e64 s[40:41], v[36:37], v[38:39]
	v_mov_b32_e32 v5, v4
	v_mov_b32_e32 v4, v3
	s_and_saveexec_b64 s[50:51], s[40:41]
; %bb.7369:                             ;   in Loop: Header=BB6_7055 Depth=3
	v_bfe_u32 v4, v3, 21, 1
	v_add_co_u32_e64 v4, s[40:41], v3, v4
	v_add_co_u32_e64 v4, s[40:41], -1, v4
; %bb.7370:                             ;   in Loop: Header=BB6_7055 Depth=3
	s_or_b64 exec, exec, s[50:51]
	v_add_u32_e32 v5, 0xffffff81, v6
	v_mov_b32_e32 v6, 0xffffff82
	v_cndmask_b32_e32 v5, v5, v6, vcc
	v_lshrrev_b32_e32 v6, 23, v3
	v_add3_u32 v7, v7, v5, v6
	v_add_u32_e32 v6, 14, v7
	v_and_b32_e32 v4, 0x1fffff, v4
	v_add_u32_e32 v3, v4, v3
	v_mov_b32_e32 v4, v34
	v_cmp_ne_u32_e32 vcc, 0, v6
                                        ; implicit-def: $vgpr5
	s_and_saveexec_b64 s[40:41], vcc
	s_xor_b64 s[40:41], exec, s[40:41]
; %bb.7371:                             ;   in Loop: Header=BB6_7055 Depth=3
	v_cmp_lt_u64_e32 vcc, s[88:89], v[3:4]
	v_add_u32_e32 v5, 15, v7
	v_cndmask_b32_e32 v5, v6, v5, vcc
	v_cndmask_b32_e64 v6, 0, 1, vcc
	v_lshrrev_b64 v[3:4], v6, v[3:4]
; %bb.7372:                             ;   in Loop: Header=BB6_7055 Depth=3
	s_or_saveexec_b64 s[40:41], s[40:41]
	buffer_load_dword v39, off, s[0:3], s33 offset:100 ; 4-byte Folded Reload
	s_xor_b64 exec, exec, s[40:41]
; %bb.7373:                             ;   in Loop: Header=BB6_7055 Depth=3
	v_bfe_u32 v5, v3, 23, 1
; %bb.7374:                             ;   in Loop: Header=BB6_7055 Depth=3
	s_or_b64 exec, exec, s[40:41]
	v_lshrrev_b64 v[3:4], 21, v[3:4]
	v_cmp_gt_i32_e32 vcc, 32, v5
	v_cndmask_b32_e32 v4, 0, v4, vcc
	v_cndmask_b32_e32 v3, 3, v3, vcc
	v_cmp_eq_u64_e64 s[40:41], 0, v[3:4]
	v_min_i32_e32 v4, 31, v5
	v_lshlrev_b32_e32 v4, 2, v4
	v_cmp_eq_u32_e32 vcc, 0, v5
	v_and_b32_e32 v4, 0xfc, v4
	v_and_or_b32 v3, v3, 3, v4
	s_and_b64 s[40:41], vcc, s[40:41]
	v_cndmask_b32_e64 v3, v3, 0, s[40:41]
	v_or_b32_e32 v13, v3, v0
.LBB6_7375:                             ;   in Loop: Header=BB6_7055 Depth=3
	s_or_b64 exec, exec, s[48:49]
                                        ; implicit-def: $vgpr0
.LBB6_7376:                             ;   in Loop: Header=BB6_7055 Depth=3
	s_andn2_saveexec_b64 s[40:41], s[38:39]
; %bb.7377:                             ;   in Loop: Header=BB6_7055 Depth=3
	v_or_b32_e32 v13, 0x7b, v0
; %bb.7378:                             ;   in Loop: Header=BB6_7055 Depth=3
	s_or_b64 exec, exec, s[40:41]
                                        ; implicit-def: $vgpr5
                                        ; implicit-def: $vgpr3_vgpr4
.LBB6_7379:                             ;   in Loop: Header=BB6_7055 Depth=3
	s_andn2_saveexec_b64 s[40:41], s[42:43]
	s_cbranch_execz .LBB6_7385
; %bb.7380:                             ;   in Loop: Header=BB6_7055 Depth=3
	v_cmp_ne_u64_e32 vcc, 0, v[3:4]
                                        ; implicit-def: $vgpr13
	s_and_saveexec_b64 s[42:43], vcc
	s_xor_b64 s[42:43], exec, s[42:43]
; %bb.7381:                             ;   in Loop: Header=BB6_7055 Depth=3
	v_or_b32_sdwa v13, v5, s83 dst_sel:DWORD dst_unused:UNUSED_PAD src0_sel:BYTE_3 src1_sel:DWORD
                                        ; implicit-def: $vgpr5
; %bb.7382:                             ;   in Loop: Header=BB6_7055 Depth=3
	s_andn2_saveexec_b64 s[42:43], s[42:43]
; %bb.7383:                             ;   in Loop: Header=BB6_7055 Depth=3
	v_cmp_lt_i32_e32 vcc, -1, v5
	v_bfrev_b32_e32 v0, 0.5
	v_mov_b32_e32 v3, 0x7c
	v_cndmask_b32_e32 v13, v0, v3, vcc
; %bb.7384:                             ;   in Loop: Header=BB6_7055 Depth=3
	s_or_b64 exec, exec, s[42:43]
.LBB6_7385:                             ;   in Loop: Header=BB6_7055 Depth=3
	s_or_b64 exec, exec, s[40:41]
	v_lshrrev_b32_e32 v0, 16, v14
	v_cmp_ne_u16_sdwa s[42:43], v0, v34 src0_sel:BYTE_0 src1_sel:DWORD
	v_mov_b32_e32 v3, 0
	s_and_saveexec_b64 s[40:41], s[42:43]
	s_cbranch_execz .LBB6_7393
; %bb.7386:                             ;   in Loop: Header=BB6_7055 Depth=3
	v_cmp_ne_u16_sdwa vcc, v0, s44 src0_sel:BYTE_0 src1_sel:DWORD
	v_bfrev_b32_e32 v3, 1
	s_and_saveexec_b64 s[42:43], vcc
	s_cbranch_execz .LBB6_7392
; %bb.7387:                             ;   in Loop: Header=BB6_7055 Depth=3
	v_and_b32_e32 v3, 0x7c0000, v14
	v_bfe_u32 v4, v14, 16, 2
	v_cmp_ne_u32_e32 vcc, s9, v3
                                        ; implicit-def: $vgpr3
	s_and_saveexec_b64 s[38:39], vcc
	s_xor_b64 s[38:39], exec, s[38:39]
	s_cbranch_execz .LBB6_7389
; %bb.7388:                             ;   in Loop: Header=BB6_7055 Depth=3
	v_ffbh_u32_e32 v5, v4
	v_min_u32_e32 v7, 32, v5
	v_subrev_u32_e32 v5, 29, v7
	v_lshlrev_b64 v[5:6], v5, v[0:1]
	v_bfe_u32 v3, v14, 18, 5
	v_sub_u32_e32 v0, 30, v7
	v_and_b32_e32 v5, 3, v5
	v_cmp_eq_u32_e32 vcc, 0, v3
	v_cndmask_b32_e32 v0, v3, v0, vcc
	v_cndmask_b32_e32 v3, v4, v5, vcc
	v_lshlrev_b32_e32 v4, 8, v14
	v_and_b32_e32 v4, 0x80000000, v4
	v_lshl_add_u32 v0, v0, 23, v4
	v_lshl_or_b32 v0, v3, 21, v0
	v_add_u32_e32 v3, 0x38000000, v0
                                        ; implicit-def: $vgpr4
                                        ; implicit-def: $vgpr0
.LBB6_7389:                             ;   in Loop: Header=BB6_7055 Depth=3
	s_andn2_saveexec_b64 s[38:39], s[38:39]
; %bb.7390:                             ;   in Loop: Header=BB6_7055 Depth=3
	v_mov_b32_e32 v3, -1
	v_cmp_gt_i16_sdwa vcc, sext(v0), v3 src0_sel:BYTE_0 src1_sel:DWORD
	v_mov_b32_e32 v0, 0xff800000
	v_mov_b32_e32 v3, 0x7f800000
	v_cndmask_b32_e32 v0, v0, v3, vcc
	v_cmp_eq_u32_e32 vcc, 0, v4
	v_mov_b32_e32 v3, 0x7f800001
	v_cndmask_b32_e32 v3, v3, v0, vcc
; %bb.7391:                             ;   in Loop: Header=BB6_7055 Depth=3
	s_or_b64 exec, exec, s[38:39]
.LBB6_7392:                             ;   in Loop: Header=BB6_7055 Depth=3
	s_or_b64 exec, exec, s[42:43]
.LBB6_7393:                             ;   in Loop: Header=BB6_7055 Depth=3
	s_or_b64 exec, exec, s[40:41]
	v_lshrrev_b32_e32 v0, 16, v10
	v_cmp_gt_i16_sdwa s[42:43], v0, s83 src0_sel:BYTE_0 src1_sel:DWORD
	s_mov_b64 s[40:41], 0
	s_and_saveexec_b64 vcc, s[42:43]
	s_xor_b64 s[42:43], exec, vcc
	s_cbranch_execz .LBB6_7596
; %bb.7394:                             ;   in Loop: Header=BB6_7055 Depth=3
	v_cmp_eq_u16_sdwa s[38:39], v0, s44 src0_sel:BYTE_0 src1_sel:DWORD
	s_mov_b64 s[40:41], -1
	s_and_saveexec_b64 vcc, s[38:39]
; %bb.7395:                             ;   in Loop: Header=BB6_7055 Depth=3
	s_xor_b64 s[40:41], exec, -1
; %bb.7396:                             ;   in Loop: Header=BB6_7055 Depth=3
	s_or_b64 exec, exec, vcc
	s_and_b64 s[40:41], s[40:41], exec
	s_or_saveexec_b64 s[42:43], s[42:43]
	v_bfrev_b32_e32 v4, 1
	s_xor_b64 exec, exec, s[42:43]
	s_cbranch_execnz .LBB6_7597
.LBB6_7397:                             ;   in Loop: Header=BB6_7055 Depth=3
	s_or_b64 exec, exec, s[42:43]
	s_and_saveexec_b64 s[38:39], s[40:41]
	s_cbranch_execz .LBB6_7399
.LBB6_7398:                             ;   in Loop: Header=BB6_7055 Depth=3
	v_and_b32_e32 v6, 3, v0
	v_and_b32_e32 v4, 0x7c0000, v10
	v_cmp_eq_u32_e32 vcc, s9, v4
	v_ffbh_u32_e32 v4, v6
	v_min_u32_e32 v8, 32, v4
	v_subrev_u32_e32 v4, 29, v8
	v_bfe_u32 v7, v10, 18, 5
	v_lshlrev_b64 v[4:5], v4, v[0:1]
	v_cmp_eq_u32_e64 s[40:41], 0, v7
	v_sub_u32_e32 v5, 30, v8
	v_cndmask_b32_e64 v5, v7, v5, s[40:41]
	v_lshlrev_b32_e32 v7, 24, v0
	v_and_b32_e32 v4, 3, v4
	v_and_b32_e32 v7, 0x80000000, v7
	v_cndmask_b32_e64 v4, v6, v4, s[40:41]
	v_lshl_add_u32 v5, v5, 23, v7
	v_lshl_or_b32 v4, v4, 21, v5
	v_mov_b32_e32 v5, -1
	v_cmp_gt_i16_sdwa s[42:43], sext(v0), v5 src0_sel:BYTE_0 src1_sel:DWORD
	v_mov_b32_e32 v0, 0xff800000
	v_mov_b32_e32 v5, 0x7f800000
	v_cmp_eq_u32_e64 s[40:41], 0, v6
	v_cndmask_b32_e64 v0, v0, v5, s[42:43]
	v_mov_b32_e32 v5, 0x7f800001
	v_add_u32_e32 v4, 0x38000000, v4
	v_cndmask_b32_e64 v0, v5, v0, s[40:41]
	v_cndmask_b32_e32 v4, v4, v0, vcc
.LBB6_7399:                             ;   in Loop: Header=BB6_7055 Depth=3
	s_or_b64 exec, exec, s[38:39]
	v_mul_f32_e32 v5, v3, v4
	v_and_b32_e32 v6, 0x7f800000, v5
	v_mov_b32_e32 v7, v34
	v_cmp_ne_u64_e32 vcc, s[76:77], v[6:7]
	v_and_b32_e32 v3, 0x7fffff, v5
	v_mov_b32_e32 v4, v34
                                        ; implicit-def: $vgpr36
	s_and_saveexec_b64 s[40:41], vcc
	s_xor_b64 s[42:43], exec, s[40:41]
	s_cbranch_execz .LBB6_7413
; %bb.7400:                             ;   in Loop: Header=BB6_7055 Depth=3
	v_and_b32_e32 v6, 0x7fffffff, v5
	v_mov_b32_e32 v7, v34
	v_cmp_gt_u64_e32 vcc, s[78:79], v[6:7]
	v_and_b32_sdwa v0, v5, s44 dst_sel:DWORD dst_unused:UNUSED_PAD src0_sel:BYTE_3 src1_sel:DWORD
                                        ; implicit-def: $vgpr36
	s_and_saveexec_b64 s[40:41], vcc
	s_xor_b64 s[38:39], exec, s[40:41]
	s_cbranch_execz .LBB6_7410
; %bb.7401:                             ;   in Loop: Header=BB6_7055 Depth=3
	v_mov_b32_e32 v36, 0
	v_cmp_ne_u32_e32 vcc, 0, v5
	s_and_saveexec_b64 s[48:49], vcc
	s_cbranch_execz .LBB6_7409
; %bb.7402:                             ;   in Loop: Header=BB6_7055 Depth=3
	v_bfe_u32 v6, v5, 23, 8
	v_cmp_gt_u32_e64 s[40:41], s45, v6
	v_sub_u32_e32 v5, 0x71, v6
	v_cmp_eq_u32_e32 vcc, 0, v6
	v_cndmask_b32_e64 v5, 0, v5, s[40:41]
	v_mov_b32_e32 v7, 0x70
	v_cndmask_b32_e32 v7, v5, v7, vcc
	v_add_u32_e32 v5, 21, v7
	v_or_b32_e32 v8, 0x800000, v3
	v_lshlrev_b64 v[36:37], v5, -1
	v_cndmask_b32_e32 v3, v8, v3, vcc
	v_add_u32_e32 v5, 20, v7
	v_bfi_b32 v36, v36, 0, v3
	s_waitcnt vmcnt(0)
	v_lshlrev_b64 v[38:39], v5, 1
	v_lshrrev_b64 v[3:4], v7, v[3:4]
	v_bfi_b32 v37, v37, 0, 0
	v_cmp_eq_u64_e64 s[40:41], v[36:37], v[38:39]
	v_mov_b32_e32 v5, v4
	v_mov_b32_e32 v4, v3
	s_and_saveexec_b64 s[50:51], s[40:41]
; %bb.7403:                             ;   in Loop: Header=BB6_7055 Depth=3
	v_bfe_u32 v4, v3, 21, 1
	v_add_co_u32_e64 v4, s[40:41], v3, v4
	v_add_co_u32_e64 v4, s[40:41], -1, v4
; %bb.7404:                             ;   in Loop: Header=BB6_7055 Depth=3
	s_or_b64 exec, exec, s[50:51]
	v_add_u32_e32 v5, 0xffffff81, v6
	v_mov_b32_e32 v6, 0xffffff82
	v_cndmask_b32_e32 v5, v5, v6, vcc
	v_lshrrev_b32_e32 v6, 23, v3
	v_add3_u32 v7, v7, v5, v6
	v_add_u32_e32 v6, 14, v7
	v_and_b32_e32 v4, 0x1fffff, v4
	v_add_u32_e32 v3, v4, v3
	v_mov_b32_e32 v4, v34
	v_cmp_ne_u32_e32 vcc, 0, v6
                                        ; implicit-def: $vgpr5
	s_and_saveexec_b64 s[40:41], vcc
	s_xor_b64 s[40:41], exec, s[40:41]
; %bb.7405:                             ;   in Loop: Header=BB6_7055 Depth=3
	v_cmp_lt_u64_e32 vcc, s[88:89], v[3:4]
	v_add_u32_e32 v5, 15, v7
	v_cndmask_b32_e32 v5, v6, v5, vcc
	v_cndmask_b32_e64 v6, 0, 1, vcc
	v_lshrrev_b64 v[3:4], v6, v[3:4]
; %bb.7406:                             ;   in Loop: Header=BB6_7055 Depth=3
	s_or_saveexec_b64 s[40:41], s[40:41]
	buffer_load_dword v39, off, s[0:3], s33 offset:100 ; 4-byte Folded Reload
	s_xor_b64 exec, exec, s[40:41]
; %bb.7407:                             ;   in Loop: Header=BB6_7055 Depth=3
	v_bfe_u32 v5, v3, 23, 1
; %bb.7408:                             ;   in Loop: Header=BB6_7055 Depth=3
	s_or_b64 exec, exec, s[40:41]
	v_lshrrev_b64 v[3:4], 21, v[3:4]
	v_cmp_gt_i32_e32 vcc, 32, v5
	v_cndmask_b32_e32 v4, 0, v4, vcc
	v_cndmask_b32_e32 v3, 3, v3, vcc
	v_cmp_eq_u64_e64 s[40:41], 0, v[3:4]
	v_min_i32_e32 v4, 31, v5
	v_lshlrev_b32_e32 v4, 2, v4
	v_cmp_eq_u32_e32 vcc, 0, v5
	v_and_b32_e32 v4, 0xfc, v4
	v_and_or_b32 v3, v3, 3, v4
	s_and_b64 s[40:41], vcc, s[40:41]
	v_cndmask_b32_e64 v3, v3, 0, s[40:41]
	v_or_b32_e32 v36, v3, v0
.LBB6_7409:                             ;   in Loop: Header=BB6_7055 Depth=3
	s_or_b64 exec, exec, s[48:49]
                                        ; implicit-def: $vgpr0
.LBB6_7410:                             ;   in Loop: Header=BB6_7055 Depth=3
	s_andn2_saveexec_b64 s[40:41], s[38:39]
; %bb.7411:                             ;   in Loop: Header=BB6_7055 Depth=3
	v_or_b32_e32 v36, 0x7b, v0
; %bb.7412:                             ;   in Loop: Header=BB6_7055 Depth=3
	s_or_b64 exec, exec, s[40:41]
                                        ; implicit-def: $vgpr5
                                        ; implicit-def: $vgpr3_vgpr4
.LBB6_7413:                             ;   in Loop: Header=BB6_7055 Depth=3
	s_andn2_saveexec_b64 s[40:41], s[42:43]
	s_cbranch_execz .LBB6_7419
; %bb.7414:                             ;   in Loop: Header=BB6_7055 Depth=3
	v_cmp_ne_u64_e32 vcc, 0, v[3:4]
                                        ; implicit-def: $vgpr36
	s_and_saveexec_b64 s[42:43], vcc
	s_xor_b64 s[42:43], exec, s[42:43]
; %bb.7415:                             ;   in Loop: Header=BB6_7055 Depth=3
	v_or_b32_sdwa v36, v5, s83 dst_sel:DWORD dst_unused:UNUSED_PAD src0_sel:BYTE_3 src1_sel:DWORD
                                        ; implicit-def: $vgpr5
; %bb.7416:                             ;   in Loop: Header=BB6_7055 Depth=3
	s_andn2_saveexec_b64 s[42:43], s[42:43]
; %bb.7417:                             ;   in Loop: Header=BB6_7055 Depth=3
	v_cmp_lt_i32_e32 vcc, -1, v5
	v_bfrev_b32_e32 v0, 0.5
	v_mov_b32_e32 v3, 0x7c
	v_cndmask_b32_e32 v36, v0, v3, vcc
; %bb.7418:                             ;   in Loop: Header=BB6_7055 Depth=3
	s_or_b64 exec, exec, s[42:43]
.LBB6_7419:                             ;   in Loop: Header=BB6_7055 Depth=3
	s_or_b64 exec, exec, s[40:41]
	v_cmp_lt_u32_e32 vcc, s57, v14
	v_mov_b32_e32 v3, 0
	s_and_saveexec_b64 s[40:41], vcc
	s_cbranch_execz .LBB6_7427
; %bb.7420:                             ;   in Loop: Header=BB6_7055 Depth=3
	v_lshrrev_b32_e32 v0, 24, v14
	v_cmp_ne_u32_e32 vcc, s44, v0
	v_bfrev_b32_e32 v3, 1
	s_and_saveexec_b64 s[42:43], vcc
	s_cbranch_execz .LBB6_7426
; %bb.7421:                             ;   in Loop: Header=BB6_7055 Depth=3
	v_and_b32_e32 v3, 0x7c000000, v14
	v_bfe_u32 v4, v14, 24, 2
	v_cmp_ne_u32_e32 vcc, s8, v3
                                        ; implicit-def: $vgpr3
	s_and_saveexec_b64 s[38:39], vcc
	s_xor_b64 s[38:39], exec, s[38:39]
	s_cbranch_execz .LBB6_7423
; %bb.7422:                             ;   in Loop: Header=BB6_7055 Depth=3
	v_ffbh_u32_e32 v5, v4
	v_min_u32_e32 v7, 32, v5
	v_subrev_u32_e32 v5, 29, v7
	v_lshlrev_b64 v[5:6], v5, v[0:1]
	v_bfe_u32 v3, v14, 26, 5
	v_sub_u32_e32 v0, 30, v7
	v_and_b32_e32 v5, 3, v5
	v_cmp_eq_u32_e32 vcc, 0, v3
	v_cndmask_b32_e32 v0, v3, v0, vcc
	v_cndmask_b32_e32 v3, v4, v5, vcc
	v_and_b32_e32 v4, 0x80000000, v14
	v_lshl_add_u32 v0, v0, 23, v4
	v_lshl_or_b32 v0, v3, 21, v0
	v_add_u32_e32 v3, 0x38000000, v0
                                        ; implicit-def: $vgpr4
.LBB6_7423:                             ;   in Loop: Header=BB6_7055 Depth=3
	s_andn2_saveexec_b64 s[38:39], s[38:39]
; %bb.7424:                             ;   in Loop: Header=BB6_7055 Depth=3
	v_cmp_lt_i32_e32 vcc, -1, v14
	v_mov_b32_e32 v0, 0xff800000
	v_mov_b32_e32 v3, 0x7f800000
	v_cndmask_b32_e32 v0, v0, v3, vcc
	v_cmp_eq_u32_e32 vcc, 0, v4
	v_mov_b32_e32 v3, 0x7f800001
	v_cndmask_b32_e32 v3, v3, v0, vcc
; %bb.7425:                             ;   in Loop: Header=BB6_7055 Depth=3
	s_or_b64 exec, exec, s[38:39]
.LBB6_7426:                             ;   in Loop: Header=BB6_7055 Depth=3
	s_or_b64 exec, exec, s[42:43]
.LBB6_7427:                             ;   in Loop: Header=BB6_7055 Depth=3
	s_or_b64 exec, exec, s[40:41]
	v_bfe_u32 v6, v10, 24, 2
	v_and_b32_e32 v4, 0x7c000000, v10
	v_cmp_eq_u32_e32 vcc, s8, v4
	v_ffbh_u32_e32 v4, v6
	v_min_u32_e32 v8, 32, v4
	v_lshrrev_b32_e32 v0, 24, v10
	v_subrev_u32_e32 v4, 29, v8
	v_bfe_u32 v7, v10, 26, 5
	v_lshlrev_b64 v[4:5], v4, v[0:1]
	v_cmp_eq_u32_e64 s[40:41], 0, v7
	v_sub_u32_e32 v5, 30, v8
	v_and_b32_e32 v4, 3, v4
	v_cndmask_b32_e64 v5, v7, v5, s[40:41]
	v_and_b32_e32 v7, 0x80000000, v10
	v_cndmask_b32_e64 v4, v6, v4, s[40:41]
	v_lshl_add_u32 v5, v5, 23, v7
	v_lshl_or_b32 v4, v4, 21, v5
	v_cmp_eq_u32_e64 s[40:41], 0, v6
	v_cmp_lt_i32_e64 s[42:43], -1, v10
	v_mov_b32_e32 v5, 0xff800000
	v_mov_b32_e32 v6, 0x7f800000
	v_cndmask_b32_e64 v5, v5, v6, s[42:43]
	v_mov_b32_e32 v6, 0x7f800001
	v_add_u32_e32 v4, 0x38000000, v4
	v_cndmask_b32_e64 v5, v6, v5, s[40:41]
	v_cndmask_b32_e32 v4, v4, v5, vcc
	v_cmp_ne_u32_e32 vcc, s44, v0
	v_bfrev_b32_e32 v0, 1
	v_cndmask_b32_e32 v0, v0, v4, vcc
	v_cmp_lt_u32_e32 vcc, s57, v10
	v_cndmask_b32_e32 v0, 0, v0, vcc
	v_mul_f32_e32 v5, v0, v3
	v_and_b32_e32 v6, 0x7f800000, v5
	v_mov_b32_e32 v7, v34
	v_cmp_ne_u64_e32 vcc, s[76:77], v[6:7]
	v_and_b32_e32 v3, 0x7fffff, v5
	v_mov_b32_e32 v4, v34
                                        ; implicit-def: $vgpr37
	s_and_saveexec_b64 s[40:41], vcc
	s_xor_b64 s[42:43], exec, s[40:41]
	s_cbranch_execz .LBB6_7441
; %bb.7428:                             ;   in Loop: Header=BB6_7055 Depth=3
	v_and_b32_e32 v6, 0x7fffffff, v5
	v_mov_b32_e32 v7, v34
	v_cmp_gt_u64_e32 vcc, s[78:79], v[6:7]
	v_and_b32_sdwa v0, v5, s44 dst_sel:DWORD dst_unused:UNUSED_PAD src0_sel:BYTE_3 src1_sel:DWORD
                                        ; implicit-def: $vgpr37
	s_and_saveexec_b64 s[40:41], vcc
	s_xor_b64 s[38:39], exec, s[40:41]
	s_cbranch_execz .LBB6_7438
; %bb.7429:                             ;   in Loop: Header=BB6_7055 Depth=3
	v_mov_b32_e32 v37, 0
	v_cmp_ne_u32_e32 vcc, 0, v5
	s_and_saveexec_b64 s[48:49], vcc
	s_cbranch_execz .LBB6_7437
; %bb.7430:                             ;   in Loop: Header=BB6_7055 Depth=3
	v_bfe_u32 v6, v5, 23, 8
	v_cmp_gt_u32_e64 s[40:41], s45, v6
	v_sub_u32_e32 v5, 0x71, v6
	v_cmp_eq_u32_e32 vcc, 0, v6
	v_cndmask_b32_e64 v5, 0, v5, s[40:41]
	v_mov_b32_e32 v7, 0x70
	v_cndmask_b32_e32 v7, v5, v7, vcc
	v_add_u32_e32 v5, 21, v7
	v_or_b32_e32 v8, 0x800000, v3
	v_lshlrev_b64 v[37:38], v5, -1
	v_cndmask_b32_e32 v3, v8, v3, vcc
	v_add_u32_e32 v5, 20, v7
	v_bfi_b32 v37, v37, 0, v3
	v_lshlrev_b64 v[48:49], v5, 1
	v_lshrrev_b64 v[3:4], v7, v[3:4]
	v_bfi_b32 v38, v38, 0, 0
	v_cmp_eq_u64_e64 s[40:41], v[37:38], v[48:49]
	v_mov_b32_e32 v5, v4
	v_mov_b32_e32 v4, v3
	s_and_saveexec_b64 s[50:51], s[40:41]
; %bb.7431:                             ;   in Loop: Header=BB6_7055 Depth=3
	v_bfe_u32 v4, v3, 21, 1
	v_add_co_u32_e64 v4, s[40:41], v3, v4
	v_add_co_u32_e64 v4, s[40:41], -1, v4
; %bb.7432:                             ;   in Loop: Header=BB6_7055 Depth=3
	s_or_b64 exec, exec, s[50:51]
	v_add_u32_e32 v5, 0xffffff81, v6
	v_mov_b32_e32 v6, 0xffffff82
	v_cndmask_b32_e32 v5, v5, v6, vcc
	v_lshrrev_b32_e32 v6, 23, v3
	v_add3_u32 v7, v7, v5, v6
	v_add_u32_e32 v6, 14, v7
	v_and_b32_e32 v4, 0x1fffff, v4
	v_add_u32_e32 v3, v4, v3
	v_mov_b32_e32 v4, v34
	v_cmp_ne_u32_e32 vcc, 0, v6
                                        ; implicit-def: $vgpr5
	s_and_saveexec_b64 s[40:41], vcc
	s_xor_b64 s[40:41], exec, s[40:41]
; %bb.7433:                             ;   in Loop: Header=BB6_7055 Depth=3
	v_cmp_lt_u64_e32 vcc, s[88:89], v[3:4]
	v_add_u32_e32 v5, 15, v7
	v_cndmask_b32_e32 v5, v6, v5, vcc
	v_cndmask_b32_e64 v6, 0, 1, vcc
	v_lshrrev_b64 v[3:4], v6, v[3:4]
; %bb.7434:                             ;   in Loop: Header=BB6_7055 Depth=3
	s_andn2_saveexec_b64 s[40:41], s[40:41]
; %bb.7435:                             ;   in Loop: Header=BB6_7055 Depth=3
	v_bfe_u32 v5, v3, 23, 1
; %bb.7436:                             ;   in Loop: Header=BB6_7055 Depth=3
	s_or_b64 exec, exec, s[40:41]
	v_lshrrev_b64 v[3:4], 21, v[3:4]
	v_cmp_gt_i32_e32 vcc, 32, v5
	v_cndmask_b32_e32 v4, 0, v4, vcc
	v_cndmask_b32_e32 v3, 3, v3, vcc
	v_cmp_eq_u64_e64 s[40:41], 0, v[3:4]
	v_min_i32_e32 v4, 31, v5
	v_lshlrev_b32_e32 v4, 2, v4
	v_cmp_eq_u32_e32 vcc, 0, v5
	v_and_b32_e32 v4, 0xfc, v4
	v_and_or_b32 v3, v3, 3, v4
	s_and_b64 s[40:41], vcc, s[40:41]
	v_cndmask_b32_e64 v3, v3, 0, s[40:41]
	v_or_b32_e32 v37, v3, v0
.LBB6_7437:                             ;   in Loop: Header=BB6_7055 Depth=3
	s_or_b64 exec, exec, s[48:49]
                                        ; implicit-def: $vgpr0
.LBB6_7438:                             ;   in Loop: Header=BB6_7055 Depth=3
	s_andn2_saveexec_b64 s[40:41], s[38:39]
; %bb.7439:                             ;   in Loop: Header=BB6_7055 Depth=3
	v_or_b32_e32 v37, 0x7b, v0
; %bb.7440:                             ;   in Loop: Header=BB6_7055 Depth=3
	s_or_b64 exec, exec, s[40:41]
                                        ; implicit-def: $vgpr5
                                        ; implicit-def: $vgpr3_vgpr4
.LBB6_7441:                             ;   in Loop: Header=BB6_7055 Depth=3
	s_andn2_saveexec_b64 s[40:41], s[42:43]
	s_cbranch_execz .LBB6_7447
; %bb.7442:                             ;   in Loop: Header=BB6_7055 Depth=3
	v_cmp_ne_u64_e32 vcc, 0, v[3:4]
                                        ; implicit-def: $vgpr37
	s_and_saveexec_b64 s[42:43], vcc
	s_xor_b64 s[42:43], exec, s[42:43]
; %bb.7443:                             ;   in Loop: Header=BB6_7055 Depth=3
	v_or_b32_sdwa v37, v5, s83 dst_sel:DWORD dst_unused:UNUSED_PAD src0_sel:BYTE_3 src1_sel:DWORD
                                        ; implicit-def: $vgpr5
; %bb.7444:                             ;   in Loop: Header=BB6_7055 Depth=3
	s_andn2_saveexec_b64 s[42:43], s[42:43]
; %bb.7445:                             ;   in Loop: Header=BB6_7055 Depth=3
	v_cmp_lt_i32_e32 vcc, -1, v5
	v_bfrev_b32_e32 v0, 0.5
	v_mov_b32_e32 v3, 0x7c
	v_cndmask_b32_e32 v37, v0, v3, vcc
; %bb.7446:                             ;   in Loop: Header=BB6_7055 Depth=3
	s_or_b64 exec, exec, s[42:43]
.LBB6_7447:                             ;   in Loop: Header=BB6_7055 Depth=3
	s_or_b64 exec, exec, s[40:41]
	v_mov_b32_e32 v3, v15
	v_mov_b32_e32 v4, v34
	v_cmp_ne_u16_sdwa s[42:43], v15, v34 src0_sel:BYTE_0 src1_sel:DWORD
	v_mov_b32_e32 v0, 0
	s_and_saveexec_b64 s[40:41], s[42:43]
	s_cbranch_execz .LBB6_7455
; %bb.7448:                             ;   in Loop: Header=BB6_7055 Depth=3
	v_cmp_ne_u16_sdwa vcc, v15, s44 src0_sel:BYTE_0 src1_sel:DWORD
	v_bfrev_b32_e32 v0, 1
	s_and_saveexec_b64 s[42:43], vcc
	s_cbranch_execz .LBB6_7454
; %bb.7449:                             ;   in Loop: Header=BB6_7055 Depth=3
	v_and_b32_e32 v0, 0x7c, v15
	v_and_b32_e32 v5, 3, v15
	v_cmp_ne_u32_e32 vcc, s81, v0
                                        ; implicit-def: $vgpr0
	s_and_saveexec_b64 s[38:39], vcc
	s_xor_b64 s[38:39], exec, s[38:39]
	s_cbranch_execz .LBB6_7451
; %bb.7450:                             ;   in Loop: Header=BB6_7055 Depth=3
	v_ffbh_u32_e32 v6, v5
	v_min_u32_e32 v8, 32, v6
	v_subrev_u32_e32 v6, 29, v8
	v_lshlrev_b64 v[6:7], v6, v[3:4]
	v_bfe_u32 v0, v15, 2, 5
	v_sub_u32_e32 v4, 30, v8
	v_and_b32_e32 v6, 3, v6
	v_cmp_eq_u32_e32 vcc, 0, v0
	v_cndmask_b32_e32 v0, v0, v4, vcc
	v_cndmask_b32_e32 v4, v5, v6, vcc
	v_lshlrev_b32_e32 v5, 24, v15
	v_and_b32_e32 v5, 0x80000000, v5
	v_lshl_add_u32 v0, v0, 23, v5
	v_lshl_or_b32 v0, v4, 21, v0
	v_add_u32_e32 v0, 0x38000000, v0
                                        ; implicit-def: $vgpr5
.LBB6_7451:                             ;   in Loop: Header=BB6_7055 Depth=3
	s_andn2_saveexec_b64 s[38:39], s[38:39]
; %bb.7452:                             ;   in Loop: Header=BB6_7055 Depth=3
	v_mov_b32_e32 v0, -1
	v_cmp_gt_i16_sdwa vcc, sext(v15), v0 src0_sel:BYTE_0 src1_sel:DWORD
	v_mov_b32_e32 v0, 0xff800000
	v_mov_b32_e32 v4, 0x7f800000
	v_cndmask_b32_e32 v0, v0, v4, vcc
	v_cmp_eq_u32_e32 vcc, 0, v5
	v_mov_b32_e32 v4, 0x7f800001
	v_cndmask_b32_e32 v0, v4, v0, vcc
; %bb.7453:                             ;   in Loop: Header=BB6_7055 Depth=3
	s_or_b64 exec, exec, s[38:39]
.LBB6_7454:                             ;   in Loop: Header=BB6_7055 Depth=3
	s_or_b64 exec, exec, s[42:43]
.LBB6_7455:                             ;   in Loop: Header=BB6_7055 Depth=3
	s_or_b64 exec, exec, s[40:41]
	v_cmp_gt_i16_sdwa s[42:43], v11, s83 src0_sel:BYTE_0 src1_sel:DWORD
	s_mov_b64 s[40:41], 0
	s_and_saveexec_b64 vcc, s[42:43]
	s_xor_b64 s[42:43], exec, vcc
	s_cbranch_execz .LBB6_7459
; %bb.7456:                             ;   in Loop: Header=BB6_7055 Depth=3
	v_cmp_eq_u16_sdwa s[38:39], v11, s44 src0_sel:BYTE_0 src1_sel:DWORD
	s_mov_b64 s[40:41], -1
	s_and_saveexec_b64 vcc, s[38:39]
; %bb.7457:                             ;   in Loop: Header=BB6_7055 Depth=3
	s_xor_b64 s[40:41], exec, -1
; %bb.7458:                             ;   in Loop: Header=BB6_7055 Depth=3
	s_or_b64 exec, exec, vcc
	s_and_b64 s[40:41], s[40:41], exec
.LBB6_7459:                             ;   in Loop: Header=BB6_7055 Depth=3
	s_or_saveexec_b64 s[42:43], s[42:43]
	v_bfrev_b32_e32 v4, 1
	s_xor_b64 exec, exec, s[42:43]
; %bb.7460:                             ;   in Loop: Header=BB6_7055 Depth=3
	v_cmp_ne_u16_sdwa vcc, v11, v34 src0_sel:BYTE_0 src1_sel:DWORD
	s_andn2_b64 s[40:41], s[40:41], exec
	s_and_b64 vcc, vcc, exec
	v_mov_b32_e32 v4, 0
	s_or_b64 s[40:41], s[40:41], vcc
; %bb.7461:                             ;   in Loop: Header=BB6_7055 Depth=3
	s_or_b64 exec, exec, s[42:43]
	v_mov_b32_e32 v5, v11
	v_mov_b32_e32 v6, v34
	s_and_saveexec_b64 s[38:39], s[40:41]
	s_cbranch_execz .LBB6_7463
; %bb.7462:                             ;   in Loop: Header=BB6_7055 Depth=3
	v_and_b32_e32 v4, 3, v11
	v_and_b32_e32 v7, 0x7c, v11
	v_cmp_eq_u32_e32 vcc, s81, v7
	v_ffbh_u32_e32 v7, v4
	v_min_u32_e32 v38, 32, v7
	v_subrev_u32_e32 v7, 29, v38
	v_bfe_u32 v8, v11, 2, 5
	v_lshlrev_b64 v[6:7], v7, v[5:6]
	v_cmp_eq_u32_e64 s[40:41], 0, v8
	v_sub_u32_e32 v7, 30, v38
	v_cndmask_b32_e64 v7, v8, v7, s[40:41]
	v_lshlrev_b32_e32 v8, 24, v11
	v_and_b32_e32 v6, 3, v6
	v_and_b32_e32 v8, 0x80000000, v8
	v_cndmask_b32_e64 v6, v4, v6, s[40:41]
	v_lshl_add_u32 v7, v7, 23, v8
	v_cmp_eq_u32_e64 s[40:41], 0, v4
	v_mov_b32_e32 v4, -1
	v_lshl_or_b32 v6, v6, 21, v7
	v_cmp_gt_i16_sdwa s[42:43], sext(v11), v4 src0_sel:BYTE_0 src1_sel:DWORD
	v_mov_b32_e32 v4, 0xff800000
	v_mov_b32_e32 v7, 0x7f800000
	v_cndmask_b32_e64 v4, v4, v7, s[42:43]
	v_mov_b32_e32 v7, 0x7f800001
	v_add_u32_e32 v6, 0x38000000, v6
	v_cndmask_b32_e64 v4, v7, v4, s[40:41]
	v_cndmask_b32_e32 v4, v6, v4, vcc
.LBB6_7463:                             ;   in Loop: Header=BB6_7055 Depth=3
	s_or_b64 exec, exec, s[38:39]
	v_mul_f32_e32 v4, v0, v4
	v_and_b32_e32 v7, 0x7f800000, v4
	v_mov_b32_e32 v8, v34
	v_cmp_ne_u64_e32 vcc, s[76:77], v[7:8]
	v_and_b32_e32 v6, 0x7fffff, v4
	v_mov_b32_e32 v7, v34
                                        ; implicit-def: $vgpr38
	s_and_saveexec_b64 s[40:41], vcc
	s_xor_b64 s[42:43], exec, s[40:41]
	s_cbranch_execz .LBB6_7477
; %bb.7464:                             ;   in Loop: Header=BB6_7055 Depth=3
	v_and_b32_e32 v38, 0x7fffffff, v4
	s_waitcnt vmcnt(0)
	v_mov_b32_e32 v39, v34
	v_cmp_gt_u64_e32 vcc, s[78:79], v[38:39]
	v_and_b32_sdwa v0, v4, s44 dst_sel:DWORD dst_unused:UNUSED_PAD src0_sel:BYTE_3 src1_sel:DWORD
                                        ; implicit-def: $vgpr38
	s_and_saveexec_b64 s[40:41], vcc
	s_xor_b64 s[38:39], exec, s[40:41]
	s_cbranch_execz .LBB6_7474
; %bb.7465:                             ;   in Loop: Header=BB6_7055 Depth=3
	v_mov_b32_e32 v38, 0
	v_cmp_ne_u32_e32 vcc, 0, v4
	s_and_saveexec_b64 s[48:49], vcc
	s_cbranch_execz .LBB6_7473
; %bb.7466:                             ;   in Loop: Header=BB6_7055 Depth=3
	v_bfe_u32 v4, v4, 23, 8
	v_cmp_gt_u32_e64 s[40:41], s45, v4
	v_sub_u32_e32 v8, 0x71, v4
	v_cmp_eq_u32_e32 vcc, 0, v4
	v_cndmask_b32_e64 v8, 0, v8, s[40:41]
	v_mov_b32_e32 v38, 0x70
	v_cndmask_b32_e32 v38, v8, v38, vcc
	v_add_u32_e32 v8, 21, v38
	v_or_b32_e32 v39, 0x800000, v6
	v_lshlrev_b64 v[48:49], v8, -1
	v_cndmask_b32_e32 v6, v39, v6, vcc
	v_add_u32_e32 v8, 20, v38
	v_bfi_b32 v48, v48, 0, v6
	v_lshlrev_b64 v[50:51], v8, 1
	v_lshrrev_b64 v[6:7], v38, v[6:7]
	v_bfi_b32 v49, v49, 0, 0
	v_cmp_eq_u64_e64 s[40:41], v[48:49], v[50:51]
	v_mov_b32_e32 v8, v7
	v_mov_b32_e32 v7, v6
	s_and_saveexec_b64 s[50:51], s[40:41]
; %bb.7467:                             ;   in Loop: Header=BB6_7055 Depth=3
	v_bfe_u32 v7, v6, 21, 1
	v_add_co_u32_e64 v7, s[40:41], v6, v7
	v_add_co_u32_e64 v7, s[40:41], -1, v7
; %bb.7468:                             ;   in Loop: Header=BB6_7055 Depth=3
	s_or_b64 exec, exec, s[50:51]
	v_add_u32_e32 v4, 0xffffff81, v4
	v_mov_b32_e32 v8, 0xffffff82
	v_cndmask_b32_e32 v4, v4, v8, vcc
	v_lshrrev_b32_e32 v8, 23, v6
	v_add3_u32 v38, v38, v4, v8
	v_add_u32_e32 v8, 14, v38
	v_and_b32_e32 v4, 0x1fffff, v7
	v_add_u32_e32 v6, v4, v6
	v_mov_b32_e32 v7, v34
	v_cmp_ne_u32_e32 vcc, 0, v8
                                        ; implicit-def: $vgpr4
	s_and_saveexec_b64 s[40:41], vcc
	s_xor_b64 s[40:41], exec, s[40:41]
; %bb.7469:                             ;   in Loop: Header=BB6_7055 Depth=3
	v_cmp_lt_u64_e32 vcc, s[88:89], v[6:7]
	v_add_u32_e32 v4, 15, v38
	v_cndmask_b32_e32 v4, v8, v4, vcc
	v_cndmask_b32_e64 v8, 0, 1, vcc
	v_lshrrev_b64 v[6:7], v8, v[6:7]
; %bb.7470:                             ;   in Loop: Header=BB6_7055 Depth=3
	s_andn2_saveexec_b64 s[40:41], s[40:41]
; %bb.7471:                             ;   in Loop: Header=BB6_7055 Depth=3
	v_bfe_u32 v4, v6, 23, 1
; %bb.7472:                             ;   in Loop: Header=BB6_7055 Depth=3
	s_or_b64 exec, exec, s[40:41]
	v_lshrrev_b64 v[6:7], 21, v[6:7]
	v_cmp_gt_i32_e32 vcc, 32, v4
	v_cndmask_b32_e32 v7, 0, v7, vcc
	v_cndmask_b32_e32 v6, 3, v6, vcc
	v_cmp_eq_u32_e32 vcc, 0, v4
	v_min_i32_e32 v4, 31, v4
	v_cmp_eq_u64_e64 s[40:41], 0, v[6:7]
	v_lshlrev_b32_e32 v4, 2, v4
	v_and_b32_e32 v4, 0xfc, v4
	v_and_or_b32 v4, v6, 3, v4
	s_and_b64 s[40:41], vcc, s[40:41]
	v_cndmask_b32_e64 v4, v4, 0, s[40:41]
	v_or_b32_e32 v38, v4, v0
.LBB6_7473:                             ;   in Loop: Header=BB6_7055 Depth=3
	s_or_b64 exec, exec, s[48:49]
                                        ; implicit-def: $vgpr0
.LBB6_7474:                             ;   in Loop: Header=BB6_7055 Depth=3
	s_andn2_saveexec_b64 s[40:41], s[38:39]
; %bb.7475:                             ;   in Loop: Header=BB6_7055 Depth=3
	v_or_b32_e32 v38, 0x7b, v0
; %bb.7476:                             ;   in Loop: Header=BB6_7055 Depth=3
	s_or_b64 exec, exec, s[40:41]
	buffer_load_dword v39, off, s[0:3], s33 offset:100 ; 4-byte Folded Reload
                                        ; implicit-def: $vgpr4
                                        ; implicit-def: $vgpr6_vgpr7
.LBB6_7477:                             ;   in Loop: Header=BB6_7055 Depth=3
	s_andn2_saveexec_b64 s[40:41], s[42:43]
	s_cbranch_execz .LBB6_7483
; %bb.7478:                             ;   in Loop: Header=BB6_7055 Depth=3
	v_cmp_ne_u64_e32 vcc, 0, v[6:7]
                                        ; implicit-def: $vgpr38
	s_and_saveexec_b64 s[42:43], vcc
	s_xor_b64 s[42:43], exec, s[42:43]
; %bb.7479:                             ;   in Loop: Header=BB6_7055 Depth=3
	v_or_b32_sdwa v38, v4, s83 dst_sel:DWORD dst_unused:UNUSED_PAD src0_sel:BYTE_3 src1_sel:DWORD
                                        ; implicit-def: $vgpr4
; %bb.7480:                             ;   in Loop: Header=BB6_7055 Depth=3
	s_andn2_saveexec_b64 s[42:43], s[42:43]
; %bb.7481:                             ;   in Loop: Header=BB6_7055 Depth=3
	v_cmp_lt_i32_e32 vcc, -1, v4
	v_bfrev_b32_e32 v0, 0.5
	v_mov_b32_e32 v4, 0x7c
	v_cndmask_b32_e32 v38, v0, v4, vcc
; %bb.7482:                             ;   in Loop: Header=BB6_7055 Depth=3
	s_or_b64 exec, exec, s[42:43]
.LBB6_7483:                             ;   in Loop: Header=BB6_7055 Depth=3
	s_or_b64 exec, exec, s[40:41]
	v_lshrrev_b16_e32 v6, 8, v3
	v_cmp_ne_u16_e32 vcc, 0, v6
	v_mov_b32_e32 v0, 0
	s_and_saveexec_b64 s[40:41], vcc
	s_cbranch_execz .LBB6_7491
; %bb.7484:                             ;   in Loop: Header=BB6_7055 Depth=3
	v_cmp_ne_u16_e32 vcc, s44, v6
	v_bfrev_b32_e32 v0, 1
	s_and_saveexec_b64 s[42:43], vcc
	s_cbranch_execz .LBB6_7490
; %bb.7485:                             ;   in Loop: Header=BB6_7055 Depth=3
	v_and_b32_e32 v0, 0x7c, v6
	v_and_b32_e32 v8, 3, v6
	v_cmp_ne_u32_e32 vcc, s81, v0
                                        ; implicit-def: $vgpr0
	s_and_saveexec_b64 s[38:39], vcc
	s_xor_b64 s[38:39], exec, s[38:39]
	s_cbranch_execz .LBB6_7487
; %bb.7486:                             ;   in Loop: Header=BB6_7055 Depth=3
	v_ffbh_u32_e32 v4, v8
	v_min_u32_e32 v4, 32, v4
	v_mov_b32_e32 v7, v34
	s_waitcnt vmcnt(0)
	v_subrev_u32_e32 v39, 29, v4
	v_bfe_u32 v0, v6, 2, 5
	v_lshlrev_b64 v[6:7], v39, v[6:7]
	buffer_load_dword v39, off, s[0:3], s33 offset:100 ; 4-byte Folded Reload
	v_sub_u32_e32 v4, 30, v4
	v_cmp_eq_u32_e32 vcc, 0, v0
	v_lshlrev_b32_e32 v3, 16, v3
	v_and_b32_e32 v6, 3, v6
	v_cndmask_b32_e32 v0, v0, v4, vcc
	v_and_b32_e32 v3, 0x80000000, v3
	v_cndmask_b32_e32 v4, v8, v6, vcc
	v_lshl_add_u32 v0, v0, 23, v3
	v_lshl_or_b32 v0, v4, 21, v0
	v_add_u32_e32 v0, 0x38000000, v0
                                        ; implicit-def: $vgpr8
                                        ; implicit-def: $vgpr3_vgpr4
.LBB6_7487:                             ;   in Loop: Header=BB6_7055 Depth=3
	s_andn2_saveexec_b64 s[38:39], s[38:39]
; %bb.7488:                             ;   in Loop: Header=BB6_7055 Depth=3
	v_cmp_lt_i16_e32 vcc, -1, v3
	v_mov_b32_e32 v0, 0xff800000
	v_mov_b32_e32 v3, 0x7f800000
	v_cndmask_b32_e32 v0, v0, v3, vcc
	v_cmp_eq_u32_e32 vcc, 0, v8
	v_mov_b32_e32 v3, 0x7f800001
	v_cndmask_b32_e32 v0, v3, v0, vcc
; %bb.7489:                             ;   in Loop: Header=BB6_7055 Depth=3
	s_or_b64 exec, exec, s[38:39]
.LBB6_7490:                             ;   in Loop: Header=BB6_7055 Depth=3
	s_or_b64 exec, exec, s[42:43]
.LBB6_7491:                             ;   in Loop: Header=BB6_7055 Depth=3
	s_or_b64 exec, exec, s[40:41]
	v_lshrrev_b16_e32 v3, 8, v5
	v_cmp_lt_i16_e32 vcc, s83, v3
	s_mov_b64 s[40:41], 0
	s_and_saveexec_b64 s[42:43], vcc
	s_xor_b64 s[42:43], exec, s[42:43]
	s_cbranch_execz .LBB6_7598
; %bb.7492:                             ;   in Loop: Header=BB6_7055 Depth=3
	v_cmp_eq_u16_e32 vcc, s44, v3
	s_mov_b64 s[40:41], -1
	s_and_saveexec_b64 s[38:39], vcc
; %bb.7493:                             ;   in Loop: Header=BB6_7055 Depth=3
	s_xor_b64 s[40:41], exec, -1
; %bb.7494:                             ;   in Loop: Header=BB6_7055 Depth=3
	s_or_b64 exec, exec, s[38:39]
	s_and_b64 s[40:41], s[40:41], exec
	s_or_saveexec_b64 s[42:43], s[42:43]
	v_bfrev_b32_e32 v4, 1
	s_xor_b64 exec, exec, s[42:43]
	s_cbranch_execnz .LBB6_7599
.LBB6_7495:                             ;   in Loop: Header=BB6_7055 Depth=3
	s_or_b64 exec, exec, s[42:43]
	s_and_saveexec_b64 s[38:39], s[40:41]
	s_cbranch_execz .LBB6_7497
.LBB6_7496:                             ;   in Loop: Header=BB6_7055 Depth=3
	v_and_b32_e32 v8, 3, v3
	v_and_b32_e32 v6, 0x7c, v3
	v_cmp_eq_u32_e32 vcc, s81, v6
	v_ffbh_u32_e32 v6, v8
	v_min_u32_e32 v48, 32, v6
	v_mov_b32_e32 v4, v34
	s_waitcnt vmcnt(0)
	v_bfe_u32 v39, v3, 2, 5
	v_subrev_u32_e32 v6, 29, v48
	v_cmp_eq_u32_e64 s[40:41], 0, v39
	v_lshlrev_b64 v[6:7], v6, v[3:4]
	v_sub_u32_e32 v4, 30, v48
	v_cndmask_b32_e64 v4, v39, v4, s[40:41]
	buffer_load_dword v39, off, s[0:3], s33 offset:100 ; 4-byte Folded Reload
	v_lshlrev_b32_e32 v3, 24, v3
	v_and_b32_e32 v6, 3, v6
	v_and_b32_e32 v3, 0x80000000, v3
	v_cndmask_b32_e64 v6, v8, v6, s[40:41]
	v_lshl_add_u32 v3, v4, 23, v3
	v_cmp_lt_i16_e64 s[42:43], -1, v5
	v_mov_b32_e32 v4, 0xff800000
	v_mov_b32_e32 v5, 0x7f800000
	v_lshl_or_b32 v3, v6, 21, v3
	v_cmp_eq_u32_e64 s[40:41], 0, v8
	v_cndmask_b32_e64 v4, v4, v5, s[42:43]
	v_mov_b32_e32 v5, 0x7f800001
	v_add_u32_e32 v3, 0x38000000, v3
	v_cndmask_b32_e64 v4, v5, v4, s[40:41]
	v_cndmask_b32_e32 v4, v3, v4, vcc
.LBB6_7497:                             ;   in Loop: Header=BB6_7055 Depth=3
	s_or_b64 exec, exec, s[38:39]
	v_mul_f32_e32 v5, v0, v4
	v_and_b32_e32 v6, 0x7f800000, v5
	v_mov_b32_e32 v7, v34
	v_cmp_ne_u64_e32 vcc, s[76:77], v[6:7]
	v_and_b32_e32 v3, 0x7fffff, v5
	v_mov_b32_e32 v4, v34
                                        ; implicit-def: $vgpr6
	s_and_saveexec_b64 s[40:41], vcc
	s_xor_b64 s[42:43], exec, s[40:41]
	s_cbranch_execz .LBB6_7511
; %bb.7498:                             ;   in Loop: Header=BB6_7055 Depth=3
	v_and_b32_e32 v6, 0x7fffffff, v5
	v_mov_b32_e32 v7, v34
	v_cmp_gt_u64_e32 vcc, s[78:79], v[6:7]
	v_and_b32_sdwa v0, v5, s44 dst_sel:DWORD dst_unused:UNUSED_PAD src0_sel:BYTE_3 src1_sel:DWORD
                                        ; implicit-def: $vgpr6
	s_and_saveexec_b64 s[40:41], vcc
	s_xor_b64 s[38:39], exec, s[40:41]
	s_cbranch_execz .LBB6_7508
; %bb.7499:                             ;   in Loop: Header=BB6_7055 Depth=3
	v_mov_b32_e32 v6, 0
	v_cmp_ne_u32_e32 vcc, 0, v5
	s_and_saveexec_b64 s[48:49], vcc
	s_cbranch_execz .LBB6_7507
; %bb.7500:                             ;   in Loop: Header=BB6_7055 Depth=3
	v_bfe_u32 v6, v5, 23, 8
	v_cmp_gt_u32_e64 s[40:41], s45, v6
	v_sub_u32_e32 v5, 0x71, v6
	v_cmp_eq_u32_e32 vcc, 0, v6
	v_cndmask_b32_e64 v5, 0, v5, s[40:41]
	v_mov_b32_e32 v7, 0x70
	v_cndmask_b32_e32 v7, v5, v7, vcc
	v_add_u32_e32 v5, 21, v7
	v_or_b32_e32 v8, 0x800000, v3
	v_lshlrev_b64 v[48:49], v5, -1
	v_cndmask_b32_e32 v3, v8, v3, vcc
	v_add_u32_e32 v5, 20, v7
	v_bfi_b32 v48, v48, 0, v3
	v_lshlrev_b64 v[50:51], v5, 1
	v_lshrrev_b64 v[3:4], v7, v[3:4]
	v_bfi_b32 v49, v49, 0, 0
	v_cmp_eq_u64_e64 s[40:41], v[48:49], v[50:51]
	v_mov_b32_e32 v5, v4
	v_mov_b32_e32 v4, v3
	s_and_saveexec_b64 s[50:51], s[40:41]
; %bb.7501:                             ;   in Loop: Header=BB6_7055 Depth=3
	v_bfe_u32 v4, v3, 21, 1
	v_add_co_u32_e64 v4, s[40:41], v3, v4
	v_add_co_u32_e64 v4, s[40:41], -1, v4
; %bb.7502:                             ;   in Loop: Header=BB6_7055 Depth=3
	s_or_b64 exec, exec, s[50:51]
	v_add_u32_e32 v5, 0xffffff81, v6
	v_mov_b32_e32 v6, 0xffffff82
	v_cndmask_b32_e32 v5, v5, v6, vcc
	v_lshrrev_b32_e32 v6, 23, v3
	v_add3_u32 v7, v7, v5, v6
	v_add_u32_e32 v6, 14, v7
	v_and_b32_e32 v4, 0x1fffff, v4
	v_add_u32_e32 v3, v4, v3
	v_mov_b32_e32 v4, v34
	v_cmp_ne_u32_e32 vcc, 0, v6
                                        ; implicit-def: $vgpr5
	s_and_saveexec_b64 s[40:41], vcc
	s_xor_b64 s[40:41], exec, s[40:41]
; %bb.7503:                             ;   in Loop: Header=BB6_7055 Depth=3
	v_cmp_lt_u64_e32 vcc, s[88:89], v[3:4]
	v_add_u32_e32 v5, 15, v7
	v_cndmask_b32_e32 v5, v6, v5, vcc
	v_cndmask_b32_e64 v6, 0, 1, vcc
	v_lshrrev_b64 v[3:4], v6, v[3:4]
; %bb.7504:                             ;   in Loop: Header=BB6_7055 Depth=3
	s_andn2_saveexec_b64 s[40:41], s[40:41]
; %bb.7505:                             ;   in Loop: Header=BB6_7055 Depth=3
	v_bfe_u32 v5, v3, 23, 1
; %bb.7506:                             ;   in Loop: Header=BB6_7055 Depth=3
	s_or_b64 exec, exec, s[40:41]
	v_lshrrev_b64 v[3:4], 21, v[3:4]
	v_cmp_gt_i32_e32 vcc, 32, v5
	v_cndmask_b32_e32 v4, 0, v4, vcc
	v_cndmask_b32_e32 v3, 3, v3, vcc
	v_cmp_eq_u64_e64 s[40:41], 0, v[3:4]
	v_min_i32_e32 v4, 31, v5
	v_lshlrev_b32_e32 v4, 2, v4
	v_cmp_eq_u32_e32 vcc, 0, v5
	v_and_b32_e32 v4, 0xfc, v4
	v_and_or_b32 v3, v3, 3, v4
	s_and_b64 s[40:41], vcc, s[40:41]
	v_cndmask_b32_e64 v3, v3, 0, s[40:41]
	v_or_b32_e32 v6, v3, v0
.LBB6_7507:                             ;   in Loop: Header=BB6_7055 Depth=3
	s_or_b64 exec, exec, s[48:49]
                                        ; implicit-def: $vgpr0
.LBB6_7508:                             ;   in Loop: Header=BB6_7055 Depth=3
	s_andn2_saveexec_b64 s[40:41], s[38:39]
; %bb.7509:                             ;   in Loop: Header=BB6_7055 Depth=3
	v_or_b32_e32 v6, 0x7b, v0
; %bb.7510:                             ;   in Loop: Header=BB6_7055 Depth=3
	s_or_b64 exec, exec, s[40:41]
                                        ; implicit-def: $vgpr5
                                        ; implicit-def: $vgpr3_vgpr4
.LBB6_7511:                             ;   in Loop: Header=BB6_7055 Depth=3
	s_andn2_saveexec_b64 s[40:41], s[42:43]
	s_cbranch_execz .LBB6_7517
; %bb.7512:                             ;   in Loop: Header=BB6_7055 Depth=3
	v_cmp_ne_u64_e32 vcc, 0, v[3:4]
                                        ; implicit-def: $vgpr6
	s_and_saveexec_b64 s[42:43], vcc
	s_xor_b64 s[42:43], exec, s[42:43]
; %bb.7513:                             ;   in Loop: Header=BB6_7055 Depth=3
	v_or_b32_sdwa v6, v5, s83 dst_sel:DWORD dst_unused:UNUSED_PAD src0_sel:BYTE_3 src1_sel:DWORD
                                        ; implicit-def: $vgpr5
; %bb.7514:                             ;   in Loop: Header=BB6_7055 Depth=3
	s_andn2_saveexec_b64 s[42:43], s[42:43]
; %bb.7515:                             ;   in Loop: Header=BB6_7055 Depth=3
	v_cmp_lt_i32_e32 vcc, -1, v5
	v_bfrev_b32_e32 v0, 0.5
	v_mov_b32_e32 v3, 0x7c
	v_cndmask_b32_e32 v6, v0, v3, vcc
; %bb.7516:                             ;   in Loop: Header=BB6_7055 Depth=3
	s_or_b64 exec, exec, s[42:43]
.LBB6_7517:                             ;   in Loop: Header=BB6_7055 Depth=3
	s_or_b64 exec, exec, s[40:41]
	v_lshrrev_b32_e32 v0, 16, v15
	v_cmp_ne_u16_sdwa s[42:43], v0, v34 src0_sel:BYTE_0 src1_sel:DWORD
	v_mov_b32_e32 v3, 0
	s_and_saveexec_b64 s[40:41], s[42:43]
	s_cbranch_execz .LBB6_7525
; %bb.7518:                             ;   in Loop: Header=BB6_7055 Depth=3
	v_cmp_ne_u16_sdwa vcc, v0, s44 src0_sel:BYTE_0 src1_sel:DWORD
	v_bfrev_b32_e32 v3, 1
	s_and_saveexec_b64 s[42:43], vcc
	s_cbranch_execz .LBB6_7524
; %bb.7519:                             ;   in Loop: Header=BB6_7055 Depth=3
	v_and_b32_e32 v3, 0x7c0000, v15
	v_bfe_u32 v4, v15, 16, 2
	v_cmp_ne_u32_e32 vcc, s9, v3
                                        ; implicit-def: $vgpr3
	s_and_saveexec_b64 s[38:39], vcc
	s_xor_b64 s[38:39], exec, s[38:39]
	s_cbranch_execz .LBB6_7521
; %bb.7520:                             ;   in Loop: Header=BB6_7055 Depth=3
	v_ffbh_u32_e32 v5, v4
	v_min_u32_e32 v5, 32, v5
	v_subrev_u32_e32 v7, 29, v5
	v_lshlrev_b64 v[7:8], v7, v[0:1]
	v_bfe_u32 v3, v15, 18, 5
	v_sub_u32_e32 v0, 30, v5
	v_and_b32_e32 v5, 3, v7
	v_cmp_eq_u32_e32 vcc, 0, v3
	v_cndmask_b32_e32 v0, v3, v0, vcc
	v_cndmask_b32_e32 v3, v4, v5, vcc
	v_lshlrev_b32_e32 v4, 8, v15
	v_and_b32_e32 v4, 0x80000000, v4
	v_lshl_add_u32 v0, v0, 23, v4
	v_lshl_or_b32 v0, v3, 21, v0
	v_add_u32_e32 v3, 0x38000000, v0
                                        ; implicit-def: $vgpr4
                                        ; implicit-def: $vgpr0
.LBB6_7521:                             ;   in Loop: Header=BB6_7055 Depth=3
	s_andn2_saveexec_b64 s[38:39], s[38:39]
; %bb.7522:                             ;   in Loop: Header=BB6_7055 Depth=3
	v_mov_b32_e32 v3, -1
	v_cmp_gt_i16_sdwa vcc, sext(v0), v3 src0_sel:BYTE_0 src1_sel:DWORD
	v_mov_b32_e32 v0, 0xff800000
	v_mov_b32_e32 v3, 0x7f800000
	v_cndmask_b32_e32 v0, v0, v3, vcc
	v_cmp_eq_u32_e32 vcc, 0, v4
	v_mov_b32_e32 v3, 0x7f800001
	v_cndmask_b32_e32 v3, v3, v0, vcc
; %bb.7523:                             ;   in Loop: Header=BB6_7055 Depth=3
	s_or_b64 exec, exec, s[38:39]
.LBB6_7524:                             ;   in Loop: Header=BB6_7055 Depth=3
	s_or_b64 exec, exec, s[42:43]
.LBB6_7525:                             ;   in Loop: Header=BB6_7055 Depth=3
	s_or_b64 exec, exec, s[40:41]
	v_lshrrev_b32_e32 v0, 16, v11
	v_cmp_gt_i16_sdwa s[42:43], v0, s83 src0_sel:BYTE_0 src1_sel:DWORD
	s_mov_b64 s[40:41], 0
	s_and_saveexec_b64 vcc, s[42:43]
	s_xor_b64 s[42:43], exec, vcc
	s_cbranch_execz .LBB6_7600
; %bb.7526:                             ;   in Loop: Header=BB6_7055 Depth=3
	v_cmp_eq_u16_sdwa s[38:39], v0, s44 src0_sel:BYTE_0 src1_sel:DWORD
	s_mov_b64 s[40:41], -1
	s_and_saveexec_b64 vcc, s[38:39]
; %bb.7527:                             ;   in Loop: Header=BB6_7055 Depth=3
	s_xor_b64 s[40:41], exec, -1
; %bb.7528:                             ;   in Loop: Header=BB6_7055 Depth=3
	s_or_b64 exec, exec, vcc
	s_and_b64 s[40:41], s[40:41], exec
	s_or_saveexec_b64 s[42:43], s[42:43]
	v_bfrev_b32_e32 v4, 1
	s_xor_b64 exec, exec, s[42:43]
	s_cbranch_execnz .LBB6_7601
.LBB6_7529:                             ;   in Loop: Header=BB6_7055 Depth=3
	s_or_b64 exec, exec, s[42:43]
	s_and_saveexec_b64 s[38:39], s[40:41]
	s_cbranch_execz .LBB6_7531
.LBB6_7530:                             ;   in Loop: Header=BB6_7055 Depth=3
	v_and_b32_e32 v7, 3, v0
	v_and_b32_e32 v4, 0x7c0000, v11
	v_cmp_eq_u32_e32 vcc, s9, v4
	v_ffbh_u32_e32 v4, v7
	s_waitcnt vmcnt(0)
	v_min_u32_e32 v39, 32, v4
	v_subrev_u32_e32 v4, 29, v39
	v_lshlrev_b64 v[4:5], v4, v[0:1]
	v_sub_u32_e32 v5, 30, v39
	buffer_load_dword v39, off, s[0:3], s33 offset:100 ; 4-byte Folded Reload
	v_bfe_u32 v8, v11, 18, 5
	v_cmp_eq_u32_e64 s[40:41], 0, v8
	v_cndmask_b32_e64 v5, v8, v5, s[40:41]
	v_lshlrev_b32_e32 v8, 24, v0
	v_and_b32_e32 v4, 3, v4
	v_and_b32_e32 v8, 0x80000000, v8
	v_cndmask_b32_e64 v4, v7, v4, s[40:41]
	v_lshl_add_u32 v5, v5, 23, v8
	v_lshl_or_b32 v4, v4, 21, v5
	v_mov_b32_e32 v5, -1
	v_cmp_gt_i16_sdwa s[42:43], sext(v0), v5 src0_sel:BYTE_0 src1_sel:DWORD
	v_mov_b32_e32 v0, 0xff800000
	v_mov_b32_e32 v5, 0x7f800000
	v_cmp_eq_u32_e64 s[40:41], 0, v7
	v_cndmask_b32_e64 v0, v0, v5, s[42:43]
	v_mov_b32_e32 v5, 0x7f800001
	v_add_u32_e32 v4, 0x38000000, v4
	v_cndmask_b32_e64 v0, v5, v0, s[40:41]
	v_cndmask_b32_e32 v4, v4, v0, vcc
.LBB6_7531:                             ;   in Loop: Header=BB6_7055 Depth=3
	s_or_b64 exec, exec, s[38:39]
	v_mul_f32_e32 v5, v3, v4
	v_and_b32_e32 v7, 0x7f800000, v5
	v_mov_b32_e32 v8, v34
	v_cmp_ne_u64_e32 vcc, s[76:77], v[7:8]
	v_and_b32_e32 v3, 0x7fffff, v5
	v_mov_b32_e32 v4, v34
                                        ; implicit-def: $vgpr7
	s_and_saveexec_b64 s[40:41], vcc
	s_xor_b64 s[42:43], exec, s[40:41]
	s_cbranch_execz .LBB6_7545
; %bb.7532:                             ;   in Loop: Header=BB6_7055 Depth=3
	v_and_b32_e32 v7, 0x7fffffff, v5
	v_mov_b32_e32 v8, v34
	v_cmp_gt_u64_e32 vcc, s[78:79], v[7:8]
	v_and_b32_sdwa v0, v5, s44 dst_sel:DWORD dst_unused:UNUSED_PAD src0_sel:BYTE_3 src1_sel:DWORD
                                        ; implicit-def: $vgpr7
	s_and_saveexec_b64 s[40:41], vcc
	s_xor_b64 s[38:39], exec, s[40:41]
	s_cbranch_execz .LBB6_7542
; %bb.7533:                             ;   in Loop: Header=BB6_7055 Depth=3
	v_mov_b32_e32 v7, 0
	v_cmp_ne_u32_e32 vcc, 0, v5
	s_and_saveexec_b64 s[48:49], vcc
	s_cbranch_execz .LBB6_7541
; %bb.7534:                             ;   in Loop: Header=BB6_7055 Depth=3
	v_bfe_u32 v7, v5, 23, 8
	v_cmp_gt_u32_e64 s[40:41], s45, v7
	v_sub_u32_e32 v5, 0x71, v7
	v_cmp_eq_u32_e32 vcc, 0, v7
	v_cndmask_b32_e64 v5, 0, v5, s[40:41]
	v_mov_b32_e32 v8, 0x70
	v_cndmask_b32_e32 v8, v5, v8, vcc
	v_add_u32_e32 v5, 21, v8
	s_waitcnt vmcnt(0)
	v_or_b32_e32 v39, 0x800000, v3
	v_lshlrev_b64 v[48:49], v5, -1
	v_cndmask_b32_e32 v3, v39, v3, vcc
	v_add_u32_e32 v5, 20, v8
	v_bfi_b32 v48, v48, 0, v3
	v_lshlrev_b64 v[50:51], v5, 1
	v_lshrrev_b64 v[3:4], v8, v[3:4]
	v_bfi_b32 v49, v49, 0, 0
	v_cmp_eq_u64_e64 s[40:41], v[48:49], v[50:51]
	v_mov_b32_e32 v5, v4
	v_mov_b32_e32 v4, v3
	s_and_saveexec_b64 s[50:51], s[40:41]
; %bb.7535:                             ;   in Loop: Header=BB6_7055 Depth=3
	v_bfe_u32 v4, v3, 21, 1
	v_add_co_u32_e64 v4, s[40:41], v3, v4
	v_add_co_u32_e64 v4, s[40:41], -1, v4
; %bb.7536:                             ;   in Loop: Header=BB6_7055 Depth=3
	s_or_b64 exec, exec, s[50:51]
	v_add_u32_e32 v5, 0xffffff81, v7
	v_mov_b32_e32 v7, 0xffffff82
	v_cndmask_b32_e32 v5, v5, v7, vcc
	v_lshrrev_b32_e32 v7, 23, v3
	v_add3_u32 v8, v8, v5, v7
	v_add_u32_e32 v7, 14, v8
	v_and_b32_e32 v4, 0x1fffff, v4
	v_add_u32_e32 v3, v4, v3
	v_mov_b32_e32 v4, v34
	v_cmp_ne_u32_e32 vcc, 0, v7
                                        ; implicit-def: $vgpr5
	s_and_saveexec_b64 s[40:41], vcc
	s_xor_b64 s[40:41], exec, s[40:41]
; %bb.7537:                             ;   in Loop: Header=BB6_7055 Depth=3
	v_cmp_lt_u64_e32 vcc, s[88:89], v[3:4]
	v_add_u32_e32 v5, 15, v8
	v_cndmask_b32_e32 v5, v7, v5, vcc
	v_cndmask_b32_e64 v7, 0, 1, vcc
	v_lshrrev_b64 v[3:4], v7, v[3:4]
; %bb.7538:                             ;   in Loop: Header=BB6_7055 Depth=3
	s_or_saveexec_b64 s[40:41], s[40:41]
	buffer_load_dword v39, off, s[0:3], s33 offset:100 ; 4-byte Folded Reload
	s_xor_b64 exec, exec, s[40:41]
; %bb.7539:                             ;   in Loop: Header=BB6_7055 Depth=3
	v_bfe_u32 v5, v3, 23, 1
; %bb.7540:                             ;   in Loop: Header=BB6_7055 Depth=3
	s_or_b64 exec, exec, s[40:41]
	v_lshrrev_b64 v[3:4], 21, v[3:4]
	v_cmp_gt_i32_e32 vcc, 32, v5
	v_cndmask_b32_e32 v4, 0, v4, vcc
	v_cndmask_b32_e32 v3, 3, v3, vcc
	v_cmp_eq_u64_e64 s[40:41], 0, v[3:4]
	v_min_i32_e32 v4, 31, v5
	v_lshlrev_b32_e32 v4, 2, v4
	v_cmp_eq_u32_e32 vcc, 0, v5
	v_and_b32_e32 v4, 0xfc, v4
	v_and_or_b32 v3, v3, 3, v4
	s_and_b64 s[40:41], vcc, s[40:41]
	v_cndmask_b32_e64 v3, v3, 0, s[40:41]
	v_or_b32_e32 v7, v3, v0
.LBB6_7541:                             ;   in Loop: Header=BB6_7055 Depth=3
	s_or_b64 exec, exec, s[48:49]
                                        ; implicit-def: $vgpr0
.LBB6_7542:                             ;   in Loop: Header=BB6_7055 Depth=3
	s_andn2_saveexec_b64 s[40:41], s[38:39]
; %bb.7543:                             ;   in Loop: Header=BB6_7055 Depth=3
	v_or_b32_e32 v7, 0x7b, v0
; %bb.7544:                             ;   in Loop: Header=BB6_7055 Depth=3
	s_or_b64 exec, exec, s[40:41]
                                        ; implicit-def: $vgpr5
                                        ; implicit-def: $vgpr3_vgpr4
.LBB6_7545:                             ;   in Loop: Header=BB6_7055 Depth=3
	s_andn2_saveexec_b64 s[40:41], s[42:43]
	s_cbranch_execz .LBB6_7551
; %bb.7546:                             ;   in Loop: Header=BB6_7055 Depth=3
	v_cmp_ne_u64_e32 vcc, 0, v[3:4]
                                        ; implicit-def: $vgpr7
	s_and_saveexec_b64 s[42:43], vcc
	s_xor_b64 s[42:43], exec, s[42:43]
; %bb.7547:                             ;   in Loop: Header=BB6_7055 Depth=3
	v_or_b32_sdwa v7, v5, s83 dst_sel:DWORD dst_unused:UNUSED_PAD src0_sel:BYTE_3 src1_sel:DWORD
                                        ; implicit-def: $vgpr5
; %bb.7548:                             ;   in Loop: Header=BB6_7055 Depth=3
	s_andn2_saveexec_b64 s[42:43], s[42:43]
; %bb.7549:                             ;   in Loop: Header=BB6_7055 Depth=3
	v_cmp_lt_i32_e32 vcc, -1, v5
	v_bfrev_b32_e32 v0, 0.5
	v_mov_b32_e32 v3, 0x7c
	v_cndmask_b32_e32 v7, v0, v3, vcc
; %bb.7550:                             ;   in Loop: Header=BB6_7055 Depth=3
	s_or_b64 exec, exec, s[42:43]
.LBB6_7551:                             ;   in Loop: Header=BB6_7055 Depth=3
	s_or_b64 exec, exec, s[40:41]
	v_cmp_lt_u64_e32 vcc, s[56:57], v[14:15]
	v_mov_b32_e32 v3, 0
	s_and_saveexec_b64 s[40:41], vcc
	s_cbranch_execz .LBB6_7559
; %bb.7552:                             ;   in Loop: Header=BB6_7055 Depth=3
	v_lshrrev_b32_e32 v0, 24, v15
	v_cmp_ne_u32_e32 vcc, s44, v0
	v_bfrev_b32_e32 v3, 1
	s_and_saveexec_b64 s[42:43], vcc
	s_cbranch_execz .LBB6_7558
; %bb.7553:                             ;   in Loop: Header=BB6_7055 Depth=3
	v_and_b32_e32 v3, 0x7c000000, v15
	v_bfe_u32 v4, v15, 24, 2
	v_cmp_ne_u32_e32 vcc, s8, v3
                                        ; implicit-def: $vgpr3
	s_and_saveexec_b64 s[38:39], vcc
	s_xor_b64 s[38:39], exec, s[38:39]
	s_cbranch_execz .LBB6_7555
; %bb.7554:                             ;   in Loop: Header=BB6_7055 Depth=3
	v_ffbh_u32_e32 v5, v4
	v_min_u32_e32 v5, 32, v5
	v_subrev_u32_e32 v8, 29, v5
	v_lshlrev_b64 v[48:49], v8, v[0:1]
	v_bfe_u32 v3, v15, 26, 5
	v_sub_u32_e32 v0, 30, v5
	v_and_b32_e32 v5, 3, v48
	v_cmp_eq_u32_e32 vcc, 0, v3
	v_cndmask_b32_e32 v0, v3, v0, vcc
	v_cndmask_b32_e32 v3, v4, v5, vcc
	v_and_b32_e32 v4, 0x80000000, v15
	v_lshl_add_u32 v0, v0, 23, v4
	v_lshl_or_b32 v0, v3, 21, v0
	v_add_u32_e32 v3, 0x38000000, v0
                                        ; implicit-def: $vgpr4
                                        ; implicit-def: $vgpr14_vgpr15
.LBB6_7555:                             ;   in Loop: Header=BB6_7055 Depth=3
	s_andn2_saveexec_b64 s[38:39], s[38:39]
; %bb.7556:                             ;   in Loop: Header=BB6_7055 Depth=3
	v_cmp_lt_i64_e32 vcc, -1, v[14:15]
	v_mov_b32_e32 v0, 0xff800000
	v_mov_b32_e32 v3, 0x7f800000
	v_cndmask_b32_e32 v0, v0, v3, vcc
	v_cmp_eq_u32_e32 vcc, 0, v4
	v_mov_b32_e32 v3, 0x7f800001
	v_cndmask_b32_e32 v3, v3, v0, vcc
; %bb.7557:                             ;   in Loop: Header=BB6_7055 Depth=3
	s_or_b64 exec, exec, s[38:39]
.LBB6_7558:                             ;   in Loop: Header=BB6_7055 Depth=3
	s_or_b64 exec, exec, s[42:43]
.LBB6_7559:                             ;   in Loop: Header=BB6_7055 Depth=3
	s_or_b64 exec, exec, s[40:41]
	v_bfe_u32 v8, v11, 24, 2
	v_and_b32_e32 v4, 0x7c000000, v11
	v_cmp_eq_u32_e32 vcc, s8, v4
	v_ffbh_u32_e32 v4, v8
	v_min_u32_e32 v15, 32, v4
	v_lshrrev_b32_e32 v0, 24, v11
	v_subrev_u32_e32 v4, 29, v15
	v_bfe_u32 v14, v11, 26, 5
	v_lshlrev_b64 v[4:5], v4, v[0:1]
	v_cmp_eq_u32_e64 s[40:41], 0, v14
	v_sub_u32_e32 v5, 30, v15
	v_and_b32_e32 v4, 3, v4
	v_cndmask_b32_e64 v5, v14, v5, s[40:41]
	v_and_b32_e32 v14, 0x80000000, v11
	v_cndmask_b32_e64 v4, v8, v4, s[40:41]
	v_lshl_add_u32 v5, v5, 23, v14
	v_cmp_lt_i64_e64 s[42:43], -1, v[10:11]
	v_lshl_or_b32 v4, v4, 21, v5
	v_cmp_eq_u32_e64 s[40:41], 0, v8
	v_mov_b32_e32 v5, 0xff800000
	v_mov_b32_e32 v8, 0x7f800000
	v_cndmask_b32_e64 v5, v5, v8, s[42:43]
	v_mov_b32_e32 v8, 0x7f800001
	v_add_u32_e32 v4, 0x38000000, v4
	v_cndmask_b32_e64 v5, v8, v5, s[40:41]
	v_cndmask_b32_e32 v4, v4, v5, vcc
	v_cmp_ne_u32_e32 vcc, s44, v0
	v_bfrev_b32_e32 v0, 1
	v_cndmask_b32_e32 v0, v0, v4, vcc
	v_cmp_lt_u64_e32 vcc, s[56:57], v[10:11]
	v_mov_b32_e32 v11, v34
	v_cndmask_b32_e32 v0, 0, v0, vcc
	v_mul_f32_e32 v8, v0, v3
	v_and_b32_e32 v10, 0x7f800000, v8
	v_cmp_ne_u64_e32 vcc, s[76:77], v[10:11]
	v_and_b32_e32 v3, 0x7fffff, v8
	v_mov_b32_e32 v4, v34
                                        ; implicit-def: $vgpr5
	s_and_saveexec_b64 s[40:41], vcc
	s_xor_b64 s[42:43], exec, s[40:41]
	s_cbranch_execz .LBB6_7573
; %bb.7560:                             ;   in Loop: Header=BB6_7055 Depth=3
	v_and_b32_e32 v10, 0x7fffffff, v8
	v_mov_b32_e32 v11, v34
	v_cmp_gt_u64_e32 vcc, s[78:79], v[10:11]
	v_and_b32_sdwa v0, v8, s44 dst_sel:DWORD dst_unused:UNUSED_PAD src0_sel:BYTE_3 src1_sel:DWORD
                                        ; implicit-def: $vgpr5
	s_and_saveexec_b64 s[40:41], vcc
	s_xor_b64 s[38:39], exec, s[40:41]
	s_cbranch_execz .LBB6_7570
; %bb.7561:                             ;   in Loop: Header=BB6_7055 Depth=3
	v_mov_b32_e32 v5, 0
	v_cmp_ne_u32_e32 vcc, 0, v8
	s_and_saveexec_b64 s[48:49], vcc
	s_cbranch_execz .LBB6_7569
; %bb.7562:                             ;   in Loop: Header=BB6_7055 Depth=3
	v_bfe_u32 v8, v8, 23, 8
	v_cmp_gt_u32_e64 s[40:41], s45, v8
	v_sub_u32_e32 v5, 0x71, v8
	v_cmp_eq_u32_e32 vcc, 0, v8
	v_cndmask_b32_e64 v5, 0, v5, s[40:41]
	v_mov_b32_e32 v10, 0x70
	v_cndmask_b32_e32 v10, v5, v10, vcc
	v_add_u32_e32 v5, 21, v10
	v_or_b32_e32 v11, 0x800000, v3
	v_lshlrev_b64 v[14:15], v5, -1
	v_cndmask_b32_e32 v3, v11, v3, vcc
	v_add_u32_e32 v5, 20, v10
	v_bfi_b32 v14, v14, 0, v3
	v_lshlrev_b64 v[48:49], v5, 1
	v_lshrrev_b64 v[3:4], v10, v[3:4]
	v_bfi_b32 v15, v15, 0, 0
	v_cmp_eq_u64_e64 s[40:41], v[14:15], v[48:49]
	v_mov_b32_e32 v5, v4
	v_mov_b32_e32 v4, v3
	s_and_saveexec_b64 s[50:51], s[40:41]
; %bb.7563:                             ;   in Loop: Header=BB6_7055 Depth=3
	v_bfe_u32 v4, v3, 21, 1
	v_add_co_u32_e64 v4, s[40:41], v3, v4
	v_add_co_u32_e64 v4, s[40:41], -1, v4
; %bb.7564:                             ;   in Loop: Header=BB6_7055 Depth=3
	s_or_b64 exec, exec, s[50:51]
	v_add_u32_e32 v5, 0xffffff81, v8
	v_mov_b32_e32 v8, 0xffffff82
	v_cndmask_b32_e32 v5, v5, v8, vcc
	v_lshrrev_b32_e32 v8, 23, v3
	v_add3_u32 v10, v10, v5, v8
	v_add_u32_e32 v8, 14, v10
	v_and_b32_e32 v4, 0x1fffff, v4
	v_add_u32_e32 v3, v4, v3
	v_mov_b32_e32 v4, v34
	v_cmp_ne_u32_e32 vcc, 0, v8
                                        ; implicit-def: $vgpr5
	s_and_saveexec_b64 s[40:41], vcc
	s_xor_b64 s[40:41], exec, s[40:41]
; %bb.7565:                             ;   in Loop: Header=BB6_7055 Depth=3
	v_cmp_lt_u64_e32 vcc, s[88:89], v[3:4]
	v_add_u32_e32 v5, 15, v10
	v_cndmask_b32_e32 v5, v8, v5, vcc
	v_cndmask_b32_e64 v8, 0, 1, vcc
	v_lshrrev_b64 v[3:4], v8, v[3:4]
; %bb.7566:                             ;   in Loop: Header=BB6_7055 Depth=3
	s_andn2_saveexec_b64 s[40:41], s[40:41]
; %bb.7567:                             ;   in Loop: Header=BB6_7055 Depth=3
	v_bfe_u32 v5, v3, 23, 1
; %bb.7568:                             ;   in Loop: Header=BB6_7055 Depth=3
	s_or_b64 exec, exec, s[40:41]
	v_lshrrev_b64 v[3:4], 21, v[3:4]
	v_cmp_gt_i32_e32 vcc, 32, v5
	v_cndmask_b32_e32 v4, 0, v4, vcc
	v_cndmask_b32_e32 v3, 3, v3, vcc
	v_cmp_eq_u64_e64 s[40:41], 0, v[3:4]
	v_min_i32_e32 v4, 31, v5
	v_lshlrev_b32_e32 v4, 2, v4
	v_cmp_eq_u32_e32 vcc, 0, v5
	v_and_b32_e32 v4, 0xfc, v4
	v_and_or_b32 v3, v3, 3, v4
	s_and_b64 s[40:41], vcc, s[40:41]
	v_cndmask_b32_e64 v3, v3, 0, s[40:41]
	v_or_b32_e32 v5, v3, v0
.LBB6_7569:                             ;   in Loop: Header=BB6_7055 Depth=3
	s_or_b64 exec, exec, s[48:49]
                                        ; implicit-def: $vgpr0
.LBB6_7570:                             ;   in Loop: Header=BB6_7055 Depth=3
	s_andn2_saveexec_b64 s[40:41], s[38:39]
; %bb.7571:                             ;   in Loop: Header=BB6_7055 Depth=3
	v_or_b32_e32 v5, 0x7b, v0
; %bb.7572:                             ;   in Loop: Header=BB6_7055 Depth=3
	s_or_b64 exec, exec, s[40:41]
                                        ; implicit-def: $vgpr8
                                        ; implicit-def: $vgpr3_vgpr4
.LBB6_7573:                             ;   in Loop: Header=BB6_7055 Depth=3
	s_andn2_saveexec_b64 s[40:41], s[42:43]
	s_cbranch_execz .LBB6_7579
; %bb.7574:                             ;   in Loop: Header=BB6_7055 Depth=3
	v_cmp_ne_u64_e32 vcc, 0, v[3:4]
                                        ; implicit-def: $vgpr5
	s_and_saveexec_b64 s[42:43], vcc
	s_xor_b64 s[42:43], exec, s[42:43]
; %bb.7575:                             ;   in Loop: Header=BB6_7055 Depth=3
	v_or_b32_sdwa v5, v8, s83 dst_sel:DWORD dst_unused:UNUSED_PAD src0_sel:BYTE_3 src1_sel:DWORD
                                        ; implicit-def: $vgpr8
; %bb.7576:                             ;   in Loop: Header=BB6_7055 Depth=3
	s_andn2_saveexec_b64 s[42:43], s[42:43]
; %bb.7577:                             ;   in Loop: Header=BB6_7055 Depth=3
	v_cmp_lt_i32_e32 vcc, -1, v8
	v_bfrev_b32_e32 v0, 0.5
	v_mov_b32_e32 v3, 0x7c
	v_cndmask_b32_e32 v5, v0, v3, vcc
; %bb.7578:                             ;   in Loop: Header=BB6_7055 Depth=3
	s_or_b64 exec, exec, s[42:43]
.LBB6_7579:                             ;   in Loop: Header=BB6_7055 Depth=3
	s_or_b64 exec, exec, s[40:41]
	v_lshl_or_b32 v0, v19, 8, v18
	v_lshlrev_b32_e32 v3, 16, v35
	v_lshlrev_b32_e32 v4, 24, v9
	v_or3_b32 v9, v0, v3, v4
	v_lshl_or_b32 v0, v31, 8, v30
	v_lshlrev_b32_e32 v3, 16, v32
	v_lshlrev_b32_e32 v4, 24, v33
	v_or3_b32 v8, v0, v3, v4
	;; [unrolled: 4-line block ×3, first 2 shown]
	v_lshlrev_b32_e32 v0, 24, v5
	v_lshlrev_b32_e32 v3, 16, v7
	v_lshl_or_b32 v4, v6, 8, v38
	v_or3_b32 v11, v4, v3, v0
	s_mov_b64 s[48:49], 0
	s_mov_b64 s[38:39], -1
.LBB6_7580:                             ;   Parent Loop BB6_47 Depth=1
                                        ;     Parent Loop BB6_4663 Depth=2
                                        ;       Parent Loop BB6_7055 Depth=3
                                        ; =>      This Inner Loop Header: Depth=4
	s_cmp_eq_u32 s48, 1
	s_cselect_b64 s[40:41], -1, 0
	v_cndmask_b32_e64 v3, v26, v28, s[40:41]
	v_cndmask_b32_e64 v4, v27, v29, s[40:41]
	v_add_co_u32_e32 v0, vcc, 0x400, v3
	s_cmp_eq_u32 s48, 0
	global_store_dwordx4 v[3:4], v[8:11], off glc slc
	v_addc_co_u32_e32 v3, vcc, 0, v4, vcc
	s_cselect_b64 vcc, -1, 0
	s_and_b64 s[42:43], exec, s[38:39]
	s_mov_b64 s[48:49], 1
	v_cndmask_b32_e64 v28, v28, v0, s[40:41]
	s_mov_b64 s[38:39], 0
	v_cndmask_b32_e64 v29, v29, v3, s[40:41]
	v_cndmask_b32_e32 v27, v27, v3, vcc
	v_cndmask_b32_e32 v26, v26, v0, vcc
	s_mov_b64 vcc, s[42:43]
	s_cbranch_vccnz .LBB6_7580
; %bb.7581:                             ;   in Loop: Header=BB6_7055 Depth=3
	buffer_load_dword v0, off, s[0:3], s33 offset:360 ; 4-byte Folded Reload
	buffer_load_dword v3, off, s[0:3], s33 offset:364 ; 4-byte Folded Reload
	s_waitcnt vmcnt(3)
	v_sub_u32_e32 v23, v23, v39
	s_waitcnt vmcnt(1)
	v_add_co_u32_e32 v1, vcc, v1, v0
	s_waitcnt vmcnt(0)
	v_addc_co_u32_e32 v2, vcc, v2, v3, vcc
	v_add_co_u32_e32 v16, vcc, v16, v0
	buffer_load_dword v0, off, s[0:3], s33 offset:352 ; 4-byte Folded Reload
	v_addc_co_u32_e32 v17, vcc, v17, v3, vcc
	buffer_load_dword v3, off, s[0:3], s33 offset:356 ; 4-byte Folded Reload
	s_waitcnt vmcnt(1)
	v_add_co_u32_e32 v26, vcc, v26, v0
	s_waitcnt vmcnt(0)
	v_addc_co_u32_e32 v27, vcc, v27, v3, vcc
	v_add_co_u32_e32 v28, vcc, v28, v0
	buffer_load_dword v0, off, s[0:3], s33 offset:316 ; 4-byte Folded Reload
	v_addc_co_u32_e32 v29, vcc, v29, v3, vcc
	s_waitcnt vmcnt(0)
	v_sub_u32_e32 v25, v25, v0
	v_cmp_gt_i32_e32 vcc, 16, v25
	s_or_b64 s[36:37], vcc, s[36:37]
	s_andn2_b64 exec, exec, s[36:37]
	s_cbranch_execnz .LBB6_7055
	s_branch .LBB6_7602
.LBB6_7582:                             ;   in Loop: Header=BB6_7055 Depth=3
	s_or_saveexec_b64 s[42:43], s[42:43]
	v_bfrev_b32_e32 v3, 1
	s_xor_b64 exec, exec, s[42:43]
	s_cbranch_execz .LBB6_7067
.LBB6_7583:                             ;   in Loop: Header=BB6_7055 Depth=3
	v_cmp_ne_u16_sdwa vcc, v8, v34 src0_sel:BYTE_0 src1_sel:DWORD
	s_andn2_b64 s[40:41], s[40:41], exec
	s_and_b64 vcc, vcc, exec
	v_mov_b32_e32 v3, 0
	s_or_b64 s[40:41], s[40:41], vcc
	s_or_b64 exec, exec, s[42:43]
	s_and_saveexec_b64 s[38:39], s[40:41]
	s_cbranch_execnz .LBB6_7068
	s_branch .LBB6_7069
.LBB6_7584:                             ;   in Loop: Header=BB6_7055 Depth=3
	s_or_saveexec_b64 s[42:43], s[42:43]
	v_bfrev_b32_e32 v4, 1
	s_xor_b64 exec, exec, s[42:43]
	s_cbranch_execz .LBB6_7101
.LBB6_7585:                             ;   in Loop: Header=BB6_7055 Depth=3
	v_cmp_ne_u16_e32 vcc, 0, v3
	s_andn2_b64 s[40:41], s[40:41], exec
	s_and_b64 vcc, vcc, exec
	v_mov_b32_e32 v4, 0
	s_or_b64 s[40:41], s[40:41], vcc
	s_or_b64 exec, exec, s[42:43]
	s_and_saveexec_b64 s[38:39], s[40:41]
	s_cbranch_execnz .LBB6_7102
	s_branch .LBB6_7103
.LBB6_7586:                             ;   in Loop: Header=BB6_7055 Depth=3
	s_or_saveexec_b64 s[42:43], s[42:43]
	v_bfrev_b32_e32 v4, 1
	s_xor_b64 exec, exec, s[42:43]
	s_cbranch_execz .LBB6_7135
.LBB6_7587:                             ;   in Loop: Header=BB6_7055 Depth=3
	v_cmp_ne_u16_sdwa vcc, v0, v34 src0_sel:BYTE_0 src1_sel:DWORD
	s_andn2_b64 s[40:41], s[40:41], exec
	s_and_b64 vcc, vcc, exec
	v_mov_b32_e32 v4, 0
	s_or_b64 s[40:41], s[40:41], vcc
	s_or_b64 exec, exec, s[42:43]
	s_and_saveexec_b64 s[38:39], s[40:41]
	s_cbranch_execnz .LBB6_7136
	s_branch .LBB6_7137
.LBB6_7588:                             ;   in Loop: Header=BB6_7055 Depth=3
	s_or_saveexec_b64 s[42:43], s[42:43]
	v_bfrev_b32_e32 v4, 1
	s_xor_b64 exec, exec, s[42:43]
	s_cbranch_execz .LBB6_7233
.LBB6_7589:                             ;   in Loop: Header=BB6_7055 Depth=3
	v_cmp_ne_u16_e32 vcc, 0, v3
	s_andn2_b64 s[40:41], s[40:41], exec
	s_and_b64 vcc, vcc, exec
	v_mov_b32_e32 v4, 0
	s_or_b64 s[40:41], s[40:41], vcc
	s_or_b64 exec, exec, s[42:43]
	s_and_saveexec_b64 s[38:39], s[40:41]
	s_cbranch_execnz .LBB6_7234
	s_branch .LBB6_7235
.LBB6_7590:                             ;   in Loop: Header=BB6_7055 Depth=3
	s_or_saveexec_b64 s[42:43], s[42:43]
	v_bfrev_b32_e32 v4, 1
	s_xor_b64 exec, exec, s[42:43]
	s_cbranch_execz .LBB6_7267
.LBB6_7591:                             ;   in Loop: Header=BB6_7055 Depth=3
	v_cmp_ne_u16_sdwa vcc, v0, v34 src0_sel:BYTE_0 src1_sel:DWORD
	s_andn2_b64 s[40:41], s[40:41], exec
	s_and_b64 vcc, vcc, exec
	v_mov_b32_e32 v4, 0
	s_or_b64 s[40:41], s[40:41], vcc
	s_or_b64 exec, exec, s[42:43]
	s_and_saveexec_b64 s[38:39], s[40:41]
	s_cbranch_execnz .LBB6_7268
	s_branch .LBB6_7269
.LBB6_7592:                             ;   in Loop: Header=BB6_7055 Depth=3
	s_or_saveexec_b64 s[42:43], s[42:43]
	v_bfrev_b32_e32 v3, 1
	s_xor_b64 exec, exec, s[42:43]
	s_cbranch_execz .LBB6_7329
.LBB6_7593:                             ;   in Loop: Header=BB6_7055 Depth=3
	v_cmp_ne_u16_sdwa vcc, v10, v34 src0_sel:BYTE_0 src1_sel:DWORD
	s_andn2_b64 s[40:41], s[40:41], exec
	s_and_b64 vcc, vcc, exec
	v_mov_b32_e32 v3, 0
	s_or_b64 s[40:41], s[40:41], vcc
	s_or_b64 exec, exec, s[42:43]
	s_and_saveexec_b64 s[38:39], s[40:41]
	s_cbranch_execnz .LBB6_7330
	s_branch .LBB6_7331
.LBB6_7594:                             ;   in Loop: Header=BB6_7055 Depth=3
	s_or_saveexec_b64 s[42:43], s[42:43]
	v_bfrev_b32_e32 v4, 1
	s_xor_b64 exec, exec, s[42:43]
	s_cbranch_execz .LBB6_7363
.LBB6_7595:                             ;   in Loop: Header=BB6_7055 Depth=3
	v_cmp_ne_u16_e32 vcc, 0, v3
	s_andn2_b64 s[40:41], s[40:41], exec
	s_and_b64 vcc, vcc, exec
	v_mov_b32_e32 v4, 0
	s_or_b64 s[40:41], s[40:41], vcc
	s_or_b64 exec, exec, s[42:43]
	s_and_saveexec_b64 s[38:39], s[40:41]
	s_cbranch_execnz .LBB6_7364
	s_branch .LBB6_7365
.LBB6_7596:                             ;   in Loop: Header=BB6_7055 Depth=3
	s_or_saveexec_b64 s[42:43], s[42:43]
	v_bfrev_b32_e32 v4, 1
	s_xor_b64 exec, exec, s[42:43]
	s_cbranch_execz .LBB6_7397
.LBB6_7597:                             ;   in Loop: Header=BB6_7055 Depth=3
	v_cmp_ne_u16_sdwa vcc, v0, v34 src0_sel:BYTE_0 src1_sel:DWORD
	s_andn2_b64 s[40:41], s[40:41], exec
	s_and_b64 vcc, vcc, exec
	v_mov_b32_e32 v4, 0
	s_or_b64 s[40:41], s[40:41], vcc
	s_or_b64 exec, exec, s[42:43]
	s_and_saveexec_b64 s[38:39], s[40:41]
	s_cbranch_execnz .LBB6_7398
	s_branch .LBB6_7399
.LBB6_7598:                             ;   in Loop: Header=BB6_7055 Depth=3
	s_or_saveexec_b64 s[42:43], s[42:43]
	v_bfrev_b32_e32 v4, 1
	s_xor_b64 exec, exec, s[42:43]
	s_cbranch_execz .LBB6_7495
.LBB6_7599:                             ;   in Loop: Header=BB6_7055 Depth=3
	v_cmp_ne_u16_e32 vcc, 0, v3
	s_andn2_b64 s[40:41], s[40:41], exec
	s_and_b64 vcc, vcc, exec
	v_mov_b32_e32 v4, 0
	s_or_b64 s[40:41], s[40:41], vcc
	s_or_b64 exec, exec, s[42:43]
	s_and_saveexec_b64 s[38:39], s[40:41]
	s_cbranch_execnz .LBB6_7496
	s_branch .LBB6_7497
.LBB6_7600:                             ;   in Loop: Header=BB6_7055 Depth=3
	s_or_saveexec_b64 s[42:43], s[42:43]
	v_bfrev_b32_e32 v4, 1
	s_xor_b64 exec, exec, s[42:43]
	s_cbranch_execz .LBB6_7529
.LBB6_7601:                             ;   in Loop: Header=BB6_7055 Depth=3
	v_cmp_ne_u16_sdwa vcc, v0, v34 src0_sel:BYTE_0 src1_sel:DWORD
	s_andn2_b64 s[40:41], s[40:41], exec
	s_and_b64 vcc, vcc, exec
	v_mov_b32_e32 v4, 0
	s_or_b64 s[40:41], s[40:41], vcc
	s_or_b64 exec, exec, s[42:43]
	s_and_saveexec_b64 s[38:39], s[40:41]
	s_cbranch_execnz .LBB6_7530
	s_branch .LBB6_7531
.LBB6_7602:                             ;   in Loop: Header=BB6_4663 Depth=2
	s_or_b64 exec, exec, s[36:37]
.LBB6_7603:                             ;   in Loop: Header=BB6_4663 Depth=2
	s_or_b64 exec, exec, s[34:35]
	buffer_load_dword v0, off, s[0:3], s33 offset:432 ; 4-byte Folded Reload
	v_mov_b32_e32 v5, 0
	s_mov_b64 s[42:43], 0
                                        ; implicit-def: $vgpr8
                                        ; implicit-def: $vgpr1
	s_waitcnt vmcnt(0)
	v_and_b32_e32 v0, 15, v0
	v_cndmask_b32_e64 v6, v24, v0, s[28:29]
	v_cmp_ne_u32_e32 vcc, 0, v6
	s_and_saveexec_b64 s[40:41], vcc
	s_cbranch_execz .LBB6_7605
; %bb.7604:                             ;   in Loop: Header=BB6_4663 Depth=2
	v_sub_u32_e32 v0, v24, v0
	v_cndmask_b32_e64 v0, 0, v0, s[28:29]
	v_cmp_lt_i32_e32 vcc, 0, v23
	v_add3_u32 v5, v22, v20, v0
	v_cndmask_b32_e32 v0, 0, v39, vcc
	v_sub_u32_e32 v0, v0, v23
	v_lshl_add_u32 v8, v0, 6, v21
	v_ashrrev_i32_e32 v0, 31, v8
	v_lshrrev_b32_e32 v0, 26, v0
	v_add_u32_e32 v0, v8, v0
	v_ashrrev_i32_e32 v1, 6, v0
	s_mov_b64 s[42:43], exec
.LBB6_7605:                             ;   in Loop: Header=BB6_4663 Depth=2
	s_or_b64 exec, exec, s[40:41]
	s_and_b64 s[28:29], s[42:43], exec
.LBB6_7606:                             ;   in Loop: Header=BB6_4663 Depth=2
	s_or_b64 exec, exec, s[30:31]
	s_and_saveexec_b64 s[42:43], s[28:29]
	s_cbranch_execz .LBB6_8937
.LBB6_7607:                             ;   in Loop: Header=BB6_4663 Depth=2
	s_waitcnt vmcnt(2)
	v_ashrrev_i32_e32 v0, 31, v6
	v_lshrrev_b32_e32 v0, 21, v0
	v_add_u32_e32 v0, v6, v0
	v_ashrrev_i32_e32 v3, 11, v0
	s_waitcnt vmcnt(0)
	v_sub_u32_e32 v0, v3, v1
	v_ashrrev_i32_e32 v2, 31, v8
	v_cmp_lt_i32_e32 vcc, 0, v0
	v_lshrrev_b32_e32 v2, 26, v2
	s_and_saveexec_b64 s[40:41], vcc
	s_cbranch_execz .LBB6_8891
; %bb.7608:                             ;   in Loop: Header=BB6_4663 Depth=2
	buffer_store_dword v3, off, s[0:3], s33 offset:524 ; 4-byte Folded Spill
	buffer_store_dword v6, off, s[0:3], s33 offset:512 ; 4-byte Folded Spill
	;; [unrolled: 1-line block ×3, first 2 shown]
	v_add_u32_e32 v2, v8, v2
	v_and_b32_e32 v2, 0xffffffc0, v2
	buffer_store_dword v8, off, s[0:3], s33 offset:516 ; 4-byte Folded Spill
	v_sub_u32_e32 v2, v8, v2
	v_lshlrev_b32_e32 v1, 11, v1
	buffer_store_dword v5, off, s[0:3], s33 offset:508 ; 4-byte Folded Spill
	v_add3_u32 v5, v5, v2, v1
	buffer_load_dword v1, off, s[0:3], s33 offset:444 ; 4-byte Folded Reload
	buffer_load_dword v2, off, s[0:3], s33 offset:448 ; 4-byte Folded Reload
	s_trap 2
	ds_read_b64 v[3:4], v0
	buffer_load_dword v10, off, s[0:3], s33 offset:452 ; 4-byte Folded Reload
	buffer_load_dword v11, off, s[0:3], s33 offset:456 ; 4-byte Folded Reload
	v_ashrrev_i32_e32 v6, 31, v5
	s_mov_b64 s[30:31], 0
	s_waitcnt vmcnt(3)
	v_add_co_u32_e32 v1, vcc, v5, v1
	s_waitcnt vmcnt(2)
	v_addc_co_u32_e32 v2, vcc, v6, v2, vcc
	v_add_co_u32_e32 v8, vcc, v5, v52
	v_addc_co_u32_e32 v9, vcc, v6, v53, vcc
	s_waitcnt vmcnt(1)
	v_add_co_u32_e32 v10, vcc, v5, v10
	s_waitcnt vmcnt(0)
	v_addc_co_u32_e32 v11, vcc, v6, v11, vcc
	s_waitcnt lgkmcnt(0)
	v_add_co_u32_e32 v12, vcc, v3, v5
	v_addc_co_u32_e32 v13, vcc, v4, v6, vcc
	s_branch .LBB6_7611
.LBB6_7609:                             ;   in Loop: Header=BB6_7611 Depth=3
	s_or_b64 exec, exec, s[34:35]
.LBB6_7610:                             ;   in Loop: Header=BB6_7611 Depth=3
	s_or_b64 exec, exec, s[28:29]
	flat_store_byte v[1:2], v57 glc slc
	flat_store_byte v[1:2], v37 offset:64 glc slc
	flat_store_byte v[1:2], v32 offset:128 glc slc
	;; [unrolled: 1-line block ×31, first 2 shown]
	flat_store_byte v[8:9], v57 glc slc
	flat_store_byte v[8:9], v37 offset:64 glc slc
	flat_store_byte v[8:9], v32 offset:128 glc slc
	flat_store_byte v[8:9], v29 offset:192 glc slc
	flat_store_byte v[8:9], v26 offset:256 glc slc
	flat_store_byte v[8:9], v24 offset:320 glc slc
	flat_store_byte v[8:9], v22 offset:384 glc slc
	flat_store_byte v[8:9], v20 offset:448 glc slc
	flat_store_byte v[8:9], v18 offset:512 glc slc
	flat_store_byte v[8:9], v19 offset:576 glc slc
	flat_store_byte v[8:9], v21 offset:640 glc slc
	flat_store_byte v[8:9], v23 offset:704 glc slc
	flat_store_byte v[8:9], v17 offset:768 glc slc
	flat_store_byte v[8:9], v25 offset:832 glc slc
	flat_store_byte v[8:9], v16 offset:896 glc slc
	flat_store_byte v[8:9], v7 offset:960 glc slc
	flat_store_byte v[8:9], v14 offset:1024 glc slc
	flat_store_byte v[8:9], v15 offset:1088 glc slc
	flat_store_byte v[8:9], v27 offset:1152 glc slc
	flat_store_byte v[8:9], v28 offset:1216 glc slc
	flat_store_byte v[8:9], v30 offset:1280 glc slc
	flat_store_byte v[8:9], v31 offset:1344 glc slc
	flat_store_byte v[8:9], v33 offset:1408 glc slc
	flat_store_byte v[8:9], v6 offset:1472 glc slc
	flat_store_byte v[8:9], v35 offset:1536 glc slc
	flat_store_byte v[8:9], v36 offset:1600 glc slc
	flat_store_byte v[8:9], v38 offset:1664 glc slc
	flat_store_byte v[8:9], v39 offset:1728 glc slc
	flat_store_byte v[8:9], v49 offset:1792 glc slc
	flat_store_byte v[8:9], v50 offset:1856 glc slc
	flat_store_byte v[8:9], v51 offset:1920 glc slc
	flat_store_byte v[8:9], v5 offset:1984 glc slc
	buffer_load_dword v3, off, s[0:3], s33 offset:272 ; 4-byte Folded Reload
	buffer_load_dword v39, off, s[0:3], s33 offset:100 ; 4-byte Folded Reload
	s_waitcnt vmcnt(0)
	v_add_co_u32_e32 v10, vcc, v10, v3
	v_addc_co_u32_e32 v11, vcc, 0, v11, vcc
	v_add_co_u32_e32 v12, vcc, v12, v3
	v_addc_co_u32_e32 v13, vcc, 0, v13, vcc
	;; [unrolled: 2-line block ×3, first 2 shown]
	v_sub_u32_e32 v0, v0, v39
	v_cmp_gt_i32_e32 vcc, 1, v0
	s_or_b64 s[30:31], vcc, s[30:31]
	v_add_co_u32_e32 v8, vcc, v8, v3
	v_addc_co_u32_e32 v9, vcc, 0, v9, vcc
	s_andn2_b64 exec, exec, s[30:31]
	s_cbranch_execz .LBB6_8890
.LBB6_7611:                             ;   Parent Loop BB6_47 Depth=1
                                        ;     Parent Loop BB6_4663 Depth=2
                                        ; =>    This Inner Loop Header: Depth=3
	flat_load_sbyte v47, v[10:11] glc slc
	flat_load_sbyte v37, v[10:11] offset:64 glc slc
	flat_load_sbyte v25, v[10:11] offset:128 glc slc
	;; [unrolled: 1-line block ×19, first 2 shown]
	v_mov_b32_e32 v7, 0
	v_mov_b32_e32 v5, 0
	s_waitcnt vmcnt(0) lgkmcnt(0)
	buffer_store_dword v3, off, s[0:3], s33 offset:384 ; 4-byte Folded Spill
	s_nop 0
	buffer_store_dword v4, off, s[0:3], s33 offset:388 ; 4-byte Folded Spill
	flat_load_sbyte v3, v[10:11] offset:1280 glc slc
	v_cmp_ne_u16_e32 vcc, 0, v47
	s_waitcnt vmcnt(0) lgkmcnt(0)
	buffer_store_dword v3, off, s[0:3], s33 offset:264 ; 4-byte Folded Spill
	s_nop 0
	buffer_store_dword v4, off, s[0:3], s33 offset:268 ; 4-byte Folded Spill
	flat_load_sbyte v3, v[10:11] offset:1344 glc slc
	s_waitcnt vmcnt(0) lgkmcnt(0)
	buffer_store_dword v3, off, s[0:3], s33 offset:248 ; 4-byte Folded Spill
	s_nop 0
	buffer_store_dword v4, off, s[0:3], s33 offset:252 ; 4-byte Folded Spill
	flat_load_sbyte v3, v[10:11] offset:1408 glc slc
	;; [unrolled: 5-line block ×4, first 2 shown]
	s_nop 0
	flat_load_sbyte v6, v[10:11] offset:1600 glc slc
	s_waitcnt vmcnt(0) lgkmcnt(0)
	buffer_store_dword v6, off, s[0:3], s33 offset:192 ; 4-byte Folded Spill
	s_nop 0
	buffer_store_dword v7, off, s[0:3], s33 offset:196 ; 4-byte Folded Spill
	flat_load_sbyte v6, v[10:11] offset:1664 glc slc
	s_waitcnt vmcnt(0) lgkmcnt(0)
	buffer_store_dword v6, off, s[0:3], s33 offset:176 ; 4-byte Folded Spill
	s_nop 0
	buffer_store_dword v7, off, s[0:3], s33 offset:180 ; 4-byte Folded Spill
	;; [unrolled: 5-line block ×7, first 2 shown]
	flat_load_sbyte v32, v[12:13] glc slc
	flat_load_sbyte v36, v[12:13] offset:64 glc slc
	flat_load_sbyte v31, v[12:13] offset:128 glc slc
	;; [unrolled: 1-line block ×18, first 2 shown]
	s_waitcnt vmcnt(0) lgkmcnt(0)
	buffer_store_dword v26, off, s[0:3], s33 offset:392 ; 4-byte Folded Spill
	s_nop 0
	buffer_store_dword v27, off, s[0:3], s33 offset:396 ; 4-byte Folded Spill
	flat_load_sbyte v26, v[12:13] offset:1216 glc slc
	s_waitcnt vmcnt(0) lgkmcnt(0)
	buffer_store_dword v26, off, s[0:3], s33 offset:376 ; 4-byte Folded Spill
	s_nop 0
	buffer_store_dword v27, off, s[0:3], s33 offset:380 ; 4-byte Folded Spill
	flat_load_sbyte v26, v[12:13] offset:1280 glc slc
	;; [unrolled: 5-line block ×9, first 2 shown]
	s_nop 0
	flat_load_sbyte v26, v[12:13] offset:1792 glc slc
	s_waitcnt vmcnt(0) lgkmcnt(0)
	buffer_store_dword v26, off, s[0:3], s33 offset:144 ; 4-byte Folded Spill
	s_nop 0
	buffer_store_dword v27, off, s[0:3], s33 offset:148 ; 4-byte Folded Spill
	flat_load_sbyte v26, v[12:13] offset:1856 glc slc
	s_waitcnt vmcnt(0) lgkmcnt(0)
	buffer_store_dword v26, off, s[0:3], s33 offset:128 ; 4-byte Folded Spill
	s_nop 0
	buffer_store_dword v27, off, s[0:3], s33 offset:132 ; 4-byte Folded Spill
	;; [unrolled: 5-line block ×4, first 2 shown]
	s_and_saveexec_b64 s[28:29], vcc
	s_cbranch_execz .LBB6_7619
; %bb.7612:                             ;   in Loop: Header=BB6_7611 Depth=3
	v_cmp_ne_u16_e32 vcc, s80, v47
	v_bfrev_b32_e32 v7, 1
	s_and_saveexec_b64 s[34:35], vcc
	s_cbranch_execz .LBB6_7618
; %bb.7613:                             ;   in Loop: Header=BB6_7611 Depth=3
	v_and_b32_e32 v7, 0x7c, v47
	v_and_b32_e32 v26, 3, v47
	v_cmp_ne_u32_e32 vcc, s81, v7
                                        ; implicit-def: $vgpr7
	s_and_saveexec_b64 s[36:37], vcc
	s_xor_b64 s[36:37], exec, s[36:37]
	s_cbranch_execz .LBB6_7615
; %bb.7614:                             ;   in Loop: Header=BB6_7611 Depth=3
	v_ffbh_u32_e32 v29, v26
	v_min_u32_e32 v29, 32, v29
	v_and_b32_e32 v7, 0xff, v47
	v_mov_b32_e32 v48, v34
	v_subrev_u32_e32 v33, 29, v29
	v_bfe_u32 v7, v7, 2, 5
	v_lshlrev_b64 v[48:49], v33, v[47:48]
	v_sub_u32_e32 v29, 30, v29
	v_cmp_eq_u32_e32 vcc, 0, v7
	v_and_b32_e32 v33, 3, v48
	v_cndmask_b32_e32 v7, v7, v29, vcc
	v_and_b32_sdwa v29, sext(v47), s82 dst_sel:DWORD dst_unused:UNUSED_PAD src0_sel:WORD_0 src1_sel:DWORD
	v_cndmask_b32_e32 v26, v26, v33, vcc
	v_lshl_add_u32 v7, v7, 23, v29
	v_lshl_or_b32 v7, v26, 21, v7
	v_add_u32_e32 v7, 0x38000000, v7
                                        ; implicit-def: $vgpr26
                                        ; implicit-def: $vgpr47
.LBB6_7615:                             ;   in Loop: Header=BB6_7611 Depth=3
	s_andn2_saveexec_b64 s[36:37], s[36:37]
; %bb.7616:                             ;   in Loop: Header=BB6_7611 Depth=3
	v_cmp_lt_i16_e32 vcc, -1, v47
	v_mov_b32_e32 v7, 0xff800000
	v_mov_b32_e32 v29, 0x7f800000
	v_cndmask_b32_e32 v7, v7, v29, vcc
	v_cmp_eq_u32_e32 vcc, 0, v26
	v_mov_b32_e32 v26, 0x7f800001
	v_cndmask_b32_e32 v7, v26, v7, vcc
; %bb.7617:                             ;   in Loop: Header=BB6_7611 Depth=3
	s_or_b64 exec, exec, s[36:37]
.LBB6_7618:                             ;   in Loop: Header=BB6_7611 Depth=3
	s_or_b64 exec, exec, s[34:35]
.LBB6_7619:                             ;   in Loop: Header=BB6_7611 Depth=3
	s_or_b64 exec, exec, s[28:29]
	v_cmp_ne_u16_e32 vcc, 0, v32
	s_and_saveexec_b64 s[28:29], vcc
	s_cbranch_execz .LBB6_7627
; %bb.7620:                             ;   in Loop: Header=BB6_7611 Depth=3
	v_cmp_ne_u16_e32 vcc, s80, v32
	v_bfrev_b32_e32 v5, 1
	s_and_saveexec_b64 s[34:35], vcc
	s_cbranch_execz .LBB6_7626
; %bb.7621:                             ;   in Loop: Header=BB6_7611 Depth=3
	v_and_b32_e32 v5, 0x7c, v32
	v_and_b32_e32 v26, 3, v32
	v_cmp_ne_u32_e32 vcc, s81, v5
                                        ; implicit-def: $vgpr5
	s_and_saveexec_b64 s[36:37], vcc
	s_xor_b64 s[36:37], exec, s[36:37]
	s_cbranch_execz .LBB6_7623
; %bb.7622:                             ;   in Loop: Header=BB6_7611 Depth=3
	v_ffbh_u32_e32 v29, v26
	v_min_u32_e32 v29, 32, v29
	v_and_b32_e32 v5, 0xff, v32
	v_mov_b32_e32 v33, v34
	v_subrev_u32_e32 v38, 29, v29
	v_bfe_u32 v5, v5, 2, 5
	v_lshlrev_b64 v[48:49], v38, v[32:33]
	v_sub_u32_e32 v29, 30, v29
	v_cmp_eq_u32_e32 vcc, 0, v5
	v_and_b32_e32 v33, 3, v48
	v_cndmask_b32_e32 v5, v5, v29, vcc
	v_and_b32_sdwa v29, sext(v32), s82 dst_sel:DWORD dst_unused:UNUSED_PAD src0_sel:WORD_0 src1_sel:DWORD
	v_cndmask_b32_e32 v26, v26, v33, vcc
	v_lshl_add_u32 v5, v5, 23, v29
	v_lshl_or_b32 v5, v26, 21, v5
	v_add_u32_e32 v5, 0x38000000, v5
                                        ; implicit-def: $vgpr26
                                        ; implicit-def: $vgpr32
.LBB6_7623:                             ;   in Loop: Header=BB6_7611 Depth=3
	s_andn2_saveexec_b64 s[36:37], s[36:37]
; %bb.7624:                             ;   in Loop: Header=BB6_7611 Depth=3
	v_cmp_lt_i16_e32 vcc, -1, v32
	v_mov_b32_e32 v5, 0xff800000
	v_mov_b32_e32 v29, 0x7f800000
	v_cndmask_b32_e32 v5, v5, v29, vcc
	v_cmp_eq_u32_e32 vcc, 0, v26
	v_mov_b32_e32 v26, 0x7f800001
	v_cndmask_b32_e32 v5, v26, v5, vcc
; %bb.7625:                             ;   in Loop: Header=BB6_7611 Depth=3
	s_or_b64 exec, exec, s[36:37]
.LBB6_7626:                             ;   in Loop: Header=BB6_7611 Depth=3
	s_or_b64 exec, exec, s[34:35]
.LBB6_7627:                             ;   in Loop: Header=BB6_7611 Depth=3
	s_or_b64 exec, exec, s[28:29]
	v_mul_f32_e32 v7, v7, v5
	v_and_b32_e32 v32, 0x7fffff, v7
	v_and_b32_e32 v48, 0x7f800000, v7
	v_mov_b32_e32 v49, v34
	v_mov_b32_e32 v33, v34
	v_cmp_ne_u64_e32 vcc, s[76:77], v[48:49]
                                        ; implicit-def: $vgpr57
	s_mov_b64 s[28:29], exec
	s_and_b64 vcc, s[28:29], vcc
	s_xor_b64 s[34:35], vcc, s[28:29]
	v_mov_b32_e32 v5, v50
	buffer_store_dword v5, off, s[0:3], s33 offset:400 ; 4-byte Folded Spill
	s_nop 0
	buffer_store_dword v6, off, s[0:3], s33 offset:404 ; 4-byte Folded Spill
	s_mov_b64 exec, vcc
	s_cbranch_execz .LBB6_7645
; %bb.7628:                             ;   in Loop: Header=BB6_7611 Depth=3
	v_and_b32_e32 v48, 0x7fffffff, v7
	v_mov_b32_e32 v49, v34
	v_cmp_gt_u64_e32 vcc, s[78:79], v[48:49]
	v_and_b32_sdwa v5, v7, s44 dst_sel:DWORD dst_unused:UNUSED_PAD src0_sel:BYTE_3 src1_sel:DWORD
                                        ; implicit-def: $vgpr57
	s_and_saveexec_b64 s[28:29], vcc
	s_xor_b64 s[36:37], exec, s[28:29]
	s_cbranch_execz .LBB6_7642
; %bb.7629:                             ;   in Loop: Header=BB6_7611 Depth=3
	v_cmp_ne_u32_e32 vcc, 0, v7
	v_mov_b32_e32 v57, 0
	s_and_saveexec_b64 s[38:39], vcc
	s_cbranch_execz .LBB6_7641
; %bb.7630:                             ;   in Loop: Header=BB6_7611 Depth=3
	v_bfe_u32 v7, v7, 23, 8
	v_cmp_gt_u32_e64 s[28:29], s45, v7
	v_sub_u32_e32 v26, 0x71, v7
	v_cmp_eq_u32_e32 vcc, 0, v7
	v_cndmask_b32_e64 v26, 0, v26, s[28:29]
	v_mov_b32_e32 v38, 0x70
	v_or_b32_e32 v29, 0x800000, v32
	v_cndmask_b32_e32 v26, v26, v38, vcc
	v_cndmask_b32_e32 v32, v29, v32, vcc
	v_add_u32_e32 v29, 21, v26
	v_lshlrev_b64 v[48:49], v29, -1
	v_add_u32_e32 v29, 20, v26
	v_bfi_b32 v48, v48, 0, v32
	v_lshlrev_b64 v[50:51], v29, 1
	v_lshrrev_b64 v[32:33], v26, v[32:33]
	v_bfi_b32 v49, v49, 0, 0
	v_cmp_eq_u64_e64 s[28:29], v[48:49], v[50:51]
	v_mov_b32_e32 v48, v33
	v_mov_b32_e32 v47, v32
	s_and_saveexec_b64 s[48:49], s[28:29]
; %bb.7631:                             ;   in Loop: Header=BB6_7611 Depth=3
	v_bfe_u32 v29, v32, 21, 1
	v_add_co_u32_e64 v29, s[28:29], v32, v29
	v_add_co_u32_e64 v47, s[28:29], -1, v29
; %bb.7632:                             ;   in Loop: Header=BB6_7611 Depth=3
	s_or_b64 exec, exec, s[48:49]
	v_add_u32_e32 v7, 0xffffff81, v7
	v_mov_b32_e32 v29, 0xffffff82
	v_cndmask_b32_e32 v7, v7, v29, vcc
	v_lshrrev_b32_e32 v29, 23, v32
	v_add3_u32 v29, v26, v7, v29
	v_add_u32_e32 v26, 14, v29
	v_and_b32_e32 v7, 0x1fffff, v47
	v_add_u32_e32 v32, v7, v32
	v_mov_b32_e32 v33, v34
	v_cmp_ne_u32_e32 vcc, 0, v26
                                        ; implicit-def: $vgpr7
	s_and_saveexec_b64 s[28:29], vcc
	s_xor_b64 s[28:29], exec, s[28:29]
; %bb.7633:                             ;   in Loop: Header=BB6_7611 Depth=3
	v_cmp_lt_u64_e32 vcc, s[88:89], v[32:33]
	v_add_u32_e32 v7, 15, v29
	v_cndmask_b32_e32 v7, v26, v7, vcc
	v_cndmask_b32_e64 v26, 0, 1, vcc
	v_lshrrev_b64 v[32:33], v26, v[32:33]
; %bb.7634:                             ;   in Loop: Header=BB6_7611 Depth=3
	s_or_saveexec_b64 s[28:29], s[28:29]
	buffer_load_dword v50, off, s[0:3], s33 offset:400 ; 4-byte Folded Reload
	buffer_load_dword v51, off, s[0:3], s33 offset:404 ; 4-byte Folded Reload
	s_xor_b64 exec, exec, s[28:29]
; %bb.7635:                             ;   in Loop: Header=BB6_7611 Depth=3
	v_bfe_u32 v7, v32, 23, 1
; %bb.7636:                             ;   in Loop: Header=BB6_7611 Depth=3
	s_or_b64 exec, exec, s[28:29]
	v_lshrrev_b64 v[32:33], 21, v[32:33]
	v_cmp_gt_i32_e32 vcc, 32, v7
	v_cndmask_b32_e32 v33, 0, v33, vcc
	v_cndmask_b32_e32 v32, 3, v32, vcc
	v_cmp_ne_u64_e32 vcc, 0, v[32:33]
	v_cmp_ne_u32_e64 s[28:29], 0, v7
	s_or_b64 s[28:29], s[28:29], vcc
                                        ; implicit-def: $vgpr57
	s_and_saveexec_b64 vcc, s[28:29]
	s_xor_b64 s[28:29], exec, vcc
; %bb.7637:                             ;   in Loop: Header=BB6_7611 Depth=3
	v_min_i32_e32 v7, 31, v7
	v_lshl_or_b32 v5, v7, 2, v5
	v_and_or_b32 v57, v32, 3, v5
                                        ; implicit-def: $vgpr5
; %bb.7638:                             ;   in Loop: Header=BB6_7611 Depth=3
	s_andn2_saveexec_b64 s[28:29], s[28:29]
; %bb.7639:                             ;   in Loop: Header=BB6_7611 Depth=3
	v_mov_b32_e32 v57, v5
; %bb.7640:                             ;   in Loop: Header=BB6_7611 Depth=3
	s_or_b64 exec, exec, s[28:29]
.LBB6_7641:                             ;   in Loop: Header=BB6_7611 Depth=3
	s_or_b64 exec, exec, s[38:39]
                                        ; implicit-def: $vgpr5
.LBB6_7642:                             ;   in Loop: Header=BB6_7611 Depth=3
	s_andn2_saveexec_b64 s[28:29], s[36:37]
; %bb.7643:                             ;   in Loop: Header=BB6_7611 Depth=3
	v_or_b32_e32 v57, 0x7b, v5
; %bb.7644:                             ;   in Loop: Header=BB6_7611 Depth=3
	s_or_b64 exec, exec, s[28:29]
                                        ; implicit-def: $vgpr7
                                        ; implicit-def: $vgpr32_vgpr33
.LBB6_7645:                             ;   in Loop: Header=BB6_7611 Depth=3
	s_andn2_saveexec_b64 s[28:29], s[34:35]
	s_cbranch_execz .LBB6_7651
; %bb.7646:                             ;   in Loop: Header=BB6_7611 Depth=3
	v_cmp_ne_u64_e32 vcc, 0, v[32:33]
                                        ; implicit-def: $vgpr57
	s_and_saveexec_b64 s[34:35], vcc
	s_xor_b64 vcc, exec, s[34:35]
; %bb.7647:                             ;   in Loop: Header=BB6_7611 Depth=3
	v_or_b32_sdwa v57, v7, s83 dst_sel:DWORD dst_unused:UNUSED_PAD src0_sel:BYTE_3 src1_sel:DWORD
                                        ; implicit-def: $vgpr7
; %bb.7648:                             ;   in Loop: Header=BB6_7611 Depth=3
	s_andn2_saveexec_b64 s[34:35], vcc
; %bb.7649:                             ;   in Loop: Header=BB6_7611 Depth=3
	v_cmp_lt_i32_e32 vcc, -1, v7
	v_mov_b32_e32 v5, 0x7c
	v_cndmask_b32_e32 v57, -4, v5, vcc
; %bb.7650:                             ;   in Loop: Header=BB6_7611 Depth=3
	s_or_b64 exec, exec, s[34:35]
.LBB6_7651:                             ;   in Loop: Header=BB6_7611 Depth=3
	s_or_b64 exec, exec, s[28:29]
	v_cmp_ne_u16_e32 vcc, 0, v37
	v_mov_b32_e32 v5, 0
	v_mov_b32_e32 v7, 0
	s_and_saveexec_b64 s[28:29], vcc
	s_cbranch_execz .LBB6_7659
; %bb.7652:                             ;   in Loop: Header=BB6_7611 Depth=3
	v_cmp_ne_u16_e32 vcc, s80, v37
	v_bfrev_b32_e32 v7, 1
	s_and_saveexec_b64 s[34:35], vcc
	s_cbranch_execz .LBB6_7658
; %bb.7653:                             ;   in Loop: Header=BB6_7611 Depth=3
	v_and_b32_e32 v7, 0x7c, v37
	v_and_b32_e32 v26, 3, v37
	v_cmp_ne_u32_e32 vcc, s81, v7
                                        ; implicit-def: $vgpr7
	s_and_saveexec_b64 s[36:37], vcc
	s_xor_b64 s[36:37], exec, s[36:37]
	s_cbranch_execz .LBB6_7655
; %bb.7654:                             ;   in Loop: Header=BB6_7611 Depth=3
	v_ffbh_u32_e32 v29, v26
	v_min_u32_e32 v29, 32, v29
	v_and_b32_e32 v7, 0xff, v37
	v_mov_b32_e32 v38, v34
	v_subrev_u32_e32 v32, 29, v29
	v_bfe_u32 v7, v7, 2, 5
	v_lshlrev_b64 v[32:33], v32, v[37:38]
	v_sub_u32_e32 v29, 30, v29
	v_cmp_eq_u32_e32 vcc, 0, v7
	v_and_b32_e32 v32, 3, v32
	v_cndmask_b32_e32 v7, v7, v29, vcc
	v_and_b32_sdwa v29, sext(v37), s82 dst_sel:DWORD dst_unused:UNUSED_PAD src0_sel:WORD_0 src1_sel:DWORD
	v_cndmask_b32_e32 v26, v26, v32, vcc
	v_lshl_add_u32 v7, v7, 23, v29
	v_lshl_or_b32 v7, v26, 21, v7
	v_add_u32_e32 v7, 0x38000000, v7
                                        ; implicit-def: $vgpr26
                                        ; implicit-def: $vgpr37
.LBB6_7655:                             ;   in Loop: Header=BB6_7611 Depth=3
	s_andn2_saveexec_b64 s[36:37], s[36:37]
; %bb.7656:                             ;   in Loop: Header=BB6_7611 Depth=3
	v_cmp_lt_i16_e32 vcc, -1, v37
	v_mov_b32_e32 v7, 0xff800000
	v_mov_b32_e32 v29, 0x7f800000
	v_cndmask_b32_e32 v7, v7, v29, vcc
	v_cmp_eq_u32_e32 vcc, 0, v26
	v_mov_b32_e32 v26, 0x7f800001
	v_cndmask_b32_e32 v7, v26, v7, vcc
; %bb.7657:                             ;   in Loop: Header=BB6_7611 Depth=3
	s_or_b64 exec, exec, s[36:37]
.LBB6_7658:                             ;   in Loop: Header=BB6_7611 Depth=3
	s_or_b64 exec, exec, s[34:35]
.LBB6_7659:                             ;   in Loop: Header=BB6_7611 Depth=3
	s_or_b64 exec, exec, s[28:29]
	v_cmp_ne_u16_e32 vcc, 0, v36
	s_and_saveexec_b64 s[28:29], vcc
	s_cbranch_execz .LBB6_7667
; %bb.7660:                             ;   in Loop: Header=BB6_7611 Depth=3
	v_cmp_ne_u16_e32 vcc, s80, v36
	v_bfrev_b32_e32 v5, 1
	s_and_saveexec_b64 s[34:35], vcc
	s_cbranch_execz .LBB6_7666
; %bb.7661:                             ;   in Loop: Header=BB6_7611 Depth=3
	v_and_b32_e32 v5, 0x7c, v36
	v_and_b32_e32 v26, 3, v36
	v_cmp_ne_u32_e32 vcc, s81, v5
                                        ; implicit-def: $vgpr5
	s_and_saveexec_b64 s[36:37], vcc
	s_xor_b64 s[36:37], exec, s[36:37]
	s_cbranch_execz .LBB6_7663
; %bb.7662:                             ;   in Loop: Header=BB6_7611 Depth=3
	v_ffbh_u32_e32 v29, v26
	v_min_u32_e32 v29, 32, v29
	v_and_b32_e32 v5, 0xff, v36
	v_mov_b32_e32 v37, v34
	v_subrev_u32_e32 v32, 29, v29
	v_bfe_u32 v5, v5, 2, 5
	v_lshlrev_b64 v[32:33], v32, v[36:37]
	v_sub_u32_e32 v29, 30, v29
	v_cmp_eq_u32_e32 vcc, 0, v5
	v_and_b32_e32 v32, 3, v32
	v_cndmask_b32_e32 v5, v5, v29, vcc
	v_and_b32_sdwa v29, sext(v36), s82 dst_sel:DWORD dst_unused:UNUSED_PAD src0_sel:WORD_0 src1_sel:DWORD
	v_cndmask_b32_e32 v26, v26, v32, vcc
	v_lshl_add_u32 v5, v5, 23, v29
	v_lshl_or_b32 v5, v26, 21, v5
	v_add_u32_e32 v5, 0x38000000, v5
                                        ; implicit-def: $vgpr26
                                        ; implicit-def: $vgpr36
.LBB6_7663:                             ;   in Loop: Header=BB6_7611 Depth=3
	s_andn2_saveexec_b64 s[36:37], s[36:37]
; %bb.7664:                             ;   in Loop: Header=BB6_7611 Depth=3
	v_cmp_lt_i16_e32 vcc, -1, v36
	v_mov_b32_e32 v5, 0xff800000
	v_mov_b32_e32 v29, 0x7f800000
	v_cndmask_b32_e32 v5, v5, v29, vcc
	v_cmp_eq_u32_e32 vcc, 0, v26
	v_mov_b32_e32 v26, 0x7f800001
	v_cndmask_b32_e32 v5, v26, v5, vcc
; %bb.7665:                             ;   in Loop: Header=BB6_7611 Depth=3
	s_or_b64 exec, exec, s[36:37]
.LBB6_7666:                             ;   in Loop: Header=BB6_7611 Depth=3
	s_or_b64 exec, exec, s[34:35]
.LBB6_7667:                             ;   in Loop: Header=BB6_7611 Depth=3
	s_or_b64 exec, exec, s[28:29]
	v_mul_f32_e32 v7, v7, v5
	v_and_b32_e32 v36, 0x7f800000, v7
	v_mov_b32_e32 v37, v34
	v_cmp_ne_u64_e32 vcc, s[76:77], v[36:37]
	v_and_b32_e32 v32, 0x7fffff, v7
	v_mov_b32_e32 v33, v34
                                        ; implicit-def: $vgpr37
	s_and_saveexec_b64 s[28:29], vcc
	s_xor_b64 s[34:35], exec, s[28:29]
	s_cbranch_execz .LBB6_7685
; %bb.7668:                             ;   in Loop: Header=BB6_7611 Depth=3
	v_and_b32_e32 v36, 0x7fffffff, v7
	v_mov_b32_e32 v37, v34
	v_cmp_gt_u64_e32 vcc, s[78:79], v[36:37]
	v_and_b32_sdwa v5, v7, s44 dst_sel:DWORD dst_unused:UNUSED_PAD src0_sel:BYTE_3 src1_sel:DWORD
                                        ; implicit-def: $vgpr37
	s_and_saveexec_b64 s[28:29], vcc
	s_xor_b64 s[36:37], exec, s[28:29]
	s_cbranch_execz .LBB6_7682
; %bb.7669:                             ;   in Loop: Header=BB6_7611 Depth=3
	v_cmp_ne_u32_e32 vcc, 0, v7
	v_mov_b32_e32 v37, 0
	s_and_saveexec_b64 s[38:39], vcc
	s_cbranch_execz .LBB6_7681
; %bb.7670:                             ;   in Loop: Header=BB6_7611 Depth=3
	v_bfe_u32 v7, v7, 23, 8
	v_cmp_gt_u32_e64 s[28:29], s45, v7
	v_sub_u32_e32 v26, 0x71, v7
	v_cmp_eq_u32_e32 vcc, 0, v7
	v_cndmask_b32_e64 v26, 0, v26, s[28:29]
	v_mov_b32_e32 v36, 0x70
	v_or_b32_e32 v29, 0x800000, v32
	v_cndmask_b32_e32 v26, v26, v36, vcc
	v_cndmask_b32_e32 v32, v29, v32, vcc
	v_add_u32_e32 v29, 21, v26
	v_lshlrev_b64 v[36:37], v29, -1
	v_add_u32_e32 v29, 20, v26
	v_bfi_b32 v36, v36, 0, v32
	s_waitcnt vmcnt(1)
	v_lshlrev_b64 v[49:50], v29, 1
	v_lshrrev_b64 v[32:33], v26, v[32:33]
	v_bfi_b32 v37, v37, 0, 0
	v_cmp_eq_u64_e64 s[28:29], v[36:37], v[49:50]
	v_mov_b32_e32 v37, v33
	v_mov_b32_e32 v36, v32
	s_and_saveexec_b64 s[48:49], s[28:29]
; %bb.7671:                             ;   in Loop: Header=BB6_7611 Depth=3
	v_bfe_u32 v29, v32, 21, 1
	v_add_co_u32_e64 v29, s[28:29], v32, v29
	v_add_co_u32_e64 v36, s[28:29], -1, v29
; %bb.7672:                             ;   in Loop: Header=BB6_7611 Depth=3
	s_or_b64 exec, exec, s[48:49]
	v_add_u32_e32 v7, 0xffffff81, v7
	v_mov_b32_e32 v29, 0xffffff82
	v_cndmask_b32_e32 v7, v7, v29, vcc
	v_lshrrev_b32_e32 v29, 23, v32
	v_add3_u32 v29, v26, v7, v29
	v_add_u32_e32 v26, 14, v29
	v_and_b32_e32 v7, 0x1fffff, v36
	v_add_u32_e32 v32, v7, v32
	v_mov_b32_e32 v33, v34
	v_cmp_ne_u32_e32 vcc, 0, v26
                                        ; implicit-def: $vgpr7
	s_and_saveexec_b64 s[28:29], vcc
	s_xor_b64 s[28:29], exec, s[28:29]
; %bb.7673:                             ;   in Loop: Header=BB6_7611 Depth=3
	v_cmp_lt_u64_e32 vcc, s[88:89], v[32:33]
	v_add_u32_e32 v7, 15, v29
	v_cndmask_b32_e32 v7, v26, v7, vcc
	v_cndmask_b32_e64 v26, 0, 1, vcc
	v_lshrrev_b64 v[32:33], v26, v[32:33]
; %bb.7674:                             ;   in Loop: Header=BB6_7611 Depth=3
	s_or_saveexec_b64 s[28:29], s[28:29]
	buffer_load_dword v50, off, s[0:3], s33 offset:400 ; 4-byte Folded Reload
	buffer_load_dword v51, off, s[0:3], s33 offset:404 ; 4-byte Folded Reload
	s_xor_b64 exec, exec, s[28:29]
; %bb.7675:                             ;   in Loop: Header=BB6_7611 Depth=3
	v_bfe_u32 v7, v32, 23, 1
; %bb.7676:                             ;   in Loop: Header=BB6_7611 Depth=3
	s_or_b64 exec, exec, s[28:29]
	v_lshrrev_b64 v[32:33], 21, v[32:33]
	v_cmp_gt_i32_e32 vcc, 32, v7
	v_cndmask_b32_e32 v33, 0, v33, vcc
	v_cndmask_b32_e32 v32, 3, v32, vcc
	v_cmp_ne_u64_e32 vcc, 0, v[32:33]
	v_cmp_ne_u32_e64 s[28:29], 0, v7
	s_or_b64 s[28:29], s[28:29], vcc
                                        ; implicit-def: $vgpr37
	s_and_saveexec_b64 vcc, s[28:29]
	s_xor_b64 s[28:29], exec, vcc
; %bb.7677:                             ;   in Loop: Header=BB6_7611 Depth=3
	v_min_i32_e32 v7, 31, v7
	v_lshl_or_b32 v5, v7, 2, v5
	v_and_or_b32 v37, v32, 3, v5
                                        ; implicit-def: $vgpr5
; %bb.7678:                             ;   in Loop: Header=BB6_7611 Depth=3
	s_andn2_saveexec_b64 s[28:29], s[28:29]
; %bb.7679:                             ;   in Loop: Header=BB6_7611 Depth=3
	v_mov_b32_e32 v37, v5
; %bb.7680:                             ;   in Loop: Header=BB6_7611 Depth=3
	s_or_b64 exec, exec, s[28:29]
.LBB6_7681:                             ;   in Loop: Header=BB6_7611 Depth=3
	s_or_b64 exec, exec, s[38:39]
                                        ; implicit-def: $vgpr5
.LBB6_7682:                             ;   in Loop: Header=BB6_7611 Depth=3
	s_andn2_saveexec_b64 s[28:29], s[36:37]
; %bb.7683:                             ;   in Loop: Header=BB6_7611 Depth=3
	v_or_b32_e32 v37, 0x7b, v5
; %bb.7684:                             ;   in Loop: Header=BB6_7611 Depth=3
	s_or_b64 exec, exec, s[28:29]
                                        ; implicit-def: $vgpr7
                                        ; implicit-def: $vgpr32_vgpr33
.LBB6_7685:                             ;   in Loop: Header=BB6_7611 Depth=3
	s_andn2_saveexec_b64 s[28:29], s[34:35]
	s_cbranch_execz .LBB6_7691
; %bb.7686:                             ;   in Loop: Header=BB6_7611 Depth=3
	v_cmp_ne_u64_e32 vcc, 0, v[32:33]
                                        ; implicit-def: $vgpr37
	s_and_saveexec_b64 s[34:35], vcc
	s_xor_b64 vcc, exec, s[34:35]
; %bb.7687:                             ;   in Loop: Header=BB6_7611 Depth=3
	v_or_b32_sdwa v37, v7, s83 dst_sel:DWORD dst_unused:UNUSED_PAD src0_sel:BYTE_3 src1_sel:DWORD
                                        ; implicit-def: $vgpr7
; %bb.7688:                             ;   in Loop: Header=BB6_7611 Depth=3
	s_andn2_saveexec_b64 s[34:35], vcc
; %bb.7689:                             ;   in Loop: Header=BB6_7611 Depth=3
	v_cmp_lt_i32_e32 vcc, -1, v7
	v_mov_b32_e32 v5, 0x7c
	v_cndmask_b32_e32 v37, -4, v5, vcc
; %bb.7690:                             ;   in Loop: Header=BB6_7611 Depth=3
	s_or_b64 exec, exec, s[34:35]
.LBB6_7691:                             ;   in Loop: Header=BB6_7611 Depth=3
	s_or_b64 exec, exec, s[28:29]
	v_cmp_ne_u16_e32 vcc, 0, v25
	v_mov_b32_e32 v5, 0
	v_mov_b32_e32 v7, 0
	s_and_saveexec_b64 s[28:29], vcc
	s_cbranch_execz .LBB6_7699
; %bb.7692:                             ;   in Loop: Header=BB6_7611 Depth=3
	v_cmp_ne_u16_e32 vcc, s80, v25
	v_bfrev_b32_e32 v7, 1
	s_and_saveexec_b64 s[34:35], vcc
	s_cbranch_execz .LBB6_7698
; %bb.7693:                             ;   in Loop: Header=BB6_7611 Depth=3
	v_and_b32_e32 v7, 0x7c, v25
	v_and_b32_e32 v29, 3, v25
	v_cmp_ne_u32_e32 vcc, s81, v7
                                        ; implicit-def: $vgpr7
	s_and_saveexec_b64 s[36:37], vcc
	s_xor_b64 s[36:37], exec, s[36:37]
	s_cbranch_execz .LBB6_7695
; %bb.7694:                             ;   in Loop: Header=BB6_7611 Depth=3
	v_ffbh_u32_e32 v32, v29
	v_min_u32_e32 v36, 32, v32
	v_and_b32_e32 v7, 0xff, v25
	v_mov_b32_e32 v26, v34
	v_subrev_u32_e32 v32, 29, v36
	v_bfe_u32 v7, v7, 2, 5
	v_lshlrev_b64 v[32:33], v32, v[25:26]
	v_sub_u32_e32 v26, 30, v36
	v_cmp_eq_u32_e32 vcc, 0, v7
	v_and_b32_e32 v32, 3, v32
	v_cndmask_b32_e32 v7, v7, v26, vcc
	v_and_b32_sdwa v25, sext(v25), s82 dst_sel:DWORD dst_unused:UNUSED_PAD src0_sel:WORD_0 src1_sel:DWORD
	v_cndmask_b32_e32 v26, v29, v32, vcc
	v_lshl_add_u32 v7, v7, 23, v25
	v_lshl_or_b32 v7, v26, 21, v7
	v_add_u32_e32 v7, 0x38000000, v7
                                        ; implicit-def: $vgpr29
                                        ; implicit-def: $vgpr25
.LBB6_7695:                             ;   in Loop: Header=BB6_7611 Depth=3
	s_andn2_saveexec_b64 s[36:37], s[36:37]
; %bb.7696:                             ;   in Loop: Header=BB6_7611 Depth=3
	v_cmp_lt_i16_e32 vcc, -1, v25
	v_mov_b32_e32 v7, 0xff800000
	v_mov_b32_e32 v25, 0x7f800000
	v_cndmask_b32_e32 v7, v7, v25, vcc
	v_cmp_eq_u32_e32 vcc, 0, v29
	v_mov_b32_e32 v25, 0x7f800001
	v_cndmask_b32_e32 v7, v25, v7, vcc
; %bb.7697:                             ;   in Loop: Header=BB6_7611 Depth=3
	s_or_b64 exec, exec, s[36:37]
.LBB6_7698:                             ;   in Loop: Header=BB6_7611 Depth=3
	s_or_b64 exec, exec, s[34:35]
.LBB6_7699:                             ;   in Loop: Header=BB6_7611 Depth=3
	s_or_b64 exec, exec, s[28:29]
	v_cmp_ne_u16_e32 vcc, 0, v31
	s_and_saveexec_b64 s[28:29], vcc
	s_cbranch_execz .LBB6_7707
; %bb.7700:                             ;   in Loop: Header=BB6_7611 Depth=3
	v_cmp_ne_u16_e32 vcc, s80, v31
	v_bfrev_b32_e32 v5, 1
	s_and_saveexec_b64 s[34:35], vcc
	s_cbranch_execz .LBB6_7706
; %bb.7701:                             ;   in Loop: Header=BB6_7611 Depth=3
	v_and_b32_e32 v5, 0x7c, v31
	v_and_b32_e32 v25, 3, v31
	v_cmp_ne_u32_e32 vcc, s81, v5
                                        ; implicit-def: $vgpr5
	s_and_saveexec_b64 s[36:37], vcc
	s_xor_b64 s[36:37], exec, s[36:37]
	s_cbranch_execz .LBB6_7703
; %bb.7702:                             ;   in Loop: Header=BB6_7611 Depth=3
	v_ffbh_u32_e32 v26, v25
	v_min_u32_e32 v26, 32, v26
	v_and_b32_e32 v5, 0xff, v31
	v_mov_b32_e32 v32, v34
	v_subrev_u32_e32 v29, 29, v26
	v_bfe_u32 v5, v5, 2, 5
	v_lshlrev_b64 v[32:33], v29, v[31:32]
	v_sub_u32_e32 v26, 30, v26
	v_cmp_eq_u32_e32 vcc, 0, v5
	v_and_b32_e32 v29, 3, v32
	v_cndmask_b32_e32 v5, v5, v26, vcc
	v_and_b32_sdwa v26, sext(v31), s82 dst_sel:DWORD dst_unused:UNUSED_PAD src0_sel:WORD_0 src1_sel:DWORD
	v_cndmask_b32_e32 v25, v25, v29, vcc
	v_lshl_add_u32 v5, v5, 23, v26
	v_lshl_or_b32 v5, v25, 21, v5
	v_add_u32_e32 v5, 0x38000000, v5
                                        ; implicit-def: $vgpr25
                                        ; implicit-def: $vgpr31
.LBB6_7703:                             ;   in Loop: Header=BB6_7611 Depth=3
	s_andn2_saveexec_b64 s[36:37], s[36:37]
; %bb.7704:                             ;   in Loop: Header=BB6_7611 Depth=3
	v_cmp_lt_i16_e32 vcc, -1, v31
	v_mov_b32_e32 v5, 0xff800000
	v_mov_b32_e32 v26, 0x7f800000
	v_cndmask_b32_e32 v5, v5, v26, vcc
	v_cmp_eq_u32_e32 vcc, 0, v25
	v_mov_b32_e32 v25, 0x7f800001
	v_cndmask_b32_e32 v5, v25, v5, vcc
; %bb.7705:                             ;   in Loop: Header=BB6_7611 Depth=3
	s_or_b64 exec, exec, s[36:37]
.LBB6_7706:                             ;   in Loop: Header=BB6_7611 Depth=3
	s_or_b64 exec, exec, s[34:35]
.LBB6_7707:                             ;   in Loop: Header=BB6_7611 Depth=3
	s_or_b64 exec, exec, s[28:29]
	v_mul_f32_e32 v7, v7, v5
	v_and_b32_e32 v31, 0x7f800000, v7
	v_mov_b32_e32 v32, v34
	v_cmp_ne_u64_e32 vcc, s[76:77], v[31:32]
	v_and_b32_e32 v25, 0x7fffff, v7
	v_mov_b32_e32 v26, v34
                                        ; implicit-def: $vgpr32
	s_and_saveexec_b64 s[28:29], vcc
	s_xor_b64 s[34:35], exec, s[28:29]
	s_cbranch_execz .LBB6_7725
; %bb.7708:                             ;   in Loop: Header=BB6_7611 Depth=3
	v_and_b32_e32 v31, 0x7fffffff, v7
	v_mov_b32_e32 v32, v34
	v_cmp_gt_u64_e32 vcc, s[78:79], v[31:32]
	v_and_b32_sdwa v5, v7, s44 dst_sel:DWORD dst_unused:UNUSED_PAD src0_sel:BYTE_3 src1_sel:DWORD
                                        ; implicit-def: $vgpr32
	s_and_saveexec_b64 s[28:29], vcc
	s_xor_b64 s[36:37], exec, s[28:29]
	s_cbranch_execz .LBB6_7722
; %bb.7709:                             ;   in Loop: Header=BB6_7611 Depth=3
	v_cmp_ne_u32_e32 vcc, 0, v7
	v_mov_b32_e32 v32, 0
	s_and_saveexec_b64 s[38:39], vcc
	s_cbranch_execz .LBB6_7721
; %bb.7710:                             ;   in Loop: Header=BB6_7611 Depth=3
	v_bfe_u32 v7, v7, 23, 8
	v_cmp_gt_u32_e64 s[28:29], s45, v7
	v_sub_u32_e32 v29, 0x71, v7
	v_cmp_eq_u32_e32 vcc, 0, v7
	v_cndmask_b32_e64 v29, 0, v29, s[28:29]
	v_mov_b32_e32 v32, 0x70
	v_or_b32_e32 v31, 0x800000, v25
	v_cndmask_b32_e32 v29, v29, v32, vcc
	v_cndmask_b32_e32 v25, v31, v25, vcc
	v_add_u32_e32 v31, 21, v29
	v_lshlrev_b64 v[31:32], v31, -1
	v_add_u32_e32 v33, 20, v29
	v_bfi_b32 v31, v31, 0, v25
	s_waitcnt vmcnt(1)
	v_lshlrev_b64 v[49:50], v33, 1
	v_lshrrev_b64 v[25:26], v29, v[25:26]
	v_bfi_b32 v32, v32, 0, 0
	v_cmp_eq_u64_e64 s[28:29], v[31:32], v[49:50]
	v_mov_b32_e32 v32, v26
	v_mov_b32_e32 v31, v25
	s_and_saveexec_b64 s[48:49], s[28:29]
; %bb.7711:                             ;   in Loop: Header=BB6_7611 Depth=3
	v_bfe_u32 v26, v25, 21, 1
	v_add_co_u32_e64 v26, s[28:29], v25, v26
	v_add_co_u32_e64 v31, s[28:29], -1, v26
; %bb.7712:                             ;   in Loop: Header=BB6_7611 Depth=3
	s_or_b64 exec, exec, s[48:49]
	v_add_u32_e32 v7, 0xffffff81, v7
	v_mov_b32_e32 v26, 0xffffff82
	v_cndmask_b32_e32 v7, v7, v26, vcc
	v_lshrrev_b32_e32 v26, 23, v25
	v_add3_u32 v32, v29, v7, v26
	v_add_u32_e32 v29, 14, v32
	v_and_b32_e32 v7, 0x1fffff, v31
	v_add_u32_e32 v25, v7, v25
	v_mov_b32_e32 v26, v34
	v_cmp_ne_u32_e32 vcc, 0, v29
                                        ; implicit-def: $vgpr7
	s_and_saveexec_b64 s[28:29], vcc
	s_xor_b64 s[28:29], exec, s[28:29]
; %bb.7713:                             ;   in Loop: Header=BB6_7611 Depth=3
	v_cmp_lt_u64_e32 vcc, s[88:89], v[25:26]
	v_add_u32_e32 v7, 15, v32
	v_cndmask_b32_e32 v7, v29, v7, vcc
	v_cndmask_b32_e64 v29, 0, 1, vcc
	v_lshrrev_b64 v[25:26], v29, v[25:26]
; %bb.7714:                             ;   in Loop: Header=BB6_7611 Depth=3
	s_or_saveexec_b64 s[28:29], s[28:29]
	buffer_load_dword v50, off, s[0:3], s33 offset:400 ; 4-byte Folded Reload
	buffer_load_dword v51, off, s[0:3], s33 offset:404 ; 4-byte Folded Reload
	s_xor_b64 exec, exec, s[28:29]
; %bb.7715:                             ;   in Loop: Header=BB6_7611 Depth=3
	v_bfe_u32 v7, v25, 23, 1
; %bb.7716:                             ;   in Loop: Header=BB6_7611 Depth=3
	s_or_b64 exec, exec, s[28:29]
	v_lshrrev_b64 v[25:26], 21, v[25:26]
	v_cmp_gt_i32_e32 vcc, 32, v7
	v_cndmask_b32_e32 v26, 0, v26, vcc
	v_cndmask_b32_e32 v25, 3, v25, vcc
	v_cmp_ne_u64_e32 vcc, 0, v[25:26]
	v_cmp_ne_u32_e64 s[28:29], 0, v7
	s_or_b64 s[28:29], s[28:29], vcc
                                        ; implicit-def: $vgpr32
	s_and_saveexec_b64 vcc, s[28:29]
	s_xor_b64 s[28:29], exec, vcc
; %bb.7717:                             ;   in Loop: Header=BB6_7611 Depth=3
	v_min_i32_e32 v7, 31, v7
	v_lshl_or_b32 v5, v7, 2, v5
	v_and_or_b32 v32, v25, 3, v5
                                        ; implicit-def: $vgpr5
; %bb.7718:                             ;   in Loop: Header=BB6_7611 Depth=3
	s_andn2_saveexec_b64 s[28:29], s[28:29]
; %bb.7719:                             ;   in Loop: Header=BB6_7611 Depth=3
	v_mov_b32_e32 v32, v5
; %bb.7720:                             ;   in Loop: Header=BB6_7611 Depth=3
	s_or_b64 exec, exec, s[28:29]
.LBB6_7721:                             ;   in Loop: Header=BB6_7611 Depth=3
	s_or_b64 exec, exec, s[38:39]
                                        ; implicit-def: $vgpr5
.LBB6_7722:                             ;   in Loop: Header=BB6_7611 Depth=3
	s_andn2_saveexec_b64 s[28:29], s[36:37]
; %bb.7723:                             ;   in Loop: Header=BB6_7611 Depth=3
	v_or_b32_e32 v32, 0x7b, v5
; %bb.7724:                             ;   in Loop: Header=BB6_7611 Depth=3
	s_or_b64 exec, exec, s[28:29]
                                        ; implicit-def: $vgpr7
                                        ; implicit-def: $vgpr25_vgpr26
.LBB6_7725:                             ;   in Loop: Header=BB6_7611 Depth=3
	s_andn2_saveexec_b64 s[28:29], s[34:35]
	s_cbranch_execz .LBB6_7731
; %bb.7726:                             ;   in Loop: Header=BB6_7611 Depth=3
	v_cmp_ne_u64_e32 vcc, 0, v[25:26]
                                        ; implicit-def: $vgpr32
	s_and_saveexec_b64 s[34:35], vcc
	s_xor_b64 vcc, exec, s[34:35]
; %bb.7727:                             ;   in Loop: Header=BB6_7611 Depth=3
	v_or_b32_sdwa v32, v7, s83 dst_sel:DWORD dst_unused:UNUSED_PAD src0_sel:BYTE_3 src1_sel:DWORD
                                        ; implicit-def: $vgpr7
; %bb.7728:                             ;   in Loop: Header=BB6_7611 Depth=3
	s_andn2_saveexec_b64 s[34:35], vcc
; %bb.7729:                             ;   in Loop: Header=BB6_7611 Depth=3
	v_cmp_lt_i32_e32 vcc, -1, v7
	v_mov_b32_e32 v5, 0x7c
	v_cndmask_b32_e32 v32, -4, v5, vcc
; %bb.7730:                             ;   in Loop: Header=BB6_7611 Depth=3
	s_or_b64 exec, exec, s[34:35]
.LBB6_7731:                             ;   in Loop: Header=BB6_7611 Depth=3
	s_or_b64 exec, exec, s[28:29]
	v_cmp_ne_u16_e32 vcc, 0, v28
	v_mov_b32_e32 v5, 0
	v_mov_b32_e32 v7, 0
	s_and_saveexec_b64 s[28:29], vcc
	s_cbranch_execz .LBB6_7739
; %bb.7732:                             ;   in Loop: Header=BB6_7611 Depth=3
	v_cmp_ne_u16_e32 vcc, s80, v28
	v_bfrev_b32_e32 v7, 1
	s_and_saveexec_b64 s[34:35], vcc
	s_cbranch_execz .LBB6_7738
; %bb.7733:                             ;   in Loop: Header=BB6_7611 Depth=3
	v_and_b32_e32 v7, 0x7c, v28
	v_and_b32_e32 v25, 3, v28
	v_cmp_ne_u32_e32 vcc, s81, v7
                                        ; implicit-def: $vgpr7
	s_and_saveexec_b64 s[36:37], vcc
	s_xor_b64 s[36:37], exec, s[36:37]
	s_cbranch_execz .LBB6_7735
; %bb.7734:                             ;   in Loop: Header=BB6_7611 Depth=3
	v_ffbh_u32_e32 v26, v25
	v_min_u32_e32 v26, 32, v26
	v_mov_b32_e32 v29, v34
	v_subrev_u32_e32 v31, 29, v26
	s_waitcnt vmcnt(1)
	v_lshlrev_b64 v[49:50], v31, v[28:29]
	buffer_load_dword v50, off, s[0:3], s33 offset:400 ; 4-byte Folded Reload
	buffer_load_dword v51, off, s[0:3], s33 offset:404 ; 4-byte Folded Reload
	v_and_b32_e32 v7, 0xff, v28
	v_bfe_u32 v7, v7, 2, 5
	v_sub_u32_e32 v26, 30, v26
	v_cmp_eq_u32_e32 vcc, 0, v7
	v_and_b32_e32 v29, 3, v49
	v_cndmask_b32_e32 v7, v7, v26, vcc
	v_and_b32_sdwa v26, sext(v28), s82 dst_sel:DWORD dst_unused:UNUSED_PAD src0_sel:WORD_0 src1_sel:DWORD
	v_cndmask_b32_e32 v25, v25, v29, vcc
	v_lshl_add_u32 v7, v7, 23, v26
	v_lshl_or_b32 v7, v25, 21, v7
	v_add_u32_e32 v7, 0x38000000, v7
                                        ; implicit-def: $vgpr25
                                        ; implicit-def: $vgpr28
.LBB6_7735:                             ;   in Loop: Header=BB6_7611 Depth=3
	s_andn2_saveexec_b64 s[36:37], s[36:37]
; %bb.7736:                             ;   in Loop: Header=BB6_7611 Depth=3
	v_cmp_lt_i16_e32 vcc, -1, v28
	v_mov_b32_e32 v7, 0xff800000
	v_mov_b32_e32 v26, 0x7f800000
	v_cndmask_b32_e32 v7, v7, v26, vcc
	v_cmp_eq_u32_e32 vcc, 0, v25
	v_mov_b32_e32 v25, 0x7f800001
	v_cndmask_b32_e32 v7, v25, v7, vcc
; %bb.7737:                             ;   in Loop: Header=BB6_7611 Depth=3
	s_or_b64 exec, exec, s[36:37]
.LBB6_7738:                             ;   in Loop: Header=BB6_7611 Depth=3
	s_or_b64 exec, exec, s[34:35]
.LBB6_7739:                             ;   in Loop: Header=BB6_7611 Depth=3
	s_or_b64 exec, exec, s[28:29]
	v_cmp_ne_u16_e32 vcc, 0, v24
	s_and_saveexec_b64 s[28:29], vcc
	s_cbranch_execz .LBB6_7747
; %bb.7740:                             ;   in Loop: Header=BB6_7611 Depth=3
	v_cmp_ne_u16_e32 vcc, s80, v24
	v_bfrev_b32_e32 v5, 1
	s_and_saveexec_b64 s[34:35], vcc
	s_cbranch_execz .LBB6_7746
; %bb.7741:                             ;   in Loop: Header=BB6_7611 Depth=3
	v_and_b32_e32 v5, 0x7c, v24
	v_and_b32_e32 v26, 3, v24
	v_cmp_ne_u32_e32 vcc, s81, v5
                                        ; implicit-def: $vgpr5
	s_and_saveexec_b64 s[36:37], vcc
	s_xor_b64 s[36:37], exec, s[36:37]
	s_cbranch_execz .LBB6_7743
; %bb.7742:                             ;   in Loop: Header=BB6_7611 Depth=3
	v_ffbh_u32_e32 v28, v26
	v_min_u32_e32 v31, 32, v28
	v_and_b32_e32 v5, 0xff, v24
	v_mov_b32_e32 v25, v34
	v_subrev_u32_e32 v28, 29, v31
	v_bfe_u32 v5, v5, 2, 5
	v_lshlrev_b64 v[28:29], v28, v[24:25]
	v_sub_u32_e32 v25, 30, v31
	v_cmp_eq_u32_e32 vcc, 0, v5
	v_and_b32_e32 v28, 3, v28
	v_cndmask_b32_e32 v5, v5, v25, vcc
	v_and_b32_sdwa v24, sext(v24), s82 dst_sel:DWORD dst_unused:UNUSED_PAD src0_sel:WORD_0 src1_sel:DWORD
	v_cndmask_b32_e32 v25, v26, v28, vcc
	v_lshl_add_u32 v5, v5, 23, v24
	v_lshl_or_b32 v5, v25, 21, v5
	v_add_u32_e32 v5, 0x38000000, v5
                                        ; implicit-def: $vgpr26
                                        ; implicit-def: $vgpr24
.LBB6_7743:                             ;   in Loop: Header=BB6_7611 Depth=3
	s_andn2_saveexec_b64 s[36:37], s[36:37]
; %bb.7744:                             ;   in Loop: Header=BB6_7611 Depth=3
	v_cmp_lt_i16_e32 vcc, -1, v24
	v_mov_b32_e32 v5, 0xff800000
	v_mov_b32_e32 v24, 0x7f800000
	v_cndmask_b32_e32 v5, v5, v24, vcc
	v_cmp_eq_u32_e32 vcc, 0, v26
	v_mov_b32_e32 v24, 0x7f800001
	v_cndmask_b32_e32 v5, v24, v5, vcc
; %bb.7745:                             ;   in Loop: Header=BB6_7611 Depth=3
	s_or_b64 exec, exec, s[36:37]
.LBB6_7746:                             ;   in Loop: Header=BB6_7611 Depth=3
	s_or_b64 exec, exec, s[34:35]
.LBB6_7747:                             ;   in Loop: Header=BB6_7611 Depth=3
	s_or_b64 exec, exec, s[28:29]
	v_mul_f32_e32 v7, v7, v5
	v_and_b32_e32 v25, 0x7f800000, v7
	v_mov_b32_e32 v26, v34
	v_cmp_ne_u64_e32 vcc, s[76:77], v[25:26]
	v_and_b32_e32 v24, 0x7fffff, v7
	v_mov_b32_e32 v25, v34
                                        ; implicit-def: $vgpr29
	s_and_saveexec_b64 s[28:29], vcc
	s_xor_b64 s[34:35], exec, s[28:29]
	s_cbranch_execz .LBB6_7765
; %bb.7748:                             ;   in Loop: Header=BB6_7611 Depth=3
	v_and_b32_e32 v28, 0x7fffffff, v7
	v_mov_b32_e32 v29, v34
	v_cmp_gt_u64_e32 vcc, s[78:79], v[28:29]
	v_and_b32_sdwa v5, v7, s44 dst_sel:DWORD dst_unused:UNUSED_PAD src0_sel:BYTE_3 src1_sel:DWORD
                                        ; implicit-def: $vgpr29
	s_and_saveexec_b64 s[28:29], vcc
	s_xor_b64 s[36:37], exec, s[28:29]
	s_cbranch_execz .LBB6_7762
; %bb.7749:                             ;   in Loop: Header=BB6_7611 Depth=3
	v_cmp_ne_u32_e32 vcc, 0, v7
	v_mov_b32_e32 v29, 0
	s_and_saveexec_b64 s[38:39], vcc
	s_cbranch_execz .LBB6_7761
; %bb.7750:                             ;   in Loop: Header=BB6_7611 Depth=3
	v_bfe_u32 v7, v7, 23, 8
	v_cmp_gt_u32_e64 s[28:29], s45, v7
	v_sub_u32_e32 v26, 0x71, v7
	v_cmp_eq_u32_e32 vcc, 0, v7
	v_cndmask_b32_e64 v26, 0, v26, s[28:29]
	v_mov_b32_e32 v28, 0x70
	v_cndmask_b32_e32 v28, v26, v28, vcc
	v_add_u32_e32 v26, 21, v28
	v_or_b32_e32 v29, 0x800000, v24
	s_waitcnt vmcnt(1)
	v_lshlrev_b64 v[49:50], v26, -1
	v_cndmask_b32_e32 v24, v29, v24, vcc
	v_add_u32_e32 v26, 20, v28
	v_bfi_b32 v49, v49, 0, v24
	v_lshlrev_b64 v[47:48], v26, 1
	v_lshrrev_b64 v[24:25], v28, v[24:25]
	v_bfi_b32 v50, v50, 0, 0
	v_cmp_eq_u64_e64 s[28:29], v[49:50], v[47:48]
	v_mov_b32_e32 v26, v25
	v_mov_b32_e32 v25, v24
	s_and_saveexec_b64 s[48:49], s[28:29]
; %bb.7751:                             ;   in Loop: Header=BB6_7611 Depth=3
	v_bfe_u32 v25, v24, 21, 1
	v_add_co_u32_e64 v25, s[28:29], v24, v25
	v_add_co_u32_e64 v25, s[28:29], -1, v25
; %bb.7752:                             ;   in Loop: Header=BB6_7611 Depth=3
	s_or_b64 exec, exec, s[48:49]
	v_add_u32_e32 v7, 0xffffff81, v7
	v_mov_b32_e32 v26, 0xffffff82
	v_cndmask_b32_e32 v7, v7, v26, vcc
	v_lshrrev_b32_e32 v26, 23, v24
	v_add3_u32 v28, v28, v7, v26
	v_add_u32_e32 v26, 14, v28
	v_and_b32_e32 v7, 0x1fffff, v25
	v_add_u32_e32 v24, v7, v24
	v_mov_b32_e32 v25, v34
	v_cmp_ne_u32_e32 vcc, 0, v26
                                        ; implicit-def: $vgpr7
	s_and_saveexec_b64 s[28:29], vcc
	s_xor_b64 s[28:29], exec, s[28:29]
; %bb.7753:                             ;   in Loop: Header=BB6_7611 Depth=3
	v_cmp_lt_u64_e32 vcc, s[88:89], v[24:25]
	v_add_u32_e32 v7, 15, v28
	v_cndmask_b32_e32 v7, v26, v7, vcc
	v_cndmask_b32_e64 v26, 0, 1, vcc
	v_lshrrev_b64 v[24:25], v26, v[24:25]
; %bb.7754:                             ;   in Loop: Header=BB6_7611 Depth=3
	s_or_saveexec_b64 s[28:29], s[28:29]
	buffer_load_dword v50, off, s[0:3], s33 offset:400 ; 4-byte Folded Reload
	buffer_load_dword v51, off, s[0:3], s33 offset:404 ; 4-byte Folded Reload
	s_xor_b64 exec, exec, s[28:29]
; %bb.7755:                             ;   in Loop: Header=BB6_7611 Depth=3
	v_bfe_u32 v7, v24, 23, 1
; %bb.7756:                             ;   in Loop: Header=BB6_7611 Depth=3
	s_or_b64 exec, exec, s[28:29]
	v_lshrrev_b64 v[24:25], 21, v[24:25]
	v_cmp_gt_i32_e32 vcc, 32, v7
	v_cndmask_b32_e32 v25, 0, v25, vcc
	v_cndmask_b32_e32 v24, 3, v24, vcc
	v_cmp_ne_u64_e32 vcc, 0, v[24:25]
	v_cmp_ne_u32_e64 s[28:29], 0, v7
	s_or_b64 s[28:29], s[28:29], vcc
                                        ; implicit-def: $vgpr29
	s_and_saveexec_b64 vcc, s[28:29]
	s_xor_b64 s[28:29], exec, vcc
; %bb.7757:                             ;   in Loop: Header=BB6_7611 Depth=3
	v_min_i32_e32 v7, 31, v7
	v_lshl_or_b32 v5, v7, 2, v5
	v_and_or_b32 v29, v24, 3, v5
                                        ; implicit-def: $vgpr5
; %bb.7758:                             ;   in Loop: Header=BB6_7611 Depth=3
	s_andn2_saveexec_b64 s[28:29], s[28:29]
; %bb.7759:                             ;   in Loop: Header=BB6_7611 Depth=3
	v_mov_b32_e32 v29, v5
; %bb.7760:                             ;   in Loop: Header=BB6_7611 Depth=3
	s_or_b64 exec, exec, s[28:29]
.LBB6_7761:                             ;   in Loop: Header=BB6_7611 Depth=3
	s_or_b64 exec, exec, s[38:39]
                                        ; implicit-def: $vgpr5
.LBB6_7762:                             ;   in Loop: Header=BB6_7611 Depth=3
	s_andn2_saveexec_b64 s[28:29], s[36:37]
; %bb.7763:                             ;   in Loop: Header=BB6_7611 Depth=3
	v_or_b32_e32 v29, 0x7b, v5
; %bb.7764:                             ;   in Loop: Header=BB6_7611 Depth=3
	s_or_b64 exec, exec, s[28:29]
                                        ; implicit-def: $vgpr7
                                        ; implicit-def: $vgpr24_vgpr25
.LBB6_7765:                             ;   in Loop: Header=BB6_7611 Depth=3
	s_andn2_saveexec_b64 s[28:29], s[34:35]
	s_cbranch_execz .LBB6_7771
; %bb.7766:                             ;   in Loop: Header=BB6_7611 Depth=3
	v_cmp_ne_u64_e32 vcc, 0, v[24:25]
                                        ; implicit-def: $vgpr29
	s_and_saveexec_b64 s[34:35], vcc
	s_xor_b64 vcc, exec, s[34:35]
; %bb.7767:                             ;   in Loop: Header=BB6_7611 Depth=3
	v_or_b32_sdwa v29, v7, s83 dst_sel:DWORD dst_unused:UNUSED_PAD src0_sel:BYTE_3 src1_sel:DWORD
                                        ; implicit-def: $vgpr7
; %bb.7768:                             ;   in Loop: Header=BB6_7611 Depth=3
	s_andn2_saveexec_b64 s[34:35], vcc
; %bb.7769:                             ;   in Loop: Header=BB6_7611 Depth=3
	v_cmp_lt_i32_e32 vcc, -1, v7
	v_mov_b32_e32 v5, 0x7c
	v_cndmask_b32_e32 v29, -4, v5, vcc
; %bb.7770:                             ;   in Loop: Header=BB6_7611 Depth=3
	s_or_b64 exec, exec, s[34:35]
.LBB6_7771:                             ;   in Loop: Header=BB6_7611 Depth=3
	s_or_b64 exec, exec, s[28:29]
	v_cmp_ne_u16_e32 vcc, 0, v35
	v_mov_b32_e32 v5, 0
	v_mov_b32_e32 v7, 0
	s_and_saveexec_b64 s[28:29], vcc
	s_cbranch_execz .LBB6_7779
; %bb.7772:                             ;   in Loop: Header=BB6_7611 Depth=3
	v_cmp_ne_u16_e32 vcc, s80, v35
	v_bfrev_b32_e32 v7, 1
	s_and_saveexec_b64 s[34:35], vcc
	s_cbranch_execz .LBB6_7778
; %bb.7773:                             ;   in Loop: Header=BB6_7611 Depth=3
	v_and_b32_e32 v7, 0x7c, v35
	v_and_b32_e32 v24, 3, v35
	v_cmp_ne_u32_e32 vcc, s81, v7
                                        ; implicit-def: $vgpr7
	s_and_saveexec_b64 s[36:37], vcc
	s_xor_b64 s[36:37], exec, s[36:37]
	s_cbranch_execz .LBB6_7775
; %bb.7774:                             ;   in Loop: Header=BB6_7611 Depth=3
	v_ffbh_u32_e32 v25, v24
	v_min_u32_e32 v28, 32, v25
	v_mov_b32_e32 v36, v34
	v_subrev_u32_e32 v25, 29, v28
	v_and_b32_e32 v7, 0xff, v35
	v_lshlrev_b64 v[25:26], v25, v[35:36]
	v_bfe_u32 v7, v7, 2, 5
	v_sub_u32_e32 v26, 30, v28
	v_and_b32_e32 v25, 3, v25
	v_cmp_eq_u32_e32 vcc, 0, v7
	v_cndmask_b32_e32 v7, v7, v26, vcc
	v_cndmask_b32_e32 v24, v24, v25, vcc
	v_and_b32_sdwa v25, sext(v35), s82 dst_sel:DWORD dst_unused:UNUSED_PAD src0_sel:WORD_0 src1_sel:DWORD
	v_lshl_add_u32 v7, v7, 23, v25
	v_lshl_or_b32 v7, v24, 21, v7
	v_add_u32_e32 v7, 0x38000000, v7
                                        ; implicit-def: $vgpr24
                                        ; implicit-def: $vgpr35
.LBB6_7775:                             ;   in Loop: Header=BB6_7611 Depth=3
	s_andn2_saveexec_b64 s[36:37], s[36:37]
; %bb.7776:                             ;   in Loop: Header=BB6_7611 Depth=3
	v_cmp_lt_i16_e32 vcc, -1, v35
	v_mov_b32_e32 v7, 0xff800000
	v_mov_b32_e32 v25, 0x7f800000
	v_cndmask_b32_e32 v7, v7, v25, vcc
	v_cmp_eq_u32_e32 vcc, 0, v24
	v_mov_b32_e32 v24, 0x7f800001
	v_cndmask_b32_e32 v7, v24, v7, vcc
; %bb.7777:                             ;   in Loop: Header=BB6_7611 Depth=3
	s_or_b64 exec, exec, s[36:37]
.LBB6_7778:                             ;   in Loop: Header=BB6_7611 Depth=3
	s_or_b64 exec, exec, s[34:35]
.LBB6_7779:                             ;   in Loop: Header=BB6_7611 Depth=3
	s_or_b64 exec, exec, s[28:29]
	v_cmp_ne_u16_e32 vcc, 0, v30
	s_and_saveexec_b64 s[28:29], vcc
	s_cbranch_execz .LBB6_7787
; %bb.7780:                             ;   in Loop: Header=BB6_7611 Depth=3
	v_cmp_ne_u16_e32 vcc, s80, v30
	v_bfrev_b32_e32 v5, 1
	s_and_saveexec_b64 s[34:35], vcc
	s_cbranch_execz .LBB6_7786
; %bb.7781:                             ;   in Loop: Header=BB6_7611 Depth=3
	v_and_b32_e32 v5, 0x7c, v30
	v_and_b32_e32 v24, 3, v30
	v_cmp_ne_u32_e32 vcc, s81, v5
                                        ; implicit-def: $vgpr5
	s_and_saveexec_b64 s[36:37], vcc
	s_xor_b64 s[36:37], exec, s[36:37]
	s_cbranch_execz .LBB6_7783
; %bb.7782:                             ;   in Loop: Header=BB6_7611 Depth=3
	v_ffbh_u32_e32 v25, v24
	v_min_u32_e32 v28, 32, v25
	v_mov_b32_e32 v31, v34
	v_subrev_u32_e32 v25, 29, v28
	v_and_b32_e32 v5, 0xff, v30
	v_lshlrev_b64 v[25:26], v25, v[30:31]
	v_bfe_u32 v5, v5, 2, 5
	v_sub_u32_e32 v26, 30, v28
	v_and_b32_e32 v25, 3, v25
	v_cmp_eq_u32_e32 vcc, 0, v5
	v_cndmask_b32_e32 v5, v5, v26, vcc
	v_cndmask_b32_e32 v24, v24, v25, vcc
	v_and_b32_sdwa v25, sext(v30), s82 dst_sel:DWORD dst_unused:UNUSED_PAD src0_sel:WORD_0 src1_sel:DWORD
	v_lshl_add_u32 v5, v5, 23, v25
	v_lshl_or_b32 v5, v24, 21, v5
	v_add_u32_e32 v5, 0x38000000, v5
                                        ; implicit-def: $vgpr24
                                        ; implicit-def: $vgpr30
.LBB6_7783:                             ;   in Loop: Header=BB6_7611 Depth=3
	s_andn2_saveexec_b64 s[36:37], s[36:37]
; %bb.7784:                             ;   in Loop: Header=BB6_7611 Depth=3
	v_cmp_lt_i16_e32 vcc, -1, v30
	v_mov_b32_e32 v5, 0xff800000
	v_mov_b32_e32 v25, 0x7f800000
	v_cndmask_b32_e32 v5, v5, v25, vcc
	v_cmp_eq_u32_e32 vcc, 0, v24
	v_mov_b32_e32 v24, 0x7f800001
	v_cndmask_b32_e32 v5, v24, v5, vcc
; %bb.7785:                             ;   in Loop: Header=BB6_7611 Depth=3
	s_or_b64 exec, exec, s[36:37]
.LBB6_7786:                             ;   in Loop: Header=BB6_7611 Depth=3
	s_or_b64 exec, exec, s[34:35]
.LBB6_7787:                             ;   in Loop: Header=BB6_7611 Depth=3
	s_or_b64 exec, exec, s[28:29]
	v_mul_f32_e32 v7, v7, v5
	v_and_b32_e32 v25, 0x7f800000, v7
	v_mov_b32_e32 v26, v34
	v_cmp_ne_u64_e32 vcc, s[76:77], v[25:26]
	v_and_b32_e32 v24, 0x7fffff, v7
	v_mov_b32_e32 v25, v34
                                        ; implicit-def: $vgpr26
	s_and_saveexec_b64 s[28:29], vcc
	s_xor_b64 s[34:35], exec, s[28:29]
	s_cbranch_execz .LBB6_7805
; %bb.7788:                             ;   in Loop: Header=BB6_7611 Depth=3
	v_and_b32_e32 v30, 0x7fffffff, v7
	v_mov_b32_e32 v31, v34
	v_cmp_gt_u64_e32 vcc, s[78:79], v[30:31]
	v_and_b32_sdwa v5, v7, s44 dst_sel:DWORD dst_unused:UNUSED_PAD src0_sel:BYTE_3 src1_sel:DWORD
                                        ; implicit-def: $vgpr26
	s_and_saveexec_b64 s[28:29], vcc
	s_xor_b64 s[36:37], exec, s[28:29]
	s_cbranch_execz .LBB6_7802
; %bb.7789:                             ;   in Loop: Header=BB6_7611 Depth=3
	v_cmp_ne_u32_e32 vcc, 0, v7
	v_mov_b32_e32 v26, 0
	s_and_saveexec_b64 s[38:39], vcc
	s_cbranch_execz .LBB6_7801
; %bb.7790:                             ;   in Loop: Header=BB6_7611 Depth=3
	v_bfe_u32 v7, v7, 23, 8
	v_cmp_gt_u32_e64 s[28:29], s45, v7
	v_sub_u32_e32 v26, 0x71, v7
	v_cmp_eq_u32_e32 vcc, 0, v7
	v_cndmask_b32_e64 v26, 0, v26, s[28:29]
	v_mov_b32_e32 v28, 0x70
	v_cndmask_b32_e32 v28, v26, v28, vcc
	v_or_b32_e32 v30, 0x800000, v24
	v_add_u32_e32 v26, 21, v28
	v_cndmask_b32_e32 v24, v30, v24, vcc
	v_lshlrev_b64 v[30:31], v26, -1
	v_add_u32_e32 v26, 20, v28
	v_bfi_b32 v30, v30, 0, v24
	v_lshlrev_b64 v[35:36], v26, 1
	v_lshrrev_b64 v[24:25], v28, v[24:25]
	v_bfi_b32 v31, v31, 0, 0
	v_cmp_eq_u64_e64 s[28:29], v[30:31], v[35:36]
	v_mov_b32_e32 v26, v25
	v_mov_b32_e32 v25, v24
	s_and_saveexec_b64 s[48:49], s[28:29]
; %bb.7791:                             ;   in Loop: Header=BB6_7611 Depth=3
	v_bfe_u32 v25, v24, 21, 1
	v_add_co_u32_e64 v25, s[28:29], v24, v25
	v_add_co_u32_e64 v25, s[28:29], -1, v25
; %bb.7792:                             ;   in Loop: Header=BB6_7611 Depth=3
	s_or_b64 exec, exec, s[48:49]
	v_add_u32_e32 v7, 0xffffff81, v7
	v_mov_b32_e32 v26, 0xffffff82
	v_cndmask_b32_e32 v7, v7, v26, vcc
	v_lshrrev_b32_e32 v26, 23, v24
	v_add3_u32 v28, v28, v7, v26
	v_add_u32_e32 v26, 14, v28
	v_and_b32_e32 v7, 0x1fffff, v25
	v_add_u32_e32 v24, v7, v24
	v_mov_b32_e32 v25, v34
	v_cmp_ne_u32_e32 vcc, 0, v26
                                        ; implicit-def: $vgpr7
	s_and_saveexec_b64 s[28:29], vcc
	s_xor_b64 s[28:29], exec, s[28:29]
; %bb.7793:                             ;   in Loop: Header=BB6_7611 Depth=3
	v_cmp_lt_u64_e32 vcc, s[88:89], v[24:25]
	v_add_u32_e32 v7, 15, v28
	v_cndmask_b32_e32 v7, v26, v7, vcc
	v_cndmask_b32_e64 v26, 0, 1, vcc
	v_lshrrev_b64 v[24:25], v26, v[24:25]
; %bb.7794:                             ;   in Loop: Header=BB6_7611 Depth=3
	s_andn2_saveexec_b64 s[28:29], s[28:29]
; %bb.7795:                             ;   in Loop: Header=BB6_7611 Depth=3
	v_bfe_u32 v7, v24, 23, 1
; %bb.7796:                             ;   in Loop: Header=BB6_7611 Depth=3
	s_or_b64 exec, exec, s[28:29]
	v_lshrrev_b64 v[24:25], 21, v[24:25]
	v_cmp_gt_i32_e32 vcc, 32, v7
	v_cndmask_b32_e32 v25, 0, v25, vcc
	v_cndmask_b32_e32 v24, 3, v24, vcc
	v_cmp_ne_u64_e32 vcc, 0, v[24:25]
	v_cmp_ne_u32_e64 s[28:29], 0, v7
	s_or_b64 s[28:29], s[28:29], vcc
                                        ; implicit-def: $vgpr26
	s_and_saveexec_b64 vcc, s[28:29]
	s_xor_b64 s[28:29], exec, vcc
; %bb.7797:                             ;   in Loop: Header=BB6_7611 Depth=3
	v_min_i32_e32 v7, 31, v7
	v_lshl_or_b32 v5, v7, 2, v5
	v_and_or_b32 v26, v24, 3, v5
                                        ; implicit-def: $vgpr5
; %bb.7798:                             ;   in Loop: Header=BB6_7611 Depth=3
	s_andn2_saveexec_b64 s[28:29], s[28:29]
; %bb.7799:                             ;   in Loop: Header=BB6_7611 Depth=3
	v_mov_b32_e32 v26, v5
; %bb.7800:                             ;   in Loop: Header=BB6_7611 Depth=3
	s_or_b64 exec, exec, s[28:29]
.LBB6_7801:                             ;   in Loop: Header=BB6_7611 Depth=3
	s_or_b64 exec, exec, s[38:39]
                                        ; implicit-def: $vgpr5
.LBB6_7802:                             ;   in Loop: Header=BB6_7611 Depth=3
	s_andn2_saveexec_b64 s[28:29], s[36:37]
; %bb.7803:                             ;   in Loop: Header=BB6_7611 Depth=3
	v_or_b32_e32 v26, 0x7b, v5
; %bb.7804:                             ;   in Loop: Header=BB6_7611 Depth=3
	s_or_b64 exec, exec, s[28:29]
                                        ; implicit-def: $vgpr7
                                        ; implicit-def: $vgpr24_vgpr25
.LBB6_7805:                             ;   in Loop: Header=BB6_7611 Depth=3
	s_andn2_saveexec_b64 s[28:29], s[34:35]
	s_cbranch_execz .LBB6_7811
; %bb.7806:                             ;   in Loop: Header=BB6_7611 Depth=3
	v_cmp_ne_u64_e32 vcc, 0, v[24:25]
                                        ; implicit-def: $vgpr26
	s_and_saveexec_b64 s[34:35], vcc
	s_xor_b64 vcc, exec, s[34:35]
; %bb.7807:                             ;   in Loop: Header=BB6_7611 Depth=3
	v_or_b32_sdwa v26, v7, s83 dst_sel:DWORD dst_unused:UNUSED_PAD src0_sel:BYTE_3 src1_sel:DWORD
                                        ; implicit-def: $vgpr7
; %bb.7808:                             ;   in Loop: Header=BB6_7611 Depth=3
	s_andn2_saveexec_b64 s[34:35], vcc
; %bb.7809:                             ;   in Loop: Header=BB6_7611 Depth=3
	v_cmp_lt_i32_e32 vcc, -1, v7
	v_mov_b32_e32 v5, 0x7c
	v_cndmask_b32_e32 v26, -4, v5, vcc
; %bb.7810:                             ;   in Loop: Header=BB6_7611 Depth=3
	s_or_b64 exec, exec, s[34:35]
.LBB6_7811:                             ;   in Loop: Header=BB6_7611 Depth=3
	s_or_b64 exec, exec, s[28:29]
	v_cmp_ne_u16_e32 vcc, 0, v23
	v_mov_b32_e32 v5, 0
	v_mov_b32_e32 v7, 0
	s_and_saveexec_b64 s[28:29], vcc
	s_cbranch_execz .LBB6_7819
; %bb.7812:                             ;   in Loop: Header=BB6_7611 Depth=3
	v_cmp_ne_u16_e32 vcc, s80, v23
	v_bfrev_b32_e32 v7, 1
	s_and_saveexec_b64 s[34:35], vcc
	s_cbranch_execz .LBB6_7818
; %bb.7813:                             ;   in Loop: Header=BB6_7611 Depth=3
	v_and_b32_e32 v7, 0x7c, v23
	v_and_b32_e32 v25, 3, v23
	v_cmp_ne_u32_e32 vcc, s81, v7
                                        ; implicit-def: $vgpr7
	s_and_saveexec_b64 s[36:37], vcc
	s_xor_b64 s[36:37], exec, s[36:37]
	s_cbranch_execz .LBB6_7815
; %bb.7814:                             ;   in Loop: Header=BB6_7611 Depth=3
	v_ffbh_u32_e32 v28, v25
	v_min_u32_e32 v28, 32, v28
	v_and_b32_e32 v7, 0xff, v23
	v_mov_b32_e32 v24, v34
	v_subrev_u32_e32 v30, 29, v28
	v_bfe_u32 v7, v7, 2, 5
	v_lshlrev_b64 v[30:31], v30, v[23:24]
	v_sub_u32_e32 v24, 30, v28
	v_cmp_eq_u32_e32 vcc, 0, v7
	v_and_b32_e32 v28, 3, v30
	v_cndmask_b32_e32 v7, v7, v24, vcc
	v_and_b32_sdwa v23, sext(v23), s82 dst_sel:DWORD dst_unused:UNUSED_PAD src0_sel:WORD_0 src1_sel:DWORD
	v_cndmask_b32_e32 v24, v25, v28, vcc
	v_lshl_add_u32 v7, v7, 23, v23
	v_lshl_or_b32 v7, v24, 21, v7
	v_add_u32_e32 v7, 0x38000000, v7
                                        ; implicit-def: $vgpr25
                                        ; implicit-def: $vgpr23
.LBB6_7815:                             ;   in Loop: Header=BB6_7611 Depth=3
	s_andn2_saveexec_b64 s[36:37], s[36:37]
; %bb.7816:                             ;   in Loop: Header=BB6_7611 Depth=3
	v_cmp_lt_i16_e32 vcc, -1, v23
	v_mov_b32_e32 v7, 0xff800000
	v_mov_b32_e32 v23, 0x7f800000
	v_cndmask_b32_e32 v7, v7, v23, vcc
	v_cmp_eq_u32_e32 vcc, 0, v25
	v_mov_b32_e32 v23, 0x7f800001
	v_cndmask_b32_e32 v7, v23, v7, vcc
; %bb.7817:                             ;   in Loop: Header=BB6_7611 Depth=3
	s_or_b64 exec, exec, s[36:37]
.LBB6_7818:                             ;   in Loop: Header=BB6_7611 Depth=3
	s_or_b64 exec, exec, s[34:35]
.LBB6_7819:                             ;   in Loop: Header=BB6_7611 Depth=3
	s_or_b64 exec, exec, s[28:29]
	v_cmp_ne_u16_e32 vcc, 0, v22
	s_and_saveexec_b64 s[28:29], vcc
	s_cbranch_execz .LBB6_7827
; %bb.7820:                             ;   in Loop: Header=BB6_7611 Depth=3
	v_cmp_ne_u16_e32 vcc, s80, v22
	v_bfrev_b32_e32 v5, 1
	s_and_saveexec_b64 s[34:35], vcc
	s_cbranch_execz .LBB6_7826
; %bb.7821:                             ;   in Loop: Header=BB6_7611 Depth=3
	v_and_b32_e32 v5, 0x7c, v22
	v_and_b32_e32 v24, 3, v22
	v_cmp_ne_u32_e32 vcc, s81, v5
                                        ; implicit-def: $vgpr5
	s_and_saveexec_b64 s[36:37], vcc
	s_xor_b64 s[36:37], exec, s[36:37]
	s_cbranch_execz .LBB6_7823
; %bb.7822:                             ;   in Loop: Header=BB6_7611 Depth=3
	v_ffbh_u32_e32 v25, v24
	v_min_u32_e32 v25, 32, v25
	v_and_b32_e32 v5, 0xff, v22
	v_mov_b32_e32 v23, v34
	v_subrev_u32_e32 v28, 29, v25
	v_bfe_u32 v5, v5, 2, 5
	v_lshlrev_b64 v[30:31], v28, v[22:23]
	v_sub_u32_e32 v23, 30, v25
	v_cmp_eq_u32_e32 vcc, 0, v5
	v_and_b32_e32 v25, 3, v30
	v_cndmask_b32_e32 v5, v5, v23, vcc
	v_and_b32_sdwa v22, sext(v22), s82 dst_sel:DWORD dst_unused:UNUSED_PAD src0_sel:WORD_0 src1_sel:DWORD
	v_cndmask_b32_e32 v23, v24, v25, vcc
	v_lshl_add_u32 v5, v5, 23, v22
	v_lshl_or_b32 v5, v23, 21, v5
	v_add_u32_e32 v5, 0x38000000, v5
                                        ; implicit-def: $vgpr24
                                        ; implicit-def: $vgpr22
.LBB6_7823:                             ;   in Loop: Header=BB6_7611 Depth=3
	s_andn2_saveexec_b64 s[36:37], s[36:37]
; %bb.7824:                             ;   in Loop: Header=BB6_7611 Depth=3
	v_cmp_lt_i16_e32 vcc, -1, v22
	v_mov_b32_e32 v5, 0xff800000
	v_mov_b32_e32 v22, 0x7f800000
	v_cndmask_b32_e32 v5, v5, v22, vcc
	v_cmp_eq_u32_e32 vcc, 0, v24
	v_mov_b32_e32 v22, 0x7f800001
	v_cndmask_b32_e32 v5, v22, v5, vcc
; %bb.7825:                             ;   in Loop: Header=BB6_7611 Depth=3
	s_or_b64 exec, exec, s[36:37]
.LBB6_7826:                             ;   in Loop: Header=BB6_7611 Depth=3
	s_or_b64 exec, exec, s[34:35]
.LBB6_7827:                             ;   in Loop: Header=BB6_7611 Depth=3
	s_or_b64 exec, exec, s[28:29]
	v_mul_f32_e32 v7, v7, v5
	v_and_b32_e32 v23, 0x7f800000, v7
	v_mov_b32_e32 v24, v34
	v_cmp_ne_u64_e32 vcc, s[76:77], v[23:24]
	v_and_b32_e32 v22, 0x7fffff, v7
	v_mov_b32_e32 v23, v34
                                        ; implicit-def: $vgpr24
	s_and_saveexec_b64 s[28:29], vcc
	s_xor_b64 s[34:35], exec, s[28:29]
	s_cbranch_execz .LBB6_7845
; %bb.7828:                             ;   in Loop: Header=BB6_7611 Depth=3
	v_and_b32_e32 v24, 0x7fffffff, v7
	v_mov_b32_e32 v25, v34
	v_cmp_gt_u64_e32 vcc, s[78:79], v[24:25]
	v_and_b32_sdwa v5, v7, s44 dst_sel:DWORD dst_unused:UNUSED_PAD src0_sel:BYTE_3 src1_sel:DWORD
                                        ; implicit-def: $vgpr24
	s_and_saveexec_b64 s[28:29], vcc
	s_xor_b64 s[36:37], exec, s[28:29]
	s_cbranch_execz .LBB6_7842
; %bb.7829:                             ;   in Loop: Header=BB6_7611 Depth=3
	v_cmp_ne_u32_e32 vcc, 0, v7
	v_mov_b32_e32 v24, 0
	s_and_saveexec_b64 s[38:39], vcc
	s_cbranch_execz .LBB6_7841
; %bb.7830:                             ;   in Loop: Header=BB6_7611 Depth=3
	v_bfe_u32 v7, v7, 23, 8
	v_cmp_gt_u32_e64 s[28:29], s45, v7
	v_sub_u32_e32 v24, 0x71, v7
	v_cmp_eq_u32_e32 vcc, 0, v7
	v_cndmask_b32_e64 v24, 0, v24, s[28:29]
	v_mov_b32_e32 v25, 0x70
	v_cndmask_b32_e32 v25, v24, v25, vcc
	v_add_u32_e32 v24, 21, v25
	v_or_b32_e32 v28, 0x800000, v22
	v_lshlrev_b64 v[30:31], v24, -1
	v_cndmask_b32_e32 v22, v28, v22, vcc
	v_add_u32_e32 v24, 20, v25
	v_bfi_b32 v30, v30, 0, v22
	v_lshlrev_b64 v[35:36], v24, 1
	v_lshrrev_b64 v[22:23], v25, v[22:23]
	v_bfi_b32 v31, v31, 0, 0
	v_cmp_eq_u64_e64 s[28:29], v[30:31], v[35:36]
	v_mov_b32_e32 v24, v23
	v_mov_b32_e32 v23, v22
	s_and_saveexec_b64 s[48:49], s[28:29]
; %bb.7831:                             ;   in Loop: Header=BB6_7611 Depth=3
	v_bfe_u32 v23, v22, 21, 1
	v_add_co_u32_e64 v23, s[28:29], v22, v23
	v_add_co_u32_e64 v23, s[28:29], -1, v23
; %bb.7832:                             ;   in Loop: Header=BB6_7611 Depth=3
	s_or_b64 exec, exec, s[48:49]
	v_add_u32_e32 v7, 0xffffff81, v7
	v_mov_b32_e32 v24, 0xffffff82
	v_cndmask_b32_e32 v7, v7, v24, vcc
	v_lshrrev_b32_e32 v24, 23, v22
	v_add3_u32 v25, v25, v7, v24
	v_add_u32_e32 v24, 14, v25
	v_and_b32_e32 v7, 0x1fffff, v23
	v_add_u32_e32 v22, v7, v22
	v_mov_b32_e32 v23, v34
	v_cmp_ne_u32_e32 vcc, 0, v24
                                        ; implicit-def: $vgpr7
	s_and_saveexec_b64 s[28:29], vcc
	s_xor_b64 s[28:29], exec, s[28:29]
; %bb.7833:                             ;   in Loop: Header=BB6_7611 Depth=3
	v_cmp_lt_u64_e32 vcc, s[88:89], v[22:23]
	v_add_u32_e32 v7, 15, v25
	v_cndmask_b32_e32 v7, v24, v7, vcc
	v_cndmask_b32_e64 v24, 0, 1, vcc
	v_lshrrev_b64 v[22:23], v24, v[22:23]
; %bb.7834:                             ;   in Loop: Header=BB6_7611 Depth=3
	s_andn2_saveexec_b64 s[28:29], s[28:29]
; %bb.7835:                             ;   in Loop: Header=BB6_7611 Depth=3
	v_bfe_u32 v7, v22, 23, 1
; %bb.7836:                             ;   in Loop: Header=BB6_7611 Depth=3
	s_or_b64 exec, exec, s[28:29]
	v_lshrrev_b64 v[22:23], 21, v[22:23]
	v_cmp_gt_i32_e32 vcc, 32, v7
	v_cndmask_b32_e32 v23, 0, v23, vcc
	v_cndmask_b32_e32 v22, 3, v22, vcc
	v_cmp_ne_u64_e32 vcc, 0, v[22:23]
	v_cmp_ne_u32_e64 s[28:29], 0, v7
	s_or_b64 s[28:29], s[28:29], vcc
                                        ; implicit-def: $vgpr24
	s_and_saveexec_b64 vcc, s[28:29]
	s_xor_b64 s[28:29], exec, vcc
; %bb.7837:                             ;   in Loop: Header=BB6_7611 Depth=3
	v_min_i32_e32 v7, 31, v7
	v_lshl_or_b32 v5, v7, 2, v5
	v_and_or_b32 v24, v22, 3, v5
                                        ; implicit-def: $vgpr5
; %bb.7838:                             ;   in Loop: Header=BB6_7611 Depth=3
	s_andn2_saveexec_b64 s[28:29], s[28:29]
; %bb.7839:                             ;   in Loop: Header=BB6_7611 Depth=3
	v_mov_b32_e32 v24, v5
; %bb.7840:                             ;   in Loop: Header=BB6_7611 Depth=3
	s_or_b64 exec, exec, s[28:29]
.LBB6_7841:                             ;   in Loop: Header=BB6_7611 Depth=3
	s_or_b64 exec, exec, s[38:39]
                                        ; implicit-def: $vgpr5
.LBB6_7842:                             ;   in Loop: Header=BB6_7611 Depth=3
	s_andn2_saveexec_b64 s[28:29], s[36:37]
; %bb.7843:                             ;   in Loop: Header=BB6_7611 Depth=3
	v_or_b32_e32 v24, 0x7b, v5
; %bb.7844:                             ;   in Loop: Header=BB6_7611 Depth=3
	s_or_b64 exec, exec, s[28:29]
                                        ; implicit-def: $vgpr7
                                        ; implicit-def: $vgpr22_vgpr23
.LBB6_7845:                             ;   in Loop: Header=BB6_7611 Depth=3
	s_andn2_saveexec_b64 s[28:29], s[34:35]
	s_cbranch_execz .LBB6_7851
; %bb.7846:                             ;   in Loop: Header=BB6_7611 Depth=3
	v_cmp_ne_u64_e32 vcc, 0, v[22:23]
                                        ; implicit-def: $vgpr24
	s_and_saveexec_b64 s[34:35], vcc
	s_xor_b64 vcc, exec, s[34:35]
; %bb.7847:                             ;   in Loop: Header=BB6_7611 Depth=3
	v_or_b32_sdwa v24, v7, s83 dst_sel:DWORD dst_unused:UNUSED_PAD src0_sel:BYTE_3 src1_sel:DWORD
                                        ; implicit-def: $vgpr7
; %bb.7848:                             ;   in Loop: Header=BB6_7611 Depth=3
	s_andn2_saveexec_b64 s[34:35], vcc
; %bb.7849:                             ;   in Loop: Header=BB6_7611 Depth=3
	v_cmp_lt_i32_e32 vcc, -1, v7
	v_mov_b32_e32 v5, 0x7c
	v_cndmask_b32_e32 v24, -4, v5, vcc
; %bb.7850:                             ;   in Loop: Header=BB6_7611 Depth=3
	s_or_b64 exec, exec, s[34:35]
.LBB6_7851:                             ;   in Loop: Header=BB6_7611 Depth=3
	s_or_b64 exec, exec, s[28:29]
	v_cmp_ne_u16_e32 vcc, 0, v21
	v_mov_b32_e32 v5, 0
	v_mov_b32_e32 v7, 0
	s_and_saveexec_b64 s[28:29], vcc
	s_cbranch_execz .LBB6_7859
; %bb.7852:                             ;   in Loop: Header=BB6_7611 Depth=3
	v_cmp_ne_u16_e32 vcc, s80, v21
	v_bfrev_b32_e32 v7, 1
	s_and_saveexec_b64 s[34:35], vcc
	s_cbranch_execz .LBB6_7858
; %bb.7853:                             ;   in Loop: Header=BB6_7611 Depth=3
	v_and_b32_e32 v7, 0x7c, v21
	v_and_b32_e32 v23, 3, v21
	v_cmp_ne_u32_e32 vcc, s81, v7
                                        ; implicit-def: $vgpr7
	s_and_saveexec_b64 s[36:37], vcc
	s_xor_b64 s[36:37], exec, s[36:37]
	s_cbranch_execz .LBB6_7855
; %bb.7854:                             ;   in Loop: Header=BB6_7611 Depth=3
	v_ffbh_u32_e32 v25, v23
	v_min_u32_e32 v25, 32, v25
	v_and_b32_e32 v7, 0xff, v21
	v_mov_b32_e32 v22, v34
	v_subrev_u32_e32 v28, 29, v25
	v_bfe_u32 v7, v7, 2, 5
	v_lshlrev_b64 v[30:31], v28, v[21:22]
	v_sub_u32_e32 v22, 30, v25
	v_cmp_eq_u32_e32 vcc, 0, v7
	v_and_b32_e32 v25, 3, v30
	v_cndmask_b32_e32 v7, v7, v22, vcc
	v_and_b32_sdwa v21, sext(v21), s82 dst_sel:DWORD dst_unused:UNUSED_PAD src0_sel:WORD_0 src1_sel:DWORD
	v_cndmask_b32_e32 v22, v23, v25, vcc
	v_lshl_add_u32 v7, v7, 23, v21
	v_lshl_or_b32 v7, v22, 21, v7
	v_add_u32_e32 v7, 0x38000000, v7
                                        ; implicit-def: $vgpr23
                                        ; implicit-def: $vgpr21
.LBB6_7855:                             ;   in Loop: Header=BB6_7611 Depth=3
	s_andn2_saveexec_b64 s[36:37], s[36:37]
; %bb.7856:                             ;   in Loop: Header=BB6_7611 Depth=3
	v_cmp_lt_i16_e32 vcc, -1, v21
	v_mov_b32_e32 v7, 0xff800000
	v_mov_b32_e32 v21, 0x7f800000
	v_cndmask_b32_e32 v7, v7, v21, vcc
	v_cmp_eq_u32_e32 vcc, 0, v23
	v_mov_b32_e32 v21, 0x7f800001
	v_cndmask_b32_e32 v7, v21, v7, vcc
; %bb.7857:                             ;   in Loop: Header=BB6_7611 Depth=3
	s_or_b64 exec, exec, s[36:37]
.LBB6_7858:                             ;   in Loop: Header=BB6_7611 Depth=3
	s_or_b64 exec, exec, s[34:35]
.LBB6_7859:                             ;   in Loop: Header=BB6_7611 Depth=3
	s_or_b64 exec, exec, s[28:29]
	v_cmp_ne_u16_e32 vcc, 0, v20
	s_and_saveexec_b64 s[28:29], vcc
	s_cbranch_execz .LBB6_7867
; %bb.7860:                             ;   in Loop: Header=BB6_7611 Depth=3
	v_cmp_ne_u16_e32 vcc, s80, v20
	v_bfrev_b32_e32 v5, 1
	s_and_saveexec_b64 s[34:35], vcc
	s_cbranch_execz .LBB6_7866
; %bb.7861:                             ;   in Loop: Header=BB6_7611 Depth=3
	v_and_b32_e32 v5, 0x7c, v20
	v_and_b32_e32 v22, 3, v20
	v_cmp_ne_u32_e32 vcc, s81, v5
                                        ; implicit-def: $vgpr5
	s_and_saveexec_b64 s[36:37], vcc
	s_xor_b64 s[36:37], exec, s[36:37]
	s_cbranch_execz .LBB6_7863
; %bb.7862:                             ;   in Loop: Header=BB6_7611 Depth=3
	v_ffbh_u32_e32 v23, v22
	v_min_u32_e32 v23, 32, v23
	v_and_b32_e32 v5, 0xff, v20
	v_mov_b32_e32 v21, v34
	v_subrev_u32_e32 v25, 29, v23
	v_bfe_u32 v5, v5, 2, 5
	v_lshlrev_b64 v[30:31], v25, v[20:21]
	v_sub_u32_e32 v21, 30, v23
	v_cmp_eq_u32_e32 vcc, 0, v5
	v_and_b32_e32 v23, 3, v30
	v_cndmask_b32_e32 v5, v5, v21, vcc
	v_and_b32_sdwa v20, sext(v20), s82 dst_sel:DWORD dst_unused:UNUSED_PAD src0_sel:WORD_0 src1_sel:DWORD
	v_cndmask_b32_e32 v21, v22, v23, vcc
	v_lshl_add_u32 v5, v5, 23, v20
	v_lshl_or_b32 v5, v21, 21, v5
	v_add_u32_e32 v5, 0x38000000, v5
                                        ; implicit-def: $vgpr22
                                        ; implicit-def: $vgpr20
.LBB6_7863:                             ;   in Loop: Header=BB6_7611 Depth=3
	s_andn2_saveexec_b64 s[36:37], s[36:37]
; %bb.7864:                             ;   in Loop: Header=BB6_7611 Depth=3
	v_cmp_lt_i16_e32 vcc, -1, v20
	v_mov_b32_e32 v5, 0xff800000
	v_mov_b32_e32 v20, 0x7f800000
	v_cndmask_b32_e32 v5, v5, v20, vcc
	v_cmp_eq_u32_e32 vcc, 0, v22
	v_mov_b32_e32 v20, 0x7f800001
	v_cndmask_b32_e32 v5, v20, v5, vcc
; %bb.7865:                             ;   in Loop: Header=BB6_7611 Depth=3
	s_or_b64 exec, exec, s[36:37]
.LBB6_7866:                             ;   in Loop: Header=BB6_7611 Depth=3
	s_or_b64 exec, exec, s[34:35]
.LBB6_7867:                             ;   in Loop: Header=BB6_7611 Depth=3
	s_or_b64 exec, exec, s[28:29]
	v_mul_f32_e32 v7, v7, v5
	v_and_b32_e32 v21, 0x7f800000, v7
	v_mov_b32_e32 v22, v34
	v_cmp_ne_u64_e32 vcc, s[76:77], v[21:22]
	v_and_b32_e32 v20, 0x7fffff, v7
	v_mov_b32_e32 v21, v34
                                        ; implicit-def: $vgpr22
	s_and_saveexec_b64 s[28:29], vcc
	s_xor_b64 s[34:35], exec, s[28:29]
	s_cbranch_execz .LBB6_7885
; %bb.7868:                             ;   in Loop: Header=BB6_7611 Depth=3
	v_and_b32_e32 v22, 0x7fffffff, v7
	v_mov_b32_e32 v23, v34
	v_cmp_gt_u64_e32 vcc, s[78:79], v[22:23]
	v_and_b32_sdwa v5, v7, s44 dst_sel:DWORD dst_unused:UNUSED_PAD src0_sel:BYTE_3 src1_sel:DWORD
                                        ; implicit-def: $vgpr22
	s_and_saveexec_b64 s[28:29], vcc
	s_xor_b64 s[36:37], exec, s[28:29]
	s_cbranch_execz .LBB6_7882
; %bb.7869:                             ;   in Loop: Header=BB6_7611 Depth=3
	v_cmp_ne_u32_e32 vcc, 0, v7
	v_mov_b32_e32 v22, 0
	s_and_saveexec_b64 s[38:39], vcc
	s_cbranch_execz .LBB6_7881
; %bb.7870:                             ;   in Loop: Header=BB6_7611 Depth=3
	v_bfe_u32 v7, v7, 23, 8
	v_cmp_gt_u32_e64 s[28:29], s45, v7
	v_sub_u32_e32 v22, 0x71, v7
	v_cmp_eq_u32_e32 vcc, 0, v7
	v_cndmask_b32_e64 v22, 0, v22, s[28:29]
	v_mov_b32_e32 v23, 0x70
	v_cndmask_b32_e32 v23, v22, v23, vcc
	v_add_u32_e32 v22, 21, v23
	v_or_b32_e32 v25, 0x800000, v20
	v_lshlrev_b64 v[30:31], v22, -1
	v_cndmask_b32_e32 v20, v25, v20, vcc
	v_add_u32_e32 v22, 20, v23
	v_bfi_b32 v30, v30, 0, v20
	v_lshlrev_b64 v[35:36], v22, 1
	v_lshrrev_b64 v[20:21], v23, v[20:21]
	v_bfi_b32 v31, v31, 0, 0
	v_cmp_eq_u64_e64 s[28:29], v[30:31], v[35:36]
	v_mov_b32_e32 v22, v21
	v_mov_b32_e32 v21, v20
	s_and_saveexec_b64 s[48:49], s[28:29]
; %bb.7871:                             ;   in Loop: Header=BB6_7611 Depth=3
	v_bfe_u32 v21, v20, 21, 1
	v_add_co_u32_e64 v21, s[28:29], v20, v21
	v_add_co_u32_e64 v21, s[28:29], -1, v21
; %bb.7872:                             ;   in Loop: Header=BB6_7611 Depth=3
	s_or_b64 exec, exec, s[48:49]
	v_add_u32_e32 v7, 0xffffff81, v7
	v_mov_b32_e32 v22, 0xffffff82
	v_cndmask_b32_e32 v7, v7, v22, vcc
	v_lshrrev_b32_e32 v22, 23, v20
	v_add3_u32 v23, v23, v7, v22
	v_add_u32_e32 v22, 14, v23
	v_and_b32_e32 v7, 0x1fffff, v21
	v_add_u32_e32 v20, v7, v20
	v_mov_b32_e32 v21, v34
	v_cmp_ne_u32_e32 vcc, 0, v22
                                        ; implicit-def: $vgpr7
	s_and_saveexec_b64 s[28:29], vcc
	s_xor_b64 s[28:29], exec, s[28:29]
; %bb.7873:                             ;   in Loop: Header=BB6_7611 Depth=3
	v_cmp_lt_u64_e32 vcc, s[88:89], v[20:21]
	v_add_u32_e32 v7, 15, v23
	v_cndmask_b32_e32 v7, v22, v7, vcc
	v_cndmask_b32_e64 v22, 0, 1, vcc
	v_lshrrev_b64 v[20:21], v22, v[20:21]
; %bb.7874:                             ;   in Loop: Header=BB6_7611 Depth=3
	s_andn2_saveexec_b64 s[28:29], s[28:29]
; %bb.7875:                             ;   in Loop: Header=BB6_7611 Depth=3
	v_bfe_u32 v7, v20, 23, 1
; %bb.7876:                             ;   in Loop: Header=BB6_7611 Depth=3
	s_or_b64 exec, exec, s[28:29]
	v_lshrrev_b64 v[20:21], 21, v[20:21]
	v_cmp_gt_i32_e32 vcc, 32, v7
	v_cndmask_b32_e32 v21, 0, v21, vcc
	v_cndmask_b32_e32 v20, 3, v20, vcc
	v_cmp_ne_u64_e32 vcc, 0, v[20:21]
	v_cmp_ne_u32_e64 s[28:29], 0, v7
	s_or_b64 s[28:29], s[28:29], vcc
                                        ; implicit-def: $vgpr22
	s_and_saveexec_b64 vcc, s[28:29]
	s_xor_b64 s[28:29], exec, vcc
; %bb.7877:                             ;   in Loop: Header=BB6_7611 Depth=3
	v_min_i32_e32 v7, 31, v7
	v_lshl_or_b32 v5, v7, 2, v5
	v_and_or_b32 v22, v20, 3, v5
                                        ; implicit-def: $vgpr5
; %bb.7878:                             ;   in Loop: Header=BB6_7611 Depth=3
	s_andn2_saveexec_b64 s[28:29], s[28:29]
; %bb.7879:                             ;   in Loop: Header=BB6_7611 Depth=3
	v_mov_b32_e32 v22, v5
; %bb.7880:                             ;   in Loop: Header=BB6_7611 Depth=3
	s_or_b64 exec, exec, s[28:29]
.LBB6_7881:                             ;   in Loop: Header=BB6_7611 Depth=3
	s_or_b64 exec, exec, s[38:39]
                                        ; implicit-def: $vgpr5
.LBB6_7882:                             ;   in Loop: Header=BB6_7611 Depth=3
	s_andn2_saveexec_b64 s[28:29], s[36:37]
; %bb.7883:                             ;   in Loop: Header=BB6_7611 Depth=3
	v_or_b32_e32 v22, 0x7b, v5
; %bb.7884:                             ;   in Loop: Header=BB6_7611 Depth=3
	s_or_b64 exec, exec, s[28:29]
                                        ; implicit-def: $vgpr7
                                        ; implicit-def: $vgpr20_vgpr21
.LBB6_7885:                             ;   in Loop: Header=BB6_7611 Depth=3
	s_andn2_saveexec_b64 s[28:29], s[34:35]
	s_cbranch_execz .LBB6_7891
; %bb.7886:                             ;   in Loop: Header=BB6_7611 Depth=3
	v_cmp_ne_u64_e32 vcc, 0, v[20:21]
                                        ; implicit-def: $vgpr22
	s_and_saveexec_b64 s[34:35], vcc
	s_xor_b64 vcc, exec, s[34:35]
; %bb.7887:                             ;   in Loop: Header=BB6_7611 Depth=3
	v_or_b32_sdwa v22, v7, s83 dst_sel:DWORD dst_unused:UNUSED_PAD src0_sel:BYTE_3 src1_sel:DWORD
                                        ; implicit-def: $vgpr7
; %bb.7888:                             ;   in Loop: Header=BB6_7611 Depth=3
	s_andn2_saveexec_b64 s[34:35], vcc
; %bb.7889:                             ;   in Loop: Header=BB6_7611 Depth=3
	v_cmp_lt_i32_e32 vcc, -1, v7
	v_mov_b32_e32 v5, 0x7c
	v_cndmask_b32_e32 v22, -4, v5, vcc
; %bb.7890:                             ;   in Loop: Header=BB6_7611 Depth=3
	s_or_b64 exec, exec, s[34:35]
.LBB6_7891:                             ;   in Loop: Header=BB6_7611 Depth=3
	s_or_b64 exec, exec, s[28:29]
	v_cmp_ne_u16_e32 vcc, 0, v19
	v_mov_b32_e32 v5, 0
	v_mov_b32_e32 v7, 0
	s_and_saveexec_b64 s[28:29], vcc
	s_cbranch_execz .LBB6_7899
; %bb.7892:                             ;   in Loop: Header=BB6_7611 Depth=3
	v_cmp_ne_u16_e32 vcc, s80, v19
	v_bfrev_b32_e32 v7, 1
	s_and_saveexec_b64 s[34:35], vcc
	s_cbranch_execz .LBB6_7898
; %bb.7893:                             ;   in Loop: Header=BB6_7611 Depth=3
	v_and_b32_e32 v7, 0x7c, v19
	v_and_b32_e32 v21, 3, v19
	v_cmp_ne_u32_e32 vcc, s81, v7
                                        ; implicit-def: $vgpr7
	s_and_saveexec_b64 s[36:37], vcc
	s_xor_b64 s[36:37], exec, s[36:37]
	s_cbranch_execz .LBB6_7895
; %bb.7894:                             ;   in Loop: Header=BB6_7611 Depth=3
	v_ffbh_u32_e32 v23, v21
	v_min_u32_e32 v23, 32, v23
	v_and_b32_e32 v7, 0xff, v19
	v_mov_b32_e32 v20, v34
	v_subrev_u32_e32 v25, 29, v23
	v_bfe_u32 v7, v7, 2, 5
	v_lshlrev_b64 v[30:31], v25, v[19:20]
	v_sub_u32_e32 v20, 30, v23
	v_cmp_eq_u32_e32 vcc, 0, v7
	v_and_b32_e32 v23, 3, v30
	v_cndmask_b32_e32 v7, v7, v20, vcc
	v_and_b32_sdwa v19, sext(v19), s82 dst_sel:DWORD dst_unused:UNUSED_PAD src0_sel:WORD_0 src1_sel:DWORD
	v_cndmask_b32_e32 v20, v21, v23, vcc
	v_lshl_add_u32 v7, v7, 23, v19
	v_lshl_or_b32 v7, v20, 21, v7
	v_add_u32_e32 v7, 0x38000000, v7
                                        ; implicit-def: $vgpr21
                                        ; implicit-def: $vgpr19
.LBB6_7895:                             ;   in Loop: Header=BB6_7611 Depth=3
	s_andn2_saveexec_b64 s[36:37], s[36:37]
; %bb.7896:                             ;   in Loop: Header=BB6_7611 Depth=3
	v_cmp_lt_i16_e32 vcc, -1, v19
	v_mov_b32_e32 v7, 0xff800000
	v_mov_b32_e32 v19, 0x7f800000
	v_cndmask_b32_e32 v7, v7, v19, vcc
	v_cmp_eq_u32_e32 vcc, 0, v21
	v_mov_b32_e32 v19, 0x7f800001
	v_cndmask_b32_e32 v7, v19, v7, vcc
; %bb.7897:                             ;   in Loop: Header=BB6_7611 Depth=3
	s_or_b64 exec, exec, s[36:37]
.LBB6_7898:                             ;   in Loop: Header=BB6_7611 Depth=3
	s_or_b64 exec, exec, s[34:35]
.LBB6_7899:                             ;   in Loop: Header=BB6_7611 Depth=3
	s_or_b64 exec, exec, s[28:29]
	v_cmp_ne_u16_e32 vcc, 0, v18
	s_and_saveexec_b64 s[28:29], vcc
	s_cbranch_execz .LBB6_7907
; %bb.7900:                             ;   in Loop: Header=BB6_7611 Depth=3
	v_cmp_ne_u16_e32 vcc, s80, v18
	v_bfrev_b32_e32 v5, 1
	s_and_saveexec_b64 s[34:35], vcc
	s_cbranch_execz .LBB6_7906
; %bb.7901:                             ;   in Loop: Header=BB6_7611 Depth=3
	v_and_b32_e32 v5, 0x7c, v18
	v_and_b32_e32 v20, 3, v18
	v_cmp_ne_u32_e32 vcc, s81, v5
                                        ; implicit-def: $vgpr5
	s_and_saveexec_b64 s[36:37], vcc
	s_xor_b64 s[36:37], exec, s[36:37]
	s_cbranch_execz .LBB6_7903
; %bb.7902:                             ;   in Loop: Header=BB6_7611 Depth=3
	v_ffbh_u32_e32 v21, v20
	v_min_u32_e32 v21, 32, v21
	v_and_b32_e32 v5, 0xff, v18
	v_mov_b32_e32 v19, v34
	v_subrev_u32_e32 v23, 29, v21
	v_bfe_u32 v5, v5, 2, 5
	v_lshlrev_b64 v[30:31], v23, v[18:19]
	v_sub_u32_e32 v19, 30, v21
	v_cmp_eq_u32_e32 vcc, 0, v5
	v_and_b32_e32 v21, 3, v30
	v_cndmask_b32_e32 v5, v5, v19, vcc
	v_and_b32_sdwa v18, sext(v18), s82 dst_sel:DWORD dst_unused:UNUSED_PAD src0_sel:WORD_0 src1_sel:DWORD
	v_cndmask_b32_e32 v19, v20, v21, vcc
	v_lshl_add_u32 v5, v5, 23, v18
	v_lshl_or_b32 v5, v19, 21, v5
	v_add_u32_e32 v5, 0x38000000, v5
                                        ; implicit-def: $vgpr20
                                        ; implicit-def: $vgpr18
.LBB6_7903:                             ;   in Loop: Header=BB6_7611 Depth=3
	s_andn2_saveexec_b64 s[36:37], s[36:37]
; %bb.7904:                             ;   in Loop: Header=BB6_7611 Depth=3
	v_cmp_lt_i16_e32 vcc, -1, v18
	v_mov_b32_e32 v5, 0xff800000
	v_mov_b32_e32 v18, 0x7f800000
	v_cndmask_b32_e32 v5, v5, v18, vcc
	v_cmp_eq_u32_e32 vcc, 0, v20
	v_mov_b32_e32 v18, 0x7f800001
	v_cndmask_b32_e32 v5, v18, v5, vcc
; %bb.7905:                             ;   in Loop: Header=BB6_7611 Depth=3
	s_or_b64 exec, exec, s[36:37]
.LBB6_7906:                             ;   in Loop: Header=BB6_7611 Depth=3
	s_or_b64 exec, exec, s[34:35]
.LBB6_7907:                             ;   in Loop: Header=BB6_7611 Depth=3
	s_or_b64 exec, exec, s[28:29]
	v_mul_f32_e32 v7, v7, v5
	v_and_b32_e32 v19, 0x7f800000, v7
	v_mov_b32_e32 v20, v34
	v_cmp_ne_u64_e32 vcc, s[76:77], v[19:20]
	v_and_b32_e32 v18, 0x7fffff, v7
	v_mov_b32_e32 v19, v34
                                        ; implicit-def: $vgpr20
	s_and_saveexec_b64 s[28:29], vcc
	s_xor_b64 s[34:35], exec, s[28:29]
	s_cbranch_execz .LBB6_7925
; %bb.7908:                             ;   in Loop: Header=BB6_7611 Depth=3
	v_and_b32_e32 v20, 0x7fffffff, v7
	v_mov_b32_e32 v21, v34
	v_cmp_gt_u64_e32 vcc, s[78:79], v[20:21]
	v_and_b32_sdwa v5, v7, s44 dst_sel:DWORD dst_unused:UNUSED_PAD src0_sel:BYTE_3 src1_sel:DWORD
                                        ; implicit-def: $vgpr20
	s_and_saveexec_b64 s[28:29], vcc
	s_xor_b64 s[36:37], exec, s[28:29]
	s_cbranch_execz .LBB6_7922
; %bb.7909:                             ;   in Loop: Header=BB6_7611 Depth=3
	v_cmp_ne_u32_e32 vcc, 0, v7
	v_mov_b32_e32 v20, 0
	s_and_saveexec_b64 s[38:39], vcc
	s_cbranch_execz .LBB6_7921
; %bb.7910:                             ;   in Loop: Header=BB6_7611 Depth=3
	v_bfe_u32 v7, v7, 23, 8
	v_cmp_gt_u32_e64 s[28:29], s45, v7
	v_sub_u32_e32 v20, 0x71, v7
	v_cmp_eq_u32_e32 vcc, 0, v7
	v_cndmask_b32_e64 v20, 0, v20, s[28:29]
	v_mov_b32_e32 v21, 0x70
	v_cndmask_b32_e32 v21, v20, v21, vcc
	v_add_u32_e32 v20, 21, v21
	v_or_b32_e32 v23, 0x800000, v18
	v_lshlrev_b64 v[30:31], v20, -1
	v_cndmask_b32_e32 v18, v23, v18, vcc
	v_add_u32_e32 v20, 20, v21
	v_bfi_b32 v30, v30, 0, v18
	v_lshlrev_b64 v[35:36], v20, 1
	v_lshrrev_b64 v[18:19], v21, v[18:19]
	v_bfi_b32 v31, v31, 0, 0
	v_cmp_eq_u64_e64 s[28:29], v[30:31], v[35:36]
	v_mov_b32_e32 v20, v19
	v_mov_b32_e32 v19, v18
	s_and_saveexec_b64 s[48:49], s[28:29]
; %bb.7911:                             ;   in Loop: Header=BB6_7611 Depth=3
	v_bfe_u32 v19, v18, 21, 1
	v_add_co_u32_e64 v19, s[28:29], v18, v19
	v_add_co_u32_e64 v19, s[28:29], -1, v19
; %bb.7912:                             ;   in Loop: Header=BB6_7611 Depth=3
	s_or_b64 exec, exec, s[48:49]
	v_add_u32_e32 v7, 0xffffff81, v7
	v_mov_b32_e32 v20, 0xffffff82
	v_cndmask_b32_e32 v7, v7, v20, vcc
	v_lshrrev_b32_e32 v20, 23, v18
	v_add3_u32 v21, v21, v7, v20
	v_add_u32_e32 v20, 14, v21
	v_and_b32_e32 v7, 0x1fffff, v19
	v_add_u32_e32 v18, v7, v18
	v_mov_b32_e32 v19, v34
	v_cmp_ne_u32_e32 vcc, 0, v20
                                        ; implicit-def: $vgpr7
	s_and_saveexec_b64 s[28:29], vcc
	s_xor_b64 s[28:29], exec, s[28:29]
; %bb.7913:                             ;   in Loop: Header=BB6_7611 Depth=3
	v_cmp_lt_u64_e32 vcc, s[88:89], v[18:19]
	v_add_u32_e32 v7, 15, v21
	v_cndmask_b32_e32 v7, v20, v7, vcc
	v_cndmask_b32_e64 v20, 0, 1, vcc
	v_lshrrev_b64 v[18:19], v20, v[18:19]
; %bb.7914:                             ;   in Loop: Header=BB6_7611 Depth=3
	s_andn2_saveexec_b64 s[28:29], s[28:29]
; %bb.7915:                             ;   in Loop: Header=BB6_7611 Depth=3
	v_bfe_u32 v7, v18, 23, 1
; %bb.7916:                             ;   in Loop: Header=BB6_7611 Depth=3
	s_or_b64 exec, exec, s[28:29]
	v_lshrrev_b64 v[18:19], 21, v[18:19]
	v_cmp_gt_i32_e32 vcc, 32, v7
	v_cndmask_b32_e32 v19, 0, v19, vcc
	v_cndmask_b32_e32 v18, 3, v18, vcc
	v_cmp_ne_u64_e32 vcc, 0, v[18:19]
	v_cmp_ne_u32_e64 s[28:29], 0, v7
	s_or_b64 s[28:29], s[28:29], vcc
                                        ; implicit-def: $vgpr20
	s_and_saveexec_b64 vcc, s[28:29]
	s_xor_b64 s[28:29], exec, vcc
; %bb.7917:                             ;   in Loop: Header=BB6_7611 Depth=3
	v_min_i32_e32 v7, 31, v7
	v_lshl_or_b32 v5, v7, 2, v5
	v_and_or_b32 v20, v18, 3, v5
                                        ; implicit-def: $vgpr5
; %bb.7918:                             ;   in Loop: Header=BB6_7611 Depth=3
	s_andn2_saveexec_b64 s[28:29], s[28:29]
; %bb.7919:                             ;   in Loop: Header=BB6_7611 Depth=3
	v_mov_b32_e32 v20, v5
; %bb.7920:                             ;   in Loop: Header=BB6_7611 Depth=3
	s_or_b64 exec, exec, s[28:29]
.LBB6_7921:                             ;   in Loop: Header=BB6_7611 Depth=3
	s_or_b64 exec, exec, s[38:39]
                                        ; implicit-def: $vgpr5
.LBB6_7922:                             ;   in Loop: Header=BB6_7611 Depth=3
	s_andn2_saveexec_b64 s[28:29], s[36:37]
; %bb.7923:                             ;   in Loop: Header=BB6_7611 Depth=3
	v_or_b32_e32 v20, 0x7b, v5
; %bb.7924:                             ;   in Loop: Header=BB6_7611 Depth=3
	s_or_b64 exec, exec, s[28:29]
                                        ; implicit-def: $vgpr7
                                        ; implicit-def: $vgpr18_vgpr19
.LBB6_7925:                             ;   in Loop: Header=BB6_7611 Depth=3
	s_andn2_saveexec_b64 s[28:29], s[34:35]
	s_cbranch_execz .LBB6_7931
; %bb.7926:                             ;   in Loop: Header=BB6_7611 Depth=3
	v_cmp_ne_u64_e32 vcc, 0, v[18:19]
                                        ; implicit-def: $vgpr20
	s_and_saveexec_b64 s[34:35], vcc
	s_xor_b64 vcc, exec, s[34:35]
; %bb.7927:                             ;   in Loop: Header=BB6_7611 Depth=3
	v_or_b32_sdwa v20, v7, s83 dst_sel:DWORD dst_unused:UNUSED_PAD src0_sel:BYTE_3 src1_sel:DWORD
                                        ; implicit-def: $vgpr7
; %bb.7928:                             ;   in Loop: Header=BB6_7611 Depth=3
	s_andn2_saveexec_b64 s[34:35], vcc
; %bb.7929:                             ;   in Loop: Header=BB6_7611 Depth=3
	v_cmp_lt_i32_e32 vcc, -1, v7
	v_mov_b32_e32 v5, 0x7c
	v_cndmask_b32_e32 v20, -4, v5, vcc
; %bb.7930:                             ;   in Loop: Header=BB6_7611 Depth=3
	s_or_b64 exec, exec, s[34:35]
.LBB6_7931:                             ;   in Loop: Header=BB6_7611 Depth=3
	s_or_b64 exec, exec, s[28:29]
	v_cmp_ne_u16_e32 vcc, 0, v17
	v_mov_b32_e32 v5, 0
	v_mov_b32_e32 v7, 0
	s_and_saveexec_b64 s[28:29], vcc
	s_cbranch_execz .LBB6_7939
; %bb.7932:                             ;   in Loop: Header=BB6_7611 Depth=3
	v_cmp_ne_u16_e32 vcc, s80, v17
	v_bfrev_b32_e32 v7, 1
	s_and_saveexec_b64 s[34:35], vcc
	s_cbranch_execz .LBB6_7938
; %bb.7933:                             ;   in Loop: Header=BB6_7611 Depth=3
	v_and_b32_e32 v7, 0x7c, v17
	v_and_b32_e32 v19, 3, v17
	v_cmp_ne_u32_e32 vcc, s81, v7
                                        ; implicit-def: $vgpr7
	s_and_saveexec_b64 s[36:37], vcc
	s_xor_b64 s[36:37], exec, s[36:37]
	s_cbranch_execz .LBB6_7935
; %bb.7934:                             ;   in Loop: Header=BB6_7611 Depth=3
	v_ffbh_u32_e32 v21, v19
	v_min_u32_e32 v21, 32, v21
	v_and_b32_e32 v7, 0xff, v17
	v_mov_b32_e32 v18, v34
	v_subrev_u32_e32 v23, 29, v21
	v_bfe_u32 v7, v7, 2, 5
	v_lshlrev_b64 v[30:31], v23, v[17:18]
	v_sub_u32_e32 v18, 30, v21
	v_cmp_eq_u32_e32 vcc, 0, v7
	v_and_b32_e32 v21, 3, v30
	v_cndmask_b32_e32 v7, v7, v18, vcc
	v_and_b32_sdwa v17, sext(v17), s82 dst_sel:DWORD dst_unused:UNUSED_PAD src0_sel:WORD_0 src1_sel:DWORD
	v_cndmask_b32_e32 v18, v19, v21, vcc
	v_lshl_add_u32 v7, v7, 23, v17
	v_lshl_or_b32 v7, v18, 21, v7
	v_add_u32_e32 v7, 0x38000000, v7
                                        ; implicit-def: $vgpr19
                                        ; implicit-def: $vgpr17
.LBB6_7935:                             ;   in Loop: Header=BB6_7611 Depth=3
	s_andn2_saveexec_b64 s[36:37], s[36:37]
; %bb.7936:                             ;   in Loop: Header=BB6_7611 Depth=3
	v_cmp_lt_i16_e32 vcc, -1, v17
	v_mov_b32_e32 v7, 0xff800000
	v_mov_b32_e32 v17, 0x7f800000
	v_cndmask_b32_e32 v7, v7, v17, vcc
	v_cmp_eq_u32_e32 vcc, 0, v19
	v_mov_b32_e32 v17, 0x7f800001
	v_cndmask_b32_e32 v7, v17, v7, vcc
; %bb.7937:                             ;   in Loop: Header=BB6_7611 Depth=3
	s_or_b64 exec, exec, s[36:37]
.LBB6_7938:                             ;   in Loop: Header=BB6_7611 Depth=3
	s_or_b64 exec, exec, s[34:35]
.LBB6_7939:                             ;   in Loop: Header=BB6_7611 Depth=3
	s_or_b64 exec, exec, s[28:29]
	v_cmp_ne_u16_e32 vcc, 0, v16
	s_and_saveexec_b64 s[28:29], vcc
	s_cbranch_execz .LBB6_7947
; %bb.7940:                             ;   in Loop: Header=BB6_7611 Depth=3
	v_cmp_ne_u16_e32 vcc, s80, v16
	v_bfrev_b32_e32 v5, 1
	s_and_saveexec_b64 s[34:35], vcc
	s_cbranch_execz .LBB6_7946
; %bb.7941:                             ;   in Loop: Header=BB6_7611 Depth=3
	v_and_b32_e32 v5, 0x7c, v16
	v_and_b32_e32 v18, 3, v16
	v_cmp_ne_u32_e32 vcc, s81, v5
                                        ; implicit-def: $vgpr5
	s_and_saveexec_b64 s[36:37], vcc
	s_xor_b64 s[36:37], exec, s[36:37]
	s_cbranch_execz .LBB6_7943
; %bb.7942:                             ;   in Loop: Header=BB6_7611 Depth=3
	v_ffbh_u32_e32 v19, v18
	v_min_u32_e32 v19, 32, v19
	v_and_b32_e32 v5, 0xff, v16
	v_mov_b32_e32 v17, v34
	v_subrev_u32_e32 v21, 29, v19
	v_bfe_u32 v5, v5, 2, 5
	v_lshlrev_b64 v[30:31], v21, v[16:17]
	v_sub_u32_e32 v17, 30, v19
	v_cmp_eq_u32_e32 vcc, 0, v5
	v_and_b32_e32 v19, 3, v30
	v_cndmask_b32_e32 v5, v5, v17, vcc
	v_and_b32_sdwa v16, sext(v16), s82 dst_sel:DWORD dst_unused:UNUSED_PAD src0_sel:WORD_0 src1_sel:DWORD
	v_cndmask_b32_e32 v17, v18, v19, vcc
	v_lshl_add_u32 v5, v5, 23, v16
	v_lshl_or_b32 v5, v17, 21, v5
	v_add_u32_e32 v5, 0x38000000, v5
                                        ; implicit-def: $vgpr18
                                        ; implicit-def: $vgpr16
.LBB6_7943:                             ;   in Loop: Header=BB6_7611 Depth=3
	s_andn2_saveexec_b64 s[36:37], s[36:37]
; %bb.7944:                             ;   in Loop: Header=BB6_7611 Depth=3
	v_cmp_lt_i16_e32 vcc, -1, v16
	v_mov_b32_e32 v5, 0xff800000
	v_mov_b32_e32 v16, 0x7f800000
	v_cndmask_b32_e32 v5, v5, v16, vcc
	v_cmp_eq_u32_e32 vcc, 0, v18
	v_mov_b32_e32 v16, 0x7f800001
	v_cndmask_b32_e32 v5, v16, v5, vcc
; %bb.7945:                             ;   in Loop: Header=BB6_7611 Depth=3
	s_or_b64 exec, exec, s[36:37]
.LBB6_7946:                             ;   in Loop: Header=BB6_7611 Depth=3
	s_or_b64 exec, exec, s[34:35]
.LBB6_7947:                             ;   in Loop: Header=BB6_7611 Depth=3
	s_or_b64 exec, exec, s[28:29]
	v_mul_f32_e32 v7, v7, v5
	v_and_b32_e32 v17, 0x7f800000, v7
	v_mov_b32_e32 v18, v34
	v_cmp_ne_u64_e32 vcc, s[76:77], v[17:18]
	v_and_b32_e32 v16, 0x7fffff, v7
	v_mov_b32_e32 v17, v34
                                        ; implicit-def: $vgpr18
	s_and_saveexec_b64 s[28:29], vcc
	s_xor_b64 s[34:35], exec, s[28:29]
	s_cbranch_execz .LBB6_7965
; %bb.7948:                             ;   in Loop: Header=BB6_7611 Depth=3
	v_and_b32_e32 v18, 0x7fffffff, v7
	v_mov_b32_e32 v19, v34
	v_cmp_gt_u64_e32 vcc, s[78:79], v[18:19]
	v_and_b32_sdwa v5, v7, s44 dst_sel:DWORD dst_unused:UNUSED_PAD src0_sel:BYTE_3 src1_sel:DWORD
                                        ; implicit-def: $vgpr18
	s_and_saveexec_b64 s[28:29], vcc
	s_xor_b64 s[36:37], exec, s[28:29]
	s_cbranch_execz .LBB6_7962
; %bb.7949:                             ;   in Loop: Header=BB6_7611 Depth=3
	v_cmp_ne_u32_e32 vcc, 0, v7
	v_mov_b32_e32 v18, 0
	s_and_saveexec_b64 s[38:39], vcc
	s_cbranch_execz .LBB6_7961
; %bb.7950:                             ;   in Loop: Header=BB6_7611 Depth=3
	v_bfe_u32 v7, v7, 23, 8
	v_cmp_gt_u32_e64 s[28:29], s45, v7
	v_sub_u32_e32 v18, 0x71, v7
	v_cmp_eq_u32_e32 vcc, 0, v7
	v_cndmask_b32_e64 v18, 0, v18, s[28:29]
	v_mov_b32_e32 v19, 0x70
	v_cndmask_b32_e32 v19, v18, v19, vcc
	v_add_u32_e32 v18, 21, v19
	v_or_b32_e32 v21, 0x800000, v16
	v_lshlrev_b64 v[30:31], v18, -1
	v_cndmask_b32_e32 v16, v21, v16, vcc
	v_add_u32_e32 v18, 20, v19
	v_bfi_b32 v30, v30, 0, v16
	v_lshlrev_b64 v[35:36], v18, 1
	v_lshrrev_b64 v[16:17], v19, v[16:17]
	v_bfi_b32 v31, v31, 0, 0
	v_cmp_eq_u64_e64 s[28:29], v[30:31], v[35:36]
	v_mov_b32_e32 v18, v17
	v_mov_b32_e32 v17, v16
	s_and_saveexec_b64 s[48:49], s[28:29]
; %bb.7951:                             ;   in Loop: Header=BB6_7611 Depth=3
	v_bfe_u32 v17, v16, 21, 1
	v_add_co_u32_e64 v17, s[28:29], v16, v17
	v_add_co_u32_e64 v17, s[28:29], -1, v17
; %bb.7952:                             ;   in Loop: Header=BB6_7611 Depth=3
	s_or_b64 exec, exec, s[48:49]
	v_add_u32_e32 v7, 0xffffff81, v7
	v_mov_b32_e32 v18, 0xffffff82
	v_cndmask_b32_e32 v7, v7, v18, vcc
	v_lshrrev_b32_e32 v18, 23, v16
	v_add3_u32 v19, v19, v7, v18
	v_add_u32_e32 v18, 14, v19
	v_and_b32_e32 v7, 0x1fffff, v17
	v_add_u32_e32 v16, v7, v16
	v_mov_b32_e32 v17, v34
	v_cmp_ne_u32_e32 vcc, 0, v18
                                        ; implicit-def: $vgpr7
	s_and_saveexec_b64 s[28:29], vcc
	s_xor_b64 s[28:29], exec, s[28:29]
; %bb.7953:                             ;   in Loop: Header=BB6_7611 Depth=3
	v_cmp_lt_u64_e32 vcc, s[88:89], v[16:17]
	v_add_u32_e32 v7, 15, v19
	v_cndmask_b32_e32 v7, v18, v7, vcc
	v_cndmask_b32_e64 v18, 0, 1, vcc
	v_lshrrev_b64 v[16:17], v18, v[16:17]
; %bb.7954:                             ;   in Loop: Header=BB6_7611 Depth=3
	s_andn2_saveexec_b64 s[28:29], s[28:29]
; %bb.7955:                             ;   in Loop: Header=BB6_7611 Depth=3
	v_bfe_u32 v7, v16, 23, 1
; %bb.7956:                             ;   in Loop: Header=BB6_7611 Depth=3
	s_or_b64 exec, exec, s[28:29]
	v_lshrrev_b64 v[16:17], 21, v[16:17]
	v_cmp_gt_i32_e32 vcc, 32, v7
	v_cndmask_b32_e32 v17, 0, v17, vcc
	v_cndmask_b32_e32 v16, 3, v16, vcc
	v_cmp_ne_u64_e32 vcc, 0, v[16:17]
	v_cmp_ne_u32_e64 s[28:29], 0, v7
	s_or_b64 s[28:29], s[28:29], vcc
                                        ; implicit-def: $vgpr18
	s_and_saveexec_b64 vcc, s[28:29]
	s_xor_b64 s[28:29], exec, vcc
; %bb.7957:                             ;   in Loop: Header=BB6_7611 Depth=3
	v_min_i32_e32 v7, 31, v7
	v_lshl_or_b32 v5, v7, 2, v5
	v_and_or_b32 v18, v16, 3, v5
                                        ; implicit-def: $vgpr5
; %bb.7958:                             ;   in Loop: Header=BB6_7611 Depth=3
	s_andn2_saveexec_b64 s[28:29], s[28:29]
; %bb.7959:                             ;   in Loop: Header=BB6_7611 Depth=3
	v_mov_b32_e32 v18, v5
; %bb.7960:                             ;   in Loop: Header=BB6_7611 Depth=3
	s_or_b64 exec, exec, s[28:29]
.LBB6_7961:                             ;   in Loop: Header=BB6_7611 Depth=3
	s_or_b64 exec, exec, s[38:39]
                                        ; implicit-def: $vgpr5
.LBB6_7962:                             ;   in Loop: Header=BB6_7611 Depth=3
	s_andn2_saveexec_b64 s[28:29], s[36:37]
; %bb.7963:                             ;   in Loop: Header=BB6_7611 Depth=3
	v_or_b32_e32 v18, 0x7b, v5
; %bb.7964:                             ;   in Loop: Header=BB6_7611 Depth=3
	s_or_b64 exec, exec, s[28:29]
                                        ; implicit-def: $vgpr7
                                        ; implicit-def: $vgpr16_vgpr17
.LBB6_7965:                             ;   in Loop: Header=BB6_7611 Depth=3
	s_andn2_saveexec_b64 s[28:29], s[34:35]
	s_cbranch_execz .LBB6_7971
; %bb.7966:                             ;   in Loop: Header=BB6_7611 Depth=3
	v_cmp_ne_u64_e32 vcc, 0, v[16:17]
                                        ; implicit-def: $vgpr18
	s_and_saveexec_b64 s[34:35], vcc
	s_xor_b64 vcc, exec, s[34:35]
; %bb.7967:                             ;   in Loop: Header=BB6_7611 Depth=3
	v_or_b32_sdwa v18, v7, s83 dst_sel:DWORD dst_unused:UNUSED_PAD src0_sel:BYTE_3 src1_sel:DWORD
                                        ; implicit-def: $vgpr7
; %bb.7968:                             ;   in Loop: Header=BB6_7611 Depth=3
	s_andn2_saveexec_b64 s[34:35], vcc
; %bb.7969:                             ;   in Loop: Header=BB6_7611 Depth=3
	v_cmp_lt_i32_e32 vcc, -1, v7
	v_mov_b32_e32 v5, 0x7c
	v_cndmask_b32_e32 v18, -4, v5, vcc
; %bb.7970:                             ;   in Loop: Header=BB6_7611 Depth=3
	s_or_b64 exec, exec, s[34:35]
.LBB6_7971:                             ;   in Loop: Header=BB6_7611 Depth=3
	s_or_b64 exec, exec, s[28:29]
	v_cmp_ne_u16_e32 vcc, 0, v15
	v_mov_b32_e32 v5, 0
	v_mov_b32_e32 v7, 0
	s_and_saveexec_b64 s[28:29], vcc
	s_cbranch_execz .LBB6_7979
; %bb.7972:                             ;   in Loop: Header=BB6_7611 Depth=3
	v_cmp_ne_u16_e32 vcc, s80, v15
	v_bfrev_b32_e32 v7, 1
	s_and_saveexec_b64 s[34:35], vcc
	s_cbranch_execz .LBB6_7978
; %bb.7973:                             ;   in Loop: Header=BB6_7611 Depth=3
	v_and_b32_e32 v7, 0x7c, v15
	v_and_b32_e32 v17, 3, v15
	v_cmp_ne_u32_e32 vcc, s81, v7
                                        ; implicit-def: $vgpr7
	s_and_saveexec_b64 s[36:37], vcc
	s_xor_b64 s[36:37], exec, s[36:37]
	s_cbranch_execz .LBB6_7975
; %bb.7974:                             ;   in Loop: Header=BB6_7611 Depth=3
	v_ffbh_u32_e32 v19, v17
	v_min_u32_e32 v19, 32, v19
	v_and_b32_e32 v7, 0xff, v15
	v_mov_b32_e32 v16, v34
	v_subrev_u32_e32 v21, 29, v19
	v_bfe_u32 v7, v7, 2, 5
	v_lshlrev_b64 v[30:31], v21, v[15:16]
	v_sub_u32_e32 v16, 30, v19
	v_cmp_eq_u32_e32 vcc, 0, v7
	v_and_b32_e32 v19, 3, v30
	v_cndmask_b32_e32 v7, v7, v16, vcc
	v_and_b32_sdwa v15, sext(v15), s82 dst_sel:DWORD dst_unused:UNUSED_PAD src0_sel:WORD_0 src1_sel:DWORD
	v_cndmask_b32_e32 v16, v17, v19, vcc
	v_lshl_add_u32 v7, v7, 23, v15
	v_lshl_or_b32 v7, v16, 21, v7
	v_add_u32_e32 v7, 0x38000000, v7
                                        ; implicit-def: $vgpr17
                                        ; implicit-def: $vgpr15
.LBB6_7975:                             ;   in Loop: Header=BB6_7611 Depth=3
	s_andn2_saveexec_b64 s[36:37], s[36:37]
; %bb.7976:                             ;   in Loop: Header=BB6_7611 Depth=3
	v_cmp_lt_i16_e32 vcc, -1, v15
	v_mov_b32_e32 v7, 0xff800000
	v_mov_b32_e32 v15, 0x7f800000
	v_cndmask_b32_e32 v7, v7, v15, vcc
	v_cmp_eq_u32_e32 vcc, 0, v17
	v_mov_b32_e32 v15, 0x7f800001
	v_cndmask_b32_e32 v7, v15, v7, vcc
; %bb.7977:                             ;   in Loop: Header=BB6_7611 Depth=3
	s_or_b64 exec, exec, s[36:37]
.LBB6_7978:                             ;   in Loop: Header=BB6_7611 Depth=3
	s_or_b64 exec, exec, s[34:35]
.LBB6_7979:                             ;   in Loop: Header=BB6_7611 Depth=3
	s_or_b64 exec, exec, s[28:29]
	v_cmp_ne_u16_e32 vcc, 0, v46
	s_and_saveexec_b64 s[28:29], vcc
	s_cbranch_execz .LBB6_7987
; %bb.7980:                             ;   in Loop: Header=BB6_7611 Depth=3
	v_cmp_ne_u16_e32 vcc, s80, v46
	v_bfrev_b32_e32 v5, 1
	s_and_saveexec_b64 s[34:35], vcc
	s_cbranch_execz .LBB6_7986
; %bb.7981:                             ;   in Loop: Header=BB6_7611 Depth=3
	v_and_b32_e32 v5, 0x7c, v46
	v_and_b32_e32 v15, 3, v46
	v_cmp_ne_u32_e32 vcc, s81, v5
                                        ; implicit-def: $vgpr5
	s_and_saveexec_b64 s[36:37], vcc
	s_xor_b64 s[36:37], exec, s[36:37]
	s_cbranch_execz .LBB6_7983
; %bb.7982:                             ;   in Loop: Header=BB6_7611 Depth=3
	v_ffbh_u32_e32 v16, v15
	v_min_u32_e32 v19, 32, v16
	v_mov_b32_e32 v47, v34
	v_subrev_u32_e32 v16, 29, v19
	v_and_b32_e32 v5, 0xff, v46
	v_lshlrev_b64 v[16:17], v16, v[46:47]
	v_bfe_u32 v5, v5, 2, 5
	v_sub_u32_e32 v17, 30, v19
	v_and_b32_e32 v16, 3, v16
	v_cmp_eq_u32_e32 vcc, 0, v5
	v_cndmask_b32_e32 v5, v5, v17, vcc
	v_cndmask_b32_e32 v15, v15, v16, vcc
	v_and_b32_sdwa v16, sext(v46), s82 dst_sel:DWORD dst_unused:UNUSED_PAD src0_sel:WORD_0 src1_sel:DWORD
	v_lshl_add_u32 v5, v5, 23, v16
	v_lshl_or_b32 v5, v15, 21, v5
	v_add_u32_e32 v5, 0x38000000, v5
                                        ; implicit-def: $vgpr15
                                        ; implicit-def: $vgpr46
.LBB6_7983:                             ;   in Loop: Header=BB6_7611 Depth=3
	s_andn2_saveexec_b64 s[36:37], s[36:37]
; %bb.7984:                             ;   in Loop: Header=BB6_7611 Depth=3
	v_cmp_lt_i16_e32 vcc, -1, v46
	v_mov_b32_e32 v5, 0xff800000
	v_mov_b32_e32 v16, 0x7f800000
	v_cndmask_b32_e32 v5, v5, v16, vcc
	v_cmp_eq_u32_e32 vcc, 0, v15
	v_mov_b32_e32 v15, 0x7f800001
	v_cndmask_b32_e32 v5, v15, v5, vcc
; %bb.7985:                             ;   in Loop: Header=BB6_7611 Depth=3
	s_or_b64 exec, exec, s[36:37]
.LBB6_7986:                             ;   in Loop: Header=BB6_7611 Depth=3
	s_or_b64 exec, exec, s[34:35]
.LBB6_7987:                             ;   in Loop: Header=BB6_7611 Depth=3
	s_or_b64 exec, exec, s[28:29]
	v_mul_f32_e32 v7, v7, v5
	v_and_b32_e32 v16, 0x7f800000, v7
	v_mov_b32_e32 v17, v34
	v_cmp_ne_u64_e32 vcc, s[76:77], v[16:17]
	v_and_b32_e32 v15, 0x7fffff, v7
	v_mov_b32_e32 v16, v34
                                        ; implicit-def: $vgpr19
	s_and_saveexec_b64 s[28:29], vcc
	s_xor_b64 s[34:35], exec, s[28:29]
	s_cbranch_execz .LBB6_8005
; %bb.7988:                             ;   in Loop: Header=BB6_7611 Depth=3
	v_and_b32_e32 v30, 0x7fffffff, v7
	v_mov_b32_e32 v31, v34
	v_cmp_gt_u64_e32 vcc, s[78:79], v[30:31]
	v_and_b32_sdwa v5, v7, s44 dst_sel:DWORD dst_unused:UNUSED_PAD src0_sel:BYTE_3 src1_sel:DWORD
                                        ; implicit-def: $vgpr19
	s_and_saveexec_b64 s[28:29], vcc
	s_xor_b64 s[36:37], exec, s[28:29]
	s_cbranch_execz .LBB6_8002
; %bb.7989:                             ;   in Loop: Header=BB6_7611 Depth=3
	v_cmp_ne_u32_e32 vcc, 0, v7
	v_mov_b32_e32 v19, 0
	s_and_saveexec_b64 s[38:39], vcc
	s_cbranch_execz .LBB6_8001
; %bb.7990:                             ;   in Loop: Header=BB6_7611 Depth=3
	v_bfe_u32 v7, v7, 23, 8
	v_cmp_gt_u32_e64 s[28:29], s45, v7
	v_sub_u32_e32 v17, 0x71, v7
	v_cmp_eq_u32_e32 vcc, 0, v7
	v_cndmask_b32_e64 v17, 0, v17, s[28:29]
	v_mov_b32_e32 v19, 0x70
	v_cndmask_b32_e32 v19, v17, v19, vcc
	v_add_u32_e32 v17, 21, v19
	v_or_b32_e32 v21, 0x800000, v15
	v_lshlrev_b64 v[30:31], v17, -1
	v_cndmask_b32_e32 v15, v21, v15, vcc
	v_add_u32_e32 v17, 20, v19
	v_bfi_b32 v30, v30, 0, v15
	v_lshlrev_b64 v[35:36], v17, 1
	v_lshrrev_b64 v[15:16], v19, v[15:16]
	v_bfi_b32 v31, v31, 0, 0
	v_cmp_eq_u64_e64 s[28:29], v[30:31], v[35:36]
	v_mov_b32_e32 v17, v16
	v_mov_b32_e32 v16, v15
	s_and_saveexec_b64 s[48:49], s[28:29]
; %bb.7991:                             ;   in Loop: Header=BB6_7611 Depth=3
	v_bfe_u32 v16, v15, 21, 1
	v_add_co_u32_e64 v16, s[28:29], v15, v16
	v_add_co_u32_e64 v16, s[28:29], -1, v16
; %bb.7992:                             ;   in Loop: Header=BB6_7611 Depth=3
	s_or_b64 exec, exec, s[48:49]
	v_add_u32_e32 v7, 0xffffff81, v7
	v_mov_b32_e32 v17, 0xffffff82
	v_cndmask_b32_e32 v7, v7, v17, vcc
	v_lshrrev_b32_e32 v17, 23, v15
	v_add3_u32 v19, v19, v7, v17
	v_add_u32_e32 v17, 14, v19
	v_and_b32_e32 v7, 0x1fffff, v16
	v_add_u32_e32 v15, v7, v15
	v_mov_b32_e32 v16, v34
	v_cmp_ne_u32_e32 vcc, 0, v17
                                        ; implicit-def: $vgpr7
	s_and_saveexec_b64 s[28:29], vcc
	s_xor_b64 s[28:29], exec, s[28:29]
; %bb.7993:                             ;   in Loop: Header=BB6_7611 Depth=3
	v_cmp_lt_u64_e32 vcc, s[88:89], v[15:16]
	v_add_u32_e32 v7, 15, v19
	v_cndmask_b32_e32 v7, v17, v7, vcc
	v_cndmask_b32_e64 v17, 0, 1, vcc
	v_lshrrev_b64 v[15:16], v17, v[15:16]
; %bb.7994:                             ;   in Loop: Header=BB6_7611 Depth=3
	s_andn2_saveexec_b64 s[28:29], s[28:29]
; %bb.7995:                             ;   in Loop: Header=BB6_7611 Depth=3
	v_bfe_u32 v7, v15, 23, 1
; %bb.7996:                             ;   in Loop: Header=BB6_7611 Depth=3
	s_or_b64 exec, exec, s[28:29]
	v_lshrrev_b64 v[15:16], 21, v[15:16]
	v_cmp_gt_i32_e32 vcc, 32, v7
	v_cndmask_b32_e32 v16, 0, v16, vcc
	v_cndmask_b32_e32 v15, 3, v15, vcc
	v_cmp_ne_u64_e32 vcc, 0, v[15:16]
	v_cmp_ne_u32_e64 s[28:29], 0, v7
	s_or_b64 s[28:29], s[28:29], vcc
                                        ; implicit-def: $vgpr19
	s_and_saveexec_b64 vcc, s[28:29]
	s_xor_b64 s[28:29], exec, vcc
; %bb.7997:                             ;   in Loop: Header=BB6_7611 Depth=3
	v_min_i32_e32 v7, 31, v7
	v_lshl_or_b32 v5, v7, 2, v5
	v_and_or_b32 v19, v15, 3, v5
                                        ; implicit-def: $vgpr5
; %bb.7998:                             ;   in Loop: Header=BB6_7611 Depth=3
	s_andn2_saveexec_b64 s[28:29], s[28:29]
; %bb.7999:                             ;   in Loop: Header=BB6_7611 Depth=3
	v_mov_b32_e32 v19, v5
; %bb.8000:                             ;   in Loop: Header=BB6_7611 Depth=3
	s_or_b64 exec, exec, s[28:29]
.LBB6_8001:                             ;   in Loop: Header=BB6_7611 Depth=3
	s_or_b64 exec, exec, s[38:39]
                                        ; implicit-def: $vgpr5
.LBB6_8002:                             ;   in Loop: Header=BB6_7611 Depth=3
	s_andn2_saveexec_b64 s[28:29], s[36:37]
; %bb.8003:                             ;   in Loop: Header=BB6_7611 Depth=3
	v_or_b32_e32 v19, 0x7b, v5
; %bb.8004:                             ;   in Loop: Header=BB6_7611 Depth=3
	s_or_b64 exec, exec, s[28:29]
                                        ; implicit-def: $vgpr7
                                        ; implicit-def: $vgpr15_vgpr16
.LBB6_8005:                             ;   in Loop: Header=BB6_7611 Depth=3
	s_andn2_saveexec_b64 s[28:29], s[34:35]
	s_cbranch_execz .LBB6_8011
; %bb.8006:                             ;   in Loop: Header=BB6_7611 Depth=3
	v_cmp_ne_u64_e32 vcc, 0, v[15:16]
                                        ; implicit-def: $vgpr19
	s_and_saveexec_b64 s[34:35], vcc
	s_xor_b64 vcc, exec, s[34:35]
; %bb.8007:                             ;   in Loop: Header=BB6_7611 Depth=3
	v_or_b32_sdwa v19, v7, s83 dst_sel:DWORD dst_unused:UNUSED_PAD src0_sel:BYTE_3 src1_sel:DWORD
                                        ; implicit-def: $vgpr7
; %bb.8008:                             ;   in Loop: Header=BB6_7611 Depth=3
	s_andn2_saveexec_b64 s[34:35], vcc
; %bb.8009:                             ;   in Loop: Header=BB6_7611 Depth=3
	v_cmp_lt_i32_e32 vcc, -1, v7
	v_mov_b32_e32 v5, 0x7c
	v_cndmask_b32_e32 v19, -4, v5, vcc
; %bb.8010:                             ;   in Loop: Header=BB6_7611 Depth=3
	s_or_b64 exec, exec, s[34:35]
.LBB6_8011:                             ;   in Loop: Header=BB6_7611 Depth=3
	s_or_b64 exec, exec, s[28:29]
	v_cmp_ne_u16_e32 vcc, 0, v45
	v_mov_b32_e32 v5, 0
	v_mov_b32_e32 v7, 0
	s_and_saveexec_b64 s[28:29], vcc
	s_cbranch_execz .LBB6_8019
; %bb.8012:                             ;   in Loop: Header=BB6_7611 Depth=3
	v_cmp_ne_u16_e32 vcc, s80, v45
	v_bfrev_b32_e32 v7, 1
	s_and_saveexec_b64 s[34:35], vcc
	s_cbranch_execz .LBB6_8018
; %bb.8013:                             ;   in Loop: Header=BB6_7611 Depth=3
	v_and_b32_e32 v7, 0x7c, v45
	v_and_b32_e32 v15, 3, v45
	v_cmp_ne_u32_e32 vcc, s81, v7
                                        ; implicit-def: $vgpr7
	s_and_saveexec_b64 s[36:37], vcc
	s_xor_b64 s[36:37], exec, s[36:37]
	s_cbranch_execz .LBB6_8015
; %bb.8014:                             ;   in Loop: Header=BB6_7611 Depth=3
	v_ffbh_u32_e32 v16, v15
	v_min_u32_e32 v21, 32, v16
	v_mov_b32_e32 v46, v34
	v_subrev_u32_e32 v16, 29, v21
	v_and_b32_e32 v7, 0xff, v45
	v_lshlrev_b64 v[16:17], v16, v[45:46]
	v_bfe_u32 v7, v7, 2, 5
	v_sub_u32_e32 v17, 30, v21
	v_and_b32_e32 v16, 3, v16
	v_cmp_eq_u32_e32 vcc, 0, v7
	v_cndmask_b32_e32 v7, v7, v17, vcc
	v_cndmask_b32_e32 v15, v15, v16, vcc
	v_and_b32_sdwa v16, sext(v45), s82 dst_sel:DWORD dst_unused:UNUSED_PAD src0_sel:WORD_0 src1_sel:DWORD
	v_lshl_add_u32 v7, v7, 23, v16
	v_lshl_or_b32 v7, v15, 21, v7
	v_add_u32_e32 v7, 0x38000000, v7
                                        ; implicit-def: $vgpr15
                                        ; implicit-def: $vgpr45
.LBB6_8015:                             ;   in Loop: Header=BB6_7611 Depth=3
	s_andn2_saveexec_b64 s[36:37], s[36:37]
; %bb.8016:                             ;   in Loop: Header=BB6_7611 Depth=3
	v_cmp_lt_i16_e32 vcc, -1, v45
	v_mov_b32_e32 v7, 0xff800000
	v_mov_b32_e32 v16, 0x7f800000
	v_cndmask_b32_e32 v7, v7, v16, vcc
	v_cmp_eq_u32_e32 vcc, 0, v15
	v_mov_b32_e32 v15, 0x7f800001
	v_cndmask_b32_e32 v7, v15, v7, vcc
; %bb.8017:                             ;   in Loop: Header=BB6_7611 Depth=3
	s_or_b64 exec, exec, s[36:37]
.LBB6_8018:                             ;   in Loop: Header=BB6_7611 Depth=3
	s_or_b64 exec, exec, s[34:35]
.LBB6_8019:                             ;   in Loop: Header=BB6_7611 Depth=3
	s_or_b64 exec, exec, s[28:29]
	v_cmp_ne_u16_e32 vcc, 0, v40
	s_and_saveexec_b64 s[28:29], vcc
	s_cbranch_execz .LBB6_8027
; %bb.8020:                             ;   in Loop: Header=BB6_7611 Depth=3
	v_cmp_ne_u16_e32 vcc, s80, v40
	v_bfrev_b32_e32 v5, 1
	s_and_saveexec_b64 s[34:35], vcc
	s_cbranch_execz .LBB6_8026
; %bb.8021:                             ;   in Loop: Header=BB6_7611 Depth=3
	v_and_b32_e32 v5, 0x7c, v40
	v_and_b32_e32 v15, 3, v40
	v_cmp_ne_u32_e32 vcc, s81, v5
                                        ; implicit-def: $vgpr5
	s_and_saveexec_b64 s[36:37], vcc
	s_xor_b64 s[36:37], exec, s[36:37]
	s_cbranch_execz .LBB6_8023
; %bb.8022:                             ;   in Loop: Header=BB6_7611 Depth=3
	v_ffbh_u32_e32 v16, v15
	v_min_u32_e32 v21, 32, v16
	v_mov_b32_e32 v41, v34
	v_subrev_u32_e32 v16, 29, v21
	v_and_b32_e32 v5, 0xff, v40
	v_lshlrev_b64 v[16:17], v16, v[40:41]
	v_bfe_u32 v5, v5, 2, 5
	v_sub_u32_e32 v17, 30, v21
	v_and_b32_e32 v16, 3, v16
	v_cmp_eq_u32_e32 vcc, 0, v5
	v_cndmask_b32_e32 v5, v5, v17, vcc
	v_cndmask_b32_e32 v15, v15, v16, vcc
	v_and_b32_sdwa v16, sext(v40), s82 dst_sel:DWORD dst_unused:UNUSED_PAD src0_sel:WORD_0 src1_sel:DWORD
	v_lshl_add_u32 v5, v5, 23, v16
	v_lshl_or_b32 v5, v15, 21, v5
	v_add_u32_e32 v5, 0x38000000, v5
                                        ; implicit-def: $vgpr15
                                        ; implicit-def: $vgpr40
.LBB6_8023:                             ;   in Loop: Header=BB6_7611 Depth=3
	s_andn2_saveexec_b64 s[36:37], s[36:37]
; %bb.8024:                             ;   in Loop: Header=BB6_7611 Depth=3
	v_cmp_lt_i16_e32 vcc, -1, v40
	v_mov_b32_e32 v5, 0xff800000
	v_mov_b32_e32 v16, 0x7f800000
	v_cndmask_b32_e32 v5, v5, v16, vcc
	v_cmp_eq_u32_e32 vcc, 0, v15
	v_mov_b32_e32 v15, 0x7f800001
	v_cndmask_b32_e32 v5, v15, v5, vcc
; %bb.8025:                             ;   in Loop: Header=BB6_7611 Depth=3
	s_or_b64 exec, exec, s[36:37]
.LBB6_8026:                             ;   in Loop: Header=BB6_7611 Depth=3
	s_or_b64 exec, exec, s[34:35]
.LBB6_8027:                             ;   in Loop: Header=BB6_7611 Depth=3
	s_or_b64 exec, exec, s[28:29]
	v_mul_f32_e32 v7, v7, v5
	v_and_b32_e32 v16, 0x7f800000, v7
	v_mov_b32_e32 v17, v34
	v_cmp_ne_u64_e32 vcc, s[76:77], v[16:17]
	v_and_b32_e32 v15, 0x7fffff, v7
	v_mov_b32_e32 v16, v34
                                        ; implicit-def: $vgpr21
	s_and_saveexec_b64 s[28:29], vcc
	s_xor_b64 s[34:35], exec, s[28:29]
	s_cbranch_execz .LBB6_8045
; %bb.8028:                             ;   in Loop: Header=BB6_7611 Depth=3
	v_and_b32_e32 v30, 0x7fffffff, v7
	v_mov_b32_e32 v31, v34
	v_cmp_gt_u64_e32 vcc, s[78:79], v[30:31]
	v_and_b32_sdwa v5, v7, s44 dst_sel:DWORD dst_unused:UNUSED_PAD src0_sel:BYTE_3 src1_sel:DWORD
                                        ; implicit-def: $vgpr21
	s_and_saveexec_b64 s[28:29], vcc
	s_xor_b64 s[36:37], exec, s[28:29]
	s_cbranch_execz .LBB6_8042
; %bb.8029:                             ;   in Loop: Header=BB6_7611 Depth=3
	v_cmp_ne_u32_e32 vcc, 0, v7
	v_mov_b32_e32 v21, 0
	s_and_saveexec_b64 s[38:39], vcc
	s_cbranch_execz .LBB6_8041
; %bb.8030:                             ;   in Loop: Header=BB6_7611 Depth=3
	v_bfe_u32 v7, v7, 23, 8
	v_cmp_gt_u32_e64 s[28:29], s45, v7
	v_sub_u32_e32 v17, 0x71, v7
	v_cmp_eq_u32_e32 vcc, 0, v7
	v_cndmask_b32_e64 v17, 0, v17, s[28:29]
	v_mov_b32_e32 v21, 0x70
	v_cndmask_b32_e32 v21, v17, v21, vcc
	v_add_u32_e32 v17, 21, v21
	v_or_b32_e32 v23, 0x800000, v15
	v_lshlrev_b64 v[30:31], v17, -1
	v_cndmask_b32_e32 v15, v23, v15, vcc
	v_add_u32_e32 v17, 20, v21
	v_bfi_b32 v30, v30, 0, v15
	v_lshlrev_b64 v[35:36], v17, 1
	v_lshrrev_b64 v[15:16], v21, v[15:16]
	v_bfi_b32 v31, v31, 0, 0
	v_cmp_eq_u64_e64 s[28:29], v[30:31], v[35:36]
	v_mov_b32_e32 v17, v16
	v_mov_b32_e32 v16, v15
	s_and_saveexec_b64 s[48:49], s[28:29]
; %bb.8031:                             ;   in Loop: Header=BB6_7611 Depth=3
	v_bfe_u32 v16, v15, 21, 1
	v_add_co_u32_e64 v16, s[28:29], v15, v16
	v_add_co_u32_e64 v16, s[28:29], -1, v16
; %bb.8032:                             ;   in Loop: Header=BB6_7611 Depth=3
	s_or_b64 exec, exec, s[48:49]
	v_add_u32_e32 v7, 0xffffff81, v7
	v_mov_b32_e32 v17, 0xffffff82
	v_cndmask_b32_e32 v7, v7, v17, vcc
	v_lshrrev_b32_e32 v17, 23, v15
	v_add3_u32 v21, v21, v7, v17
	v_add_u32_e32 v17, 14, v21
	v_and_b32_e32 v7, 0x1fffff, v16
	v_add_u32_e32 v15, v7, v15
	v_mov_b32_e32 v16, v34
	v_cmp_ne_u32_e32 vcc, 0, v17
                                        ; implicit-def: $vgpr7
	s_and_saveexec_b64 s[28:29], vcc
	s_xor_b64 s[28:29], exec, s[28:29]
; %bb.8033:                             ;   in Loop: Header=BB6_7611 Depth=3
	v_cmp_lt_u64_e32 vcc, s[88:89], v[15:16]
	v_add_u32_e32 v7, 15, v21
	v_cndmask_b32_e32 v7, v17, v7, vcc
	v_cndmask_b32_e64 v17, 0, 1, vcc
	v_lshrrev_b64 v[15:16], v17, v[15:16]
; %bb.8034:                             ;   in Loop: Header=BB6_7611 Depth=3
	s_andn2_saveexec_b64 s[28:29], s[28:29]
; %bb.8035:                             ;   in Loop: Header=BB6_7611 Depth=3
	v_bfe_u32 v7, v15, 23, 1
; %bb.8036:                             ;   in Loop: Header=BB6_7611 Depth=3
	s_or_b64 exec, exec, s[28:29]
	v_lshrrev_b64 v[15:16], 21, v[15:16]
	v_cmp_gt_i32_e32 vcc, 32, v7
	v_cndmask_b32_e32 v16, 0, v16, vcc
	v_cndmask_b32_e32 v15, 3, v15, vcc
	v_cmp_ne_u64_e32 vcc, 0, v[15:16]
	v_cmp_ne_u32_e64 s[28:29], 0, v7
	s_or_b64 s[28:29], s[28:29], vcc
                                        ; implicit-def: $vgpr21
	s_and_saveexec_b64 vcc, s[28:29]
	s_xor_b64 s[28:29], exec, vcc
; %bb.8037:                             ;   in Loop: Header=BB6_7611 Depth=3
	v_min_i32_e32 v7, 31, v7
	v_lshl_or_b32 v5, v7, 2, v5
	v_and_or_b32 v21, v15, 3, v5
                                        ; implicit-def: $vgpr5
; %bb.8038:                             ;   in Loop: Header=BB6_7611 Depth=3
	s_andn2_saveexec_b64 s[28:29], s[28:29]
; %bb.8039:                             ;   in Loop: Header=BB6_7611 Depth=3
	v_mov_b32_e32 v21, v5
; %bb.8040:                             ;   in Loop: Header=BB6_7611 Depth=3
	s_or_b64 exec, exec, s[28:29]
.LBB6_8041:                             ;   in Loop: Header=BB6_7611 Depth=3
	s_or_b64 exec, exec, s[38:39]
                                        ; implicit-def: $vgpr5
.LBB6_8042:                             ;   in Loop: Header=BB6_7611 Depth=3
	s_andn2_saveexec_b64 s[28:29], s[36:37]
; %bb.8043:                             ;   in Loop: Header=BB6_7611 Depth=3
	v_or_b32_e32 v21, 0x7b, v5
; %bb.8044:                             ;   in Loop: Header=BB6_7611 Depth=3
	s_or_b64 exec, exec, s[28:29]
                                        ; implicit-def: $vgpr7
                                        ; implicit-def: $vgpr15_vgpr16
.LBB6_8045:                             ;   in Loop: Header=BB6_7611 Depth=3
	s_andn2_saveexec_b64 s[28:29], s[34:35]
	s_cbranch_execz .LBB6_8051
; %bb.8046:                             ;   in Loop: Header=BB6_7611 Depth=3
	v_cmp_ne_u64_e32 vcc, 0, v[15:16]
                                        ; implicit-def: $vgpr21
	s_and_saveexec_b64 s[34:35], vcc
	s_xor_b64 vcc, exec, s[34:35]
; %bb.8047:                             ;   in Loop: Header=BB6_7611 Depth=3
	v_or_b32_sdwa v21, v7, s83 dst_sel:DWORD dst_unused:UNUSED_PAD src0_sel:BYTE_3 src1_sel:DWORD
                                        ; implicit-def: $vgpr7
; %bb.8048:                             ;   in Loop: Header=BB6_7611 Depth=3
	s_andn2_saveexec_b64 s[34:35], vcc
; %bb.8049:                             ;   in Loop: Header=BB6_7611 Depth=3
	v_cmp_lt_i32_e32 vcc, -1, v7
	v_mov_b32_e32 v5, 0x7c
	v_cndmask_b32_e32 v21, -4, v5, vcc
; %bb.8050:                             ;   in Loop: Header=BB6_7611 Depth=3
	s_or_b64 exec, exec, s[34:35]
.LBB6_8051:                             ;   in Loop: Header=BB6_7611 Depth=3
	s_or_b64 exec, exec, s[28:29]
	v_cmp_ne_u16_e32 vcc, 0, v39
	v_mov_b32_e32 v5, 0
	v_mov_b32_e32 v7, 0
	s_and_saveexec_b64 s[28:29], vcc
	s_cbranch_execz .LBB6_8059
; %bb.8052:                             ;   in Loop: Header=BB6_7611 Depth=3
	v_cmp_ne_u16_e32 vcc, s80, v39
	v_bfrev_b32_e32 v7, 1
	s_and_saveexec_b64 s[34:35], vcc
	s_cbranch_execz .LBB6_8058
; %bb.8053:                             ;   in Loop: Header=BB6_7611 Depth=3
	v_and_b32_e32 v7, 0x7c, v39
	v_and_b32_e32 v15, 3, v39
	v_cmp_ne_u32_e32 vcc, s81, v7
                                        ; implicit-def: $vgpr7
	s_and_saveexec_b64 s[36:37], vcc
	s_xor_b64 s[36:37], exec, s[36:37]
	s_cbranch_execz .LBB6_8055
; %bb.8054:                             ;   in Loop: Header=BB6_7611 Depth=3
	v_ffbh_u32_e32 v16, v15
	v_min_u32_e32 v23, 32, v16
	v_mov_b32_e32 v40, v34
	v_subrev_u32_e32 v16, 29, v23
	v_and_b32_e32 v7, 0xff, v39
	v_lshlrev_b64 v[16:17], v16, v[39:40]
	v_bfe_u32 v7, v7, 2, 5
	v_sub_u32_e32 v17, 30, v23
	v_and_b32_e32 v16, 3, v16
	v_cmp_eq_u32_e32 vcc, 0, v7
	v_cndmask_b32_e32 v7, v7, v17, vcc
	v_cndmask_b32_e32 v15, v15, v16, vcc
	v_and_b32_sdwa v16, sext(v39), s82 dst_sel:DWORD dst_unused:UNUSED_PAD src0_sel:WORD_0 src1_sel:DWORD
	v_lshl_add_u32 v7, v7, 23, v16
	v_lshl_or_b32 v7, v15, 21, v7
	v_add_u32_e32 v7, 0x38000000, v7
                                        ; implicit-def: $vgpr15
                                        ; implicit-def: $vgpr39
.LBB6_8055:                             ;   in Loop: Header=BB6_7611 Depth=3
	s_andn2_saveexec_b64 s[36:37], s[36:37]
; %bb.8056:                             ;   in Loop: Header=BB6_7611 Depth=3
	v_cmp_lt_i16_e32 vcc, -1, v39
	v_mov_b32_e32 v7, 0xff800000
	v_mov_b32_e32 v16, 0x7f800000
	v_cndmask_b32_e32 v7, v7, v16, vcc
	v_cmp_eq_u32_e32 vcc, 0, v15
	v_mov_b32_e32 v15, 0x7f800001
	v_cndmask_b32_e32 v7, v15, v7, vcc
; %bb.8057:                             ;   in Loop: Header=BB6_7611 Depth=3
	s_or_b64 exec, exec, s[36:37]
.LBB6_8058:                             ;   in Loop: Header=BB6_7611 Depth=3
	s_or_b64 exec, exec, s[34:35]
.LBB6_8059:                             ;   in Loop: Header=BB6_7611 Depth=3
	s_or_b64 exec, exec, s[28:29]
	v_cmp_ne_u16_e32 vcc, 0, v56
	s_and_saveexec_b64 s[28:29], vcc
	s_cbranch_execz .LBB6_8067
; %bb.8060:                             ;   in Loop: Header=BB6_7611 Depth=3
	v_cmp_ne_u16_e32 vcc, s80, v56
	v_bfrev_b32_e32 v5, 1
	s_and_saveexec_b64 s[34:35], vcc
	s_cbranch_execz .LBB6_8066
; %bb.8061:                             ;   in Loop: Header=BB6_7611 Depth=3
	v_and_b32_e32 v5, 0x7c, v56
	v_and_b32_e32 v15, 3, v56
	v_cmp_ne_u32_e32 vcc, s81, v5
                                        ; implicit-def: $vgpr5
	s_and_saveexec_b64 s[36:37], vcc
	s_xor_b64 s[36:37], exec, s[36:37]
	s_cbranch_execz .LBB6_8063
; %bb.8062:                             ;   in Loop: Header=BB6_7611 Depth=3
	v_ffbh_u32_e32 v16, v15
	v_min_u32_e32 v23, 32, v16
	v_mov_b32_e32 v25, v57
	v_mov_b32_e32 v57, v34
	v_subrev_u32_e32 v16, 29, v23
	v_and_b32_e32 v5, 0xff, v56
	v_lshlrev_b64 v[16:17], v16, v[56:57]
	v_bfe_u32 v5, v5, 2, 5
	v_sub_u32_e32 v17, 30, v23
	v_and_b32_e32 v16, 3, v16
	v_cmp_eq_u32_e32 vcc, 0, v5
	v_cndmask_b32_e32 v5, v5, v17, vcc
	v_cndmask_b32_e32 v15, v15, v16, vcc
	v_and_b32_sdwa v16, sext(v56), s82 dst_sel:DWORD dst_unused:UNUSED_PAD src0_sel:WORD_0 src1_sel:DWORD
	v_lshl_add_u32 v5, v5, 23, v16
	v_lshl_or_b32 v5, v15, 21, v5
	v_mov_b32_e32 v57, v25
	v_add_u32_e32 v5, 0x38000000, v5
                                        ; implicit-def: $vgpr15
                                        ; implicit-def: $vgpr56
.LBB6_8063:                             ;   in Loop: Header=BB6_7611 Depth=3
	s_andn2_saveexec_b64 s[36:37], s[36:37]
; %bb.8064:                             ;   in Loop: Header=BB6_7611 Depth=3
	v_cmp_lt_i16_e32 vcc, -1, v56
	v_mov_b32_e32 v5, 0xff800000
	v_mov_b32_e32 v16, 0x7f800000
	v_cndmask_b32_e32 v5, v5, v16, vcc
	v_cmp_eq_u32_e32 vcc, 0, v15
	v_mov_b32_e32 v15, 0x7f800001
	v_cndmask_b32_e32 v5, v15, v5, vcc
; %bb.8065:                             ;   in Loop: Header=BB6_7611 Depth=3
	s_or_b64 exec, exec, s[36:37]
.LBB6_8066:                             ;   in Loop: Header=BB6_7611 Depth=3
	s_or_b64 exec, exec, s[34:35]
.LBB6_8067:                             ;   in Loop: Header=BB6_7611 Depth=3
	s_or_b64 exec, exec, s[28:29]
	v_mul_f32_e32 v7, v7, v5
	v_and_b32_e32 v16, 0x7f800000, v7
	v_mov_b32_e32 v17, v34
	v_cmp_ne_u64_e32 vcc, s[76:77], v[16:17]
	v_and_b32_e32 v15, 0x7fffff, v7
	v_mov_b32_e32 v16, v34
                                        ; implicit-def: $vgpr23
	s_and_saveexec_b64 s[28:29], vcc
	s_xor_b64 s[34:35], exec, s[28:29]
	s_cbranch_execz .LBB6_8085
; %bb.8068:                             ;   in Loop: Header=BB6_7611 Depth=3
	v_and_b32_e32 v30, 0x7fffffff, v7
	v_mov_b32_e32 v31, v34
	v_cmp_gt_u64_e32 vcc, s[78:79], v[30:31]
	v_and_b32_sdwa v5, v7, s44 dst_sel:DWORD dst_unused:UNUSED_PAD src0_sel:BYTE_3 src1_sel:DWORD
                                        ; implicit-def: $vgpr23
	s_and_saveexec_b64 s[28:29], vcc
	s_xor_b64 s[36:37], exec, s[28:29]
	s_cbranch_execz .LBB6_8082
; %bb.8069:                             ;   in Loop: Header=BB6_7611 Depth=3
	v_cmp_ne_u32_e32 vcc, 0, v7
	v_mov_b32_e32 v23, 0
	s_and_saveexec_b64 s[38:39], vcc
	s_cbranch_execz .LBB6_8081
; %bb.8070:                             ;   in Loop: Header=BB6_7611 Depth=3
	v_bfe_u32 v7, v7, 23, 8
	v_cmp_gt_u32_e64 s[28:29], s45, v7
	v_sub_u32_e32 v17, 0x71, v7
	v_cmp_eq_u32_e32 vcc, 0, v7
	v_cndmask_b32_e64 v17, 0, v17, s[28:29]
	v_mov_b32_e32 v23, 0x70
	v_cndmask_b32_e32 v23, v17, v23, vcc
	v_add_u32_e32 v17, 21, v23
	v_or_b32_e32 v25, 0x800000, v15
	v_lshlrev_b64 v[30:31], v17, -1
	v_cndmask_b32_e32 v15, v25, v15, vcc
	v_add_u32_e32 v17, 20, v23
	v_bfi_b32 v30, v30, 0, v15
	v_lshlrev_b64 v[35:36], v17, 1
	v_lshrrev_b64 v[15:16], v23, v[15:16]
	v_bfi_b32 v31, v31, 0, 0
	v_cmp_eq_u64_e64 s[28:29], v[30:31], v[35:36]
	v_mov_b32_e32 v17, v16
	v_mov_b32_e32 v16, v15
	s_and_saveexec_b64 s[48:49], s[28:29]
; %bb.8071:                             ;   in Loop: Header=BB6_7611 Depth=3
	v_bfe_u32 v16, v15, 21, 1
	v_add_co_u32_e64 v16, s[28:29], v15, v16
	v_add_co_u32_e64 v16, s[28:29], -1, v16
; %bb.8072:                             ;   in Loop: Header=BB6_7611 Depth=3
	s_or_b64 exec, exec, s[48:49]
	v_add_u32_e32 v7, 0xffffff81, v7
	v_mov_b32_e32 v17, 0xffffff82
	v_cndmask_b32_e32 v7, v7, v17, vcc
	v_lshrrev_b32_e32 v17, 23, v15
	v_add3_u32 v23, v23, v7, v17
	v_add_u32_e32 v17, 14, v23
	v_and_b32_e32 v7, 0x1fffff, v16
	v_add_u32_e32 v15, v7, v15
	v_mov_b32_e32 v16, v34
	v_cmp_ne_u32_e32 vcc, 0, v17
                                        ; implicit-def: $vgpr7
	s_and_saveexec_b64 s[28:29], vcc
	s_xor_b64 s[28:29], exec, s[28:29]
; %bb.8073:                             ;   in Loop: Header=BB6_7611 Depth=3
	v_cmp_lt_u64_e32 vcc, s[88:89], v[15:16]
	v_add_u32_e32 v7, 15, v23
	v_cndmask_b32_e32 v7, v17, v7, vcc
	v_cndmask_b32_e64 v17, 0, 1, vcc
	v_lshrrev_b64 v[15:16], v17, v[15:16]
; %bb.8074:                             ;   in Loop: Header=BB6_7611 Depth=3
	s_andn2_saveexec_b64 s[28:29], s[28:29]
; %bb.8075:                             ;   in Loop: Header=BB6_7611 Depth=3
	v_bfe_u32 v7, v15, 23, 1
; %bb.8076:                             ;   in Loop: Header=BB6_7611 Depth=3
	s_or_b64 exec, exec, s[28:29]
	v_lshrrev_b64 v[15:16], 21, v[15:16]
	v_cmp_gt_i32_e32 vcc, 32, v7
	v_cndmask_b32_e32 v16, 0, v16, vcc
	v_cndmask_b32_e32 v15, 3, v15, vcc
	v_cmp_ne_u64_e32 vcc, 0, v[15:16]
	v_cmp_ne_u32_e64 s[28:29], 0, v7
	s_or_b64 s[28:29], s[28:29], vcc
                                        ; implicit-def: $vgpr23
	s_and_saveexec_b64 vcc, s[28:29]
	s_xor_b64 s[28:29], exec, vcc
; %bb.8077:                             ;   in Loop: Header=BB6_7611 Depth=3
	v_min_i32_e32 v7, 31, v7
	v_lshl_or_b32 v5, v7, 2, v5
	v_and_or_b32 v23, v15, 3, v5
                                        ; implicit-def: $vgpr5
; %bb.8078:                             ;   in Loop: Header=BB6_7611 Depth=3
	s_andn2_saveexec_b64 s[28:29], s[28:29]
; %bb.8079:                             ;   in Loop: Header=BB6_7611 Depth=3
	v_mov_b32_e32 v23, v5
; %bb.8080:                             ;   in Loop: Header=BB6_7611 Depth=3
	s_or_b64 exec, exec, s[28:29]
.LBB6_8081:                             ;   in Loop: Header=BB6_7611 Depth=3
	s_or_b64 exec, exec, s[38:39]
                                        ; implicit-def: $vgpr5
.LBB6_8082:                             ;   in Loop: Header=BB6_7611 Depth=3
	s_andn2_saveexec_b64 s[28:29], s[36:37]
; %bb.8083:                             ;   in Loop: Header=BB6_7611 Depth=3
	v_or_b32_e32 v23, 0x7b, v5
; %bb.8084:                             ;   in Loop: Header=BB6_7611 Depth=3
	s_or_b64 exec, exec, s[28:29]
                                        ; implicit-def: $vgpr7
                                        ; implicit-def: $vgpr15_vgpr16
.LBB6_8085:                             ;   in Loop: Header=BB6_7611 Depth=3
	s_andn2_saveexec_b64 s[28:29], s[34:35]
	s_cbranch_execz .LBB6_8091
; %bb.8086:                             ;   in Loop: Header=BB6_7611 Depth=3
	v_cmp_ne_u64_e32 vcc, 0, v[15:16]
                                        ; implicit-def: $vgpr23
	s_and_saveexec_b64 s[34:35], vcc
	s_xor_b64 vcc, exec, s[34:35]
; %bb.8087:                             ;   in Loop: Header=BB6_7611 Depth=3
	v_or_b32_sdwa v23, v7, s83 dst_sel:DWORD dst_unused:UNUSED_PAD src0_sel:BYTE_3 src1_sel:DWORD
                                        ; implicit-def: $vgpr7
; %bb.8088:                             ;   in Loop: Header=BB6_7611 Depth=3
	s_andn2_saveexec_b64 s[34:35], vcc
; %bb.8089:                             ;   in Loop: Header=BB6_7611 Depth=3
	v_cmp_lt_i32_e32 vcc, -1, v7
	v_mov_b32_e32 v5, 0x7c
	v_cndmask_b32_e32 v23, -4, v5, vcc
; %bb.8090:                             ;   in Loop: Header=BB6_7611 Depth=3
	s_or_b64 exec, exec, s[34:35]
.LBB6_8091:                             ;   in Loop: Header=BB6_7611 Depth=3
	s_or_b64 exec, exec, s[28:29]
	v_cmp_ne_u16_e32 vcc, 0, v55
	v_mov_b32_e32 v5, 0
	v_mov_b32_e32 v7, 0
	s_and_saveexec_b64 s[28:29], vcc
	s_cbranch_execz .LBB6_8099
; %bb.8092:                             ;   in Loop: Header=BB6_7611 Depth=3
	v_cmp_ne_u16_e32 vcc, s80, v55
	v_bfrev_b32_e32 v7, 1
	s_and_saveexec_b64 s[34:35], vcc
	s_cbranch_execz .LBB6_8098
; %bb.8093:                             ;   in Loop: Header=BB6_7611 Depth=3
	v_and_b32_e32 v7, 0x7c, v55
	v_and_b32_e32 v15, 3, v55
	v_cmp_ne_u32_e32 vcc, s81, v7
                                        ; implicit-def: $vgpr7
	s_and_saveexec_b64 s[36:37], vcc
	s_xor_b64 s[36:37], exec, s[36:37]
	s_cbranch_execz .LBB6_8095
; %bb.8094:                             ;   in Loop: Header=BB6_7611 Depth=3
	v_ffbh_u32_e32 v16, v15
	v_min_u32_e32 v25, 32, v16
	v_mov_b32_e32 v56, v34
	v_subrev_u32_e32 v16, 29, v25
	v_and_b32_e32 v7, 0xff, v55
	v_lshlrev_b64 v[16:17], v16, v[55:56]
	v_bfe_u32 v7, v7, 2, 5
	v_sub_u32_e32 v17, 30, v25
	v_and_b32_e32 v16, 3, v16
	v_cmp_eq_u32_e32 vcc, 0, v7
	v_cndmask_b32_e32 v7, v7, v17, vcc
	v_cndmask_b32_e32 v15, v15, v16, vcc
	v_and_b32_sdwa v16, sext(v55), s82 dst_sel:DWORD dst_unused:UNUSED_PAD src0_sel:WORD_0 src1_sel:DWORD
	v_lshl_add_u32 v7, v7, 23, v16
	v_lshl_or_b32 v7, v15, 21, v7
	v_add_u32_e32 v7, 0x38000000, v7
                                        ; implicit-def: $vgpr15
                                        ; implicit-def: $vgpr55
.LBB6_8095:                             ;   in Loop: Header=BB6_7611 Depth=3
	s_andn2_saveexec_b64 s[36:37], s[36:37]
; %bb.8096:                             ;   in Loop: Header=BB6_7611 Depth=3
	v_cmp_lt_i16_e32 vcc, -1, v55
	v_mov_b32_e32 v7, 0xff800000
	v_mov_b32_e32 v16, 0x7f800000
	v_cndmask_b32_e32 v7, v7, v16, vcc
	v_cmp_eq_u32_e32 vcc, 0, v15
	v_mov_b32_e32 v15, 0x7f800001
	v_cndmask_b32_e32 v7, v15, v7, vcc
; %bb.8097:                             ;   in Loop: Header=BB6_7611 Depth=3
	s_or_b64 exec, exec, s[36:37]
.LBB6_8098:                             ;   in Loop: Header=BB6_7611 Depth=3
	s_or_b64 exec, exec, s[34:35]
.LBB6_8099:                             ;   in Loop: Header=BB6_7611 Depth=3
	s_or_b64 exec, exec, s[28:29]
	v_cmp_ne_u16_e32 vcc, 0, v54
	s_and_saveexec_b64 s[28:29], vcc
	s_cbranch_execz .LBB6_8107
; %bb.8100:                             ;   in Loop: Header=BB6_7611 Depth=3
	v_cmp_ne_u16_e32 vcc, s80, v54
	v_bfrev_b32_e32 v5, 1
	s_and_saveexec_b64 s[34:35], vcc
	s_cbranch_execz .LBB6_8106
; %bb.8101:                             ;   in Loop: Header=BB6_7611 Depth=3
	v_and_b32_e32 v5, 0x7c, v54
	v_and_b32_e32 v15, 3, v54
	v_cmp_ne_u32_e32 vcc, s81, v5
                                        ; implicit-def: $vgpr5
	s_and_saveexec_b64 s[36:37], vcc
	s_xor_b64 s[36:37], exec, s[36:37]
	s_cbranch_execz .LBB6_8103
; %bb.8102:                             ;   in Loop: Header=BB6_7611 Depth=3
	v_ffbh_u32_e32 v16, v15
	v_min_u32_e32 v25, 32, v16
	v_mov_b32_e32 v55, v34
	v_subrev_u32_e32 v16, 29, v25
	v_and_b32_e32 v5, 0xff, v54
	v_lshlrev_b64 v[16:17], v16, v[54:55]
	v_bfe_u32 v5, v5, 2, 5
	v_sub_u32_e32 v17, 30, v25
	v_and_b32_e32 v16, 3, v16
	v_cmp_eq_u32_e32 vcc, 0, v5
	v_cndmask_b32_e32 v5, v5, v17, vcc
	v_cndmask_b32_e32 v15, v15, v16, vcc
	v_and_b32_sdwa v16, sext(v54), s82 dst_sel:DWORD dst_unused:UNUSED_PAD src0_sel:WORD_0 src1_sel:DWORD
	v_lshl_add_u32 v5, v5, 23, v16
	v_lshl_or_b32 v5, v15, 21, v5
	v_add_u32_e32 v5, 0x38000000, v5
                                        ; implicit-def: $vgpr15
                                        ; implicit-def: $vgpr54
.LBB6_8103:                             ;   in Loop: Header=BB6_7611 Depth=3
	s_andn2_saveexec_b64 s[36:37], s[36:37]
; %bb.8104:                             ;   in Loop: Header=BB6_7611 Depth=3
	v_cmp_lt_i16_e32 vcc, -1, v54
	v_mov_b32_e32 v5, 0xff800000
	v_mov_b32_e32 v16, 0x7f800000
	v_cndmask_b32_e32 v5, v5, v16, vcc
	v_cmp_eq_u32_e32 vcc, 0, v15
	v_mov_b32_e32 v15, 0x7f800001
	v_cndmask_b32_e32 v5, v15, v5, vcc
; %bb.8105:                             ;   in Loop: Header=BB6_7611 Depth=3
	s_or_b64 exec, exec, s[36:37]
.LBB6_8106:                             ;   in Loop: Header=BB6_7611 Depth=3
	s_or_b64 exec, exec, s[34:35]
.LBB6_8107:                             ;   in Loop: Header=BB6_7611 Depth=3
	s_or_b64 exec, exec, s[28:29]
	v_mul_f32_e32 v7, v7, v5
	v_and_b32_e32 v16, 0x7f800000, v7
	v_mov_b32_e32 v17, v34
	v_cmp_ne_u64_e32 vcc, s[76:77], v[16:17]
	v_and_b32_e32 v15, 0x7fffff, v7
	v_mov_b32_e32 v16, v34
                                        ; implicit-def: $vgpr17
	s_and_saveexec_b64 s[28:29], vcc
	s_xor_b64 s[34:35], exec, s[28:29]
	s_cbranch_execz .LBB6_8125
; %bb.8108:                             ;   in Loop: Header=BB6_7611 Depth=3
	v_and_b32_e32 v30, 0x7fffffff, v7
	v_mov_b32_e32 v31, v34
	v_cmp_gt_u64_e32 vcc, s[78:79], v[30:31]
	v_and_b32_sdwa v5, v7, s44 dst_sel:DWORD dst_unused:UNUSED_PAD src0_sel:BYTE_3 src1_sel:DWORD
                                        ; implicit-def: $vgpr17
	s_and_saveexec_b64 s[28:29], vcc
	s_xor_b64 s[36:37], exec, s[28:29]
	s_cbranch_execz .LBB6_8122
; %bb.8109:                             ;   in Loop: Header=BB6_7611 Depth=3
	v_cmp_ne_u32_e32 vcc, 0, v7
	v_mov_b32_e32 v17, 0
	s_and_saveexec_b64 s[38:39], vcc
	s_cbranch_execz .LBB6_8121
; %bb.8110:                             ;   in Loop: Header=BB6_7611 Depth=3
	v_bfe_u32 v7, v7, 23, 8
	v_cmp_gt_u32_e64 s[28:29], s45, v7
	v_sub_u32_e32 v17, 0x71, v7
	v_cmp_eq_u32_e32 vcc, 0, v7
	v_cndmask_b32_e64 v17, 0, v17, s[28:29]
	v_mov_b32_e32 v25, 0x70
	v_cndmask_b32_e32 v25, v17, v25, vcc
	v_add_u32_e32 v17, 21, v25
	v_or_b32_e32 v28, 0x800000, v15
	v_lshlrev_b64 v[30:31], v17, -1
	v_cndmask_b32_e32 v15, v28, v15, vcc
	v_add_u32_e32 v17, 20, v25
	v_bfi_b32 v30, v30, 0, v15
	v_lshlrev_b64 v[35:36], v17, 1
	v_lshrrev_b64 v[15:16], v25, v[15:16]
	v_bfi_b32 v31, v31, 0, 0
	v_cmp_eq_u64_e64 s[28:29], v[30:31], v[35:36]
	v_mov_b32_e32 v17, v16
	v_mov_b32_e32 v16, v15
	s_and_saveexec_b64 s[48:49], s[28:29]
; %bb.8111:                             ;   in Loop: Header=BB6_7611 Depth=3
	v_bfe_u32 v16, v15, 21, 1
	v_add_co_u32_e64 v16, s[28:29], v15, v16
	v_add_co_u32_e64 v16, s[28:29], -1, v16
; %bb.8112:                             ;   in Loop: Header=BB6_7611 Depth=3
	s_or_b64 exec, exec, s[48:49]
	v_add_u32_e32 v7, 0xffffff81, v7
	v_mov_b32_e32 v17, 0xffffff82
	v_cndmask_b32_e32 v7, v7, v17, vcc
	v_lshrrev_b32_e32 v17, 23, v15
	v_add3_u32 v25, v25, v7, v17
	v_add_u32_e32 v17, 14, v25
	v_and_b32_e32 v7, 0x1fffff, v16
	v_add_u32_e32 v15, v7, v15
	v_mov_b32_e32 v16, v34
	v_cmp_ne_u32_e32 vcc, 0, v17
                                        ; implicit-def: $vgpr7
	s_and_saveexec_b64 s[28:29], vcc
	s_xor_b64 s[28:29], exec, s[28:29]
; %bb.8113:                             ;   in Loop: Header=BB6_7611 Depth=3
	v_cmp_lt_u64_e32 vcc, s[88:89], v[15:16]
	v_add_u32_e32 v7, 15, v25
	v_cndmask_b32_e32 v7, v17, v7, vcc
	v_cndmask_b32_e64 v17, 0, 1, vcc
	v_lshrrev_b64 v[15:16], v17, v[15:16]
; %bb.8114:                             ;   in Loop: Header=BB6_7611 Depth=3
	s_andn2_saveexec_b64 s[28:29], s[28:29]
; %bb.8115:                             ;   in Loop: Header=BB6_7611 Depth=3
	v_bfe_u32 v7, v15, 23, 1
; %bb.8116:                             ;   in Loop: Header=BB6_7611 Depth=3
	s_or_b64 exec, exec, s[28:29]
	v_lshrrev_b64 v[15:16], 21, v[15:16]
	v_cmp_gt_i32_e32 vcc, 32, v7
	v_cndmask_b32_e32 v16, 0, v16, vcc
	v_cndmask_b32_e32 v15, 3, v15, vcc
	v_cmp_ne_u64_e32 vcc, 0, v[15:16]
	v_cmp_ne_u32_e64 s[28:29], 0, v7
	s_or_b64 s[28:29], s[28:29], vcc
                                        ; implicit-def: $vgpr17
	s_and_saveexec_b64 vcc, s[28:29]
	s_xor_b64 s[28:29], exec, vcc
; %bb.8117:                             ;   in Loop: Header=BB6_7611 Depth=3
	v_min_i32_e32 v7, 31, v7
	v_lshl_or_b32 v5, v7, 2, v5
	v_and_or_b32 v17, v15, 3, v5
                                        ; implicit-def: $vgpr5
; %bb.8118:                             ;   in Loop: Header=BB6_7611 Depth=3
	s_andn2_saveexec_b64 s[28:29], s[28:29]
; %bb.8119:                             ;   in Loop: Header=BB6_7611 Depth=3
	v_mov_b32_e32 v17, v5
; %bb.8120:                             ;   in Loop: Header=BB6_7611 Depth=3
	s_or_b64 exec, exec, s[28:29]
.LBB6_8121:                             ;   in Loop: Header=BB6_7611 Depth=3
	s_or_b64 exec, exec, s[38:39]
                                        ; implicit-def: $vgpr5
.LBB6_8122:                             ;   in Loop: Header=BB6_7611 Depth=3
	s_andn2_saveexec_b64 s[28:29], s[36:37]
; %bb.8123:                             ;   in Loop: Header=BB6_7611 Depth=3
	v_or_b32_e32 v17, 0x7b, v5
; %bb.8124:                             ;   in Loop: Header=BB6_7611 Depth=3
	s_or_b64 exec, exec, s[28:29]
                                        ; implicit-def: $vgpr7
                                        ; implicit-def: $vgpr15_vgpr16
.LBB6_8125:                             ;   in Loop: Header=BB6_7611 Depth=3
	s_andn2_saveexec_b64 s[28:29], s[34:35]
	s_cbranch_execz .LBB6_8131
; %bb.8126:                             ;   in Loop: Header=BB6_7611 Depth=3
	v_cmp_ne_u64_e32 vcc, 0, v[15:16]
                                        ; implicit-def: $vgpr17
	s_and_saveexec_b64 s[34:35], vcc
	s_xor_b64 vcc, exec, s[34:35]
; %bb.8127:                             ;   in Loop: Header=BB6_7611 Depth=3
	v_or_b32_sdwa v17, v7, s83 dst_sel:DWORD dst_unused:UNUSED_PAD src0_sel:BYTE_3 src1_sel:DWORD
                                        ; implicit-def: $vgpr7
; %bb.8128:                             ;   in Loop: Header=BB6_7611 Depth=3
	s_andn2_saveexec_b64 s[34:35], vcc
; %bb.8129:                             ;   in Loop: Header=BB6_7611 Depth=3
	v_cmp_lt_i32_e32 vcc, -1, v7
	v_mov_b32_e32 v5, 0x7c
	v_cndmask_b32_e32 v17, -4, v5, vcc
; %bb.8130:                             ;   in Loop: Header=BB6_7611 Depth=3
	s_or_b64 exec, exec, s[34:35]
.LBB6_8131:                             ;   in Loop: Header=BB6_7611 Depth=3
	s_or_b64 exec, exec, s[28:29]
	v_cmp_ne_u16_e32 vcc, 0, v53
	v_mov_b32_e32 v5, 0
	v_mov_b32_e32 v7, 0
	s_and_saveexec_b64 s[28:29], vcc
	s_cbranch_execz .LBB6_8139
; %bb.8132:                             ;   in Loop: Header=BB6_7611 Depth=3
	v_cmp_ne_u16_e32 vcc, s80, v53
	v_bfrev_b32_e32 v7, 1
	s_and_saveexec_b64 s[34:35], vcc
	s_cbranch_execz .LBB6_8138
; %bb.8133:                             ;   in Loop: Header=BB6_7611 Depth=3
	v_and_b32_e32 v7, 0x7c, v53
	v_and_b32_e32 v15, 3, v53
	v_cmp_ne_u32_e32 vcc, s81, v7
                                        ; implicit-def: $vgpr7
	s_and_saveexec_b64 s[36:37], vcc
	s_xor_b64 s[36:37], exec, s[36:37]
	s_cbranch_execz .LBB6_8135
; %bb.8134:                             ;   in Loop: Header=BB6_7611 Depth=3
	v_ffbh_u32_e32 v16, v15
	v_min_u32_e32 v16, 32, v16
	v_and_b32_e32 v7, 0xff, v53
	v_mov_b32_e32 v54, v34
	v_subrev_u32_e32 v25, 29, v16
	v_bfe_u32 v7, v7, 2, 5
	v_lshlrev_b64 v[30:31], v25, v[53:54]
	v_sub_u32_e32 v16, 30, v16
	v_cmp_eq_u32_e32 vcc, 0, v7
	v_and_b32_e32 v25, 3, v30
	v_cndmask_b32_e32 v7, v7, v16, vcc
	v_and_b32_sdwa v16, sext(v53), s82 dst_sel:DWORD dst_unused:UNUSED_PAD src0_sel:WORD_0 src1_sel:DWORD
	v_cndmask_b32_e32 v15, v15, v25, vcc
	v_lshl_add_u32 v7, v7, 23, v16
	v_lshl_or_b32 v7, v15, 21, v7
	v_add_u32_e32 v7, 0x38000000, v7
                                        ; implicit-def: $vgpr15
                                        ; implicit-def: $vgpr53
.LBB6_8135:                             ;   in Loop: Header=BB6_7611 Depth=3
	s_andn2_saveexec_b64 s[36:37], s[36:37]
; %bb.8136:                             ;   in Loop: Header=BB6_7611 Depth=3
	v_cmp_lt_i16_e32 vcc, -1, v53
	v_mov_b32_e32 v7, 0xff800000
	v_mov_b32_e32 v16, 0x7f800000
	v_cndmask_b32_e32 v7, v7, v16, vcc
	v_cmp_eq_u32_e32 vcc, 0, v15
	v_mov_b32_e32 v15, 0x7f800001
	v_cndmask_b32_e32 v7, v15, v7, vcc
; %bb.8137:                             ;   in Loop: Header=BB6_7611 Depth=3
	s_or_b64 exec, exec, s[36:37]
.LBB6_8138:                             ;   in Loop: Header=BB6_7611 Depth=3
	s_or_b64 exec, exec, s[34:35]
.LBB6_8139:                             ;   in Loop: Header=BB6_7611 Depth=3
	s_or_b64 exec, exec, s[28:29]
	v_cmp_ne_u16_e32 vcc, 0, v14
	s_and_saveexec_b64 s[28:29], vcc
	s_cbranch_execz .LBB6_8147
; %bb.8140:                             ;   in Loop: Header=BB6_7611 Depth=3
	v_cmp_ne_u16_e32 vcc, s80, v14
	v_bfrev_b32_e32 v5, 1
	s_and_saveexec_b64 s[34:35], vcc
	s_cbranch_execz .LBB6_8146
; %bb.8141:                             ;   in Loop: Header=BB6_7611 Depth=3
	v_and_b32_e32 v5, 0x7c, v14
	v_and_b32_e32 v16, 3, v14
	v_cmp_ne_u32_e32 vcc, s81, v5
                                        ; implicit-def: $vgpr5
	s_and_saveexec_b64 s[36:37], vcc
	s_xor_b64 s[36:37], exec, s[36:37]
	s_cbranch_execz .LBB6_8143
; %bb.8142:                             ;   in Loop: Header=BB6_7611 Depth=3
	v_ffbh_u32_e32 v25, v16
	v_min_u32_e32 v25, 32, v25
	v_and_b32_e32 v5, 0xff, v14
	v_mov_b32_e32 v15, v34
	v_subrev_u32_e32 v28, 29, v25
	v_bfe_u32 v5, v5, 2, 5
	v_lshlrev_b64 v[30:31], v28, v[14:15]
	v_sub_u32_e32 v15, 30, v25
	v_cmp_eq_u32_e32 vcc, 0, v5
	v_and_b32_e32 v25, 3, v30
	v_cndmask_b32_e32 v5, v5, v15, vcc
	v_and_b32_sdwa v14, sext(v14), s82 dst_sel:DWORD dst_unused:UNUSED_PAD src0_sel:WORD_0 src1_sel:DWORD
	v_cndmask_b32_e32 v15, v16, v25, vcc
	v_lshl_add_u32 v5, v5, 23, v14
	v_lshl_or_b32 v5, v15, 21, v5
	v_add_u32_e32 v5, 0x38000000, v5
                                        ; implicit-def: $vgpr16
                                        ; implicit-def: $vgpr14
.LBB6_8143:                             ;   in Loop: Header=BB6_7611 Depth=3
	s_andn2_saveexec_b64 s[36:37], s[36:37]
; %bb.8144:                             ;   in Loop: Header=BB6_7611 Depth=3
	v_cmp_lt_i16_e32 vcc, -1, v14
	v_mov_b32_e32 v5, 0xff800000
	v_mov_b32_e32 v14, 0x7f800000
	v_cndmask_b32_e32 v5, v5, v14, vcc
	v_cmp_eq_u32_e32 vcc, 0, v16
	v_mov_b32_e32 v14, 0x7f800001
	v_cndmask_b32_e32 v5, v14, v5, vcc
; %bb.8145:                             ;   in Loop: Header=BB6_7611 Depth=3
	s_or_b64 exec, exec, s[36:37]
.LBB6_8146:                             ;   in Loop: Header=BB6_7611 Depth=3
	s_or_b64 exec, exec, s[34:35]
.LBB6_8147:                             ;   in Loop: Header=BB6_7611 Depth=3
	s_or_b64 exec, exec, s[28:29]
	v_mul_f32_e32 v7, v7, v5
	v_and_b32_e32 v15, 0x7f800000, v7
	v_mov_b32_e32 v16, v34
	v_cmp_ne_u64_e32 vcc, s[76:77], v[15:16]
	v_and_b32_e32 v14, 0x7fffff, v7
	v_mov_b32_e32 v15, v34
                                        ; implicit-def: $vgpr25
	s_and_saveexec_b64 s[28:29], vcc
	s_xor_b64 s[34:35], exec, s[28:29]
	s_cbranch_execz .LBB6_8165
; %bb.8148:                             ;   in Loop: Header=BB6_7611 Depth=3
	v_and_b32_e32 v30, 0x7fffffff, v7
	v_mov_b32_e32 v31, v34
	v_cmp_gt_u64_e32 vcc, s[78:79], v[30:31]
	v_and_b32_sdwa v5, v7, s44 dst_sel:DWORD dst_unused:UNUSED_PAD src0_sel:BYTE_3 src1_sel:DWORD
                                        ; implicit-def: $vgpr25
	s_and_saveexec_b64 s[28:29], vcc
	s_xor_b64 s[36:37], exec, s[28:29]
	s_cbranch_execz .LBB6_8162
; %bb.8149:                             ;   in Loop: Header=BB6_7611 Depth=3
	v_cmp_ne_u32_e32 vcc, 0, v7
	v_mov_b32_e32 v25, 0
	s_and_saveexec_b64 s[38:39], vcc
	s_cbranch_execz .LBB6_8161
; %bb.8150:                             ;   in Loop: Header=BB6_7611 Depth=3
	v_bfe_u32 v7, v7, 23, 8
	v_cmp_gt_u32_e64 s[28:29], s45, v7
	v_sub_u32_e32 v16, 0x71, v7
	v_cmp_eq_u32_e32 vcc, 0, v7
	v_cndmask_b32_e64 v16, 0, v16, s[28:29]
	v_mov_b32_e32 v25, 0x70
	v_cndmask_b32_e32 v25, v16, v25, vcc
	v_add_u32_e32 v16, 21, v25
	v_or_b32_e32 v28, 0x800000, v14
	v_lshlrev_b64 v[30:31], v16, -1
	v_cndmask_b32_e32 v14, v28, v14, vcc
	v_add_u32_e32 v16, 20, v25
	v_bfi_b32 v30, v30, 0, v14
	v_lshlrev_b64 v[35:36], v16, 1
	v_lshrrev_b64 v[14:15], v25, v[14:15]
	v_bfi_b32 v31, v31, 0, 0
	v_cmp_eq_u64_e64 s[28:29], v[30:31], v[35:36]
	v_mov_b32_e32 v16, v15
	v_mov_b32_e32 v15, v14
	s_and_saveexec_b64 s[48:49], s[28:29]
; %bb.8151:                             ;   in Loop: Header=BB6_7611 Depth=3
	v_bfe_u32 v15, v14, 21, 1
	v_add_co_u32_e64 v15, s[28:29], v14, v15
	v_add_co_u32_e64 v15, s[28:29], -1, v15
; %bb.8152:                             ;   in Loop: Header=BB6_7611 Depth=3
	s_or_b64 exec, exec, s[48:49]
	v_add_u32_e32 v7, 0xffffff81, v7
	v_mov_b32_e32 v16, 0xffffff82
	v_cndmask_b32_e32 v7, v7, v16, vcc
	v_lshrrev_b32_e32 v16, 23, v14
	v_add3_u32 v25, v25, v7, v16
	v_add_u32_e32 v16, 14, v25
	v_and_b32_e32 v7, 0x1fffff, v15
	v_add_u32_e32 v14, v7, v14
	v_mov_b32_e32 v15, v34
	v_cmp_ne_u32_e32 vcc, 0, v16
                                        ; implicit-def: $vgpr7
	s_and_saveexec_b64 s[28:29], vcc
	s_xor_b64 s[28:29], exec, s[28:29]
; %bb.8153:                             ;   in Loop: Header=BB6_7611 Depth=3
	v_cmp_lt_u64_e32 vcc, s[88:89], v[14:15]
	v_add_u32_e32 v7, 15, v25
	v_cndmask_b32_e32 v7, v16, v7, vcc
	v_cndmask_b32_e64 v16, 0, 1, vcc
	v_lshrrev_b64 v[14:15], v16, v[14:15]
; %bb.8154:                             ;   in Loop: Header=BB6_7611 Depth=3
	s_andn2_saveexec_b64 s[28:29], s[28:29]
; %bb.8155:                             ;   in Loop: Header=BB6_7611 Depth=3
	v_bfe_u32 v7, v14, 23, 1
; %bb.8156:                             ;   in Loop: Header=BB6_7611 Depth=3
	s_or_b64 exec, exec, s[28:29]
	v_lshrrev_b64 v[14:15], 21, v[14:15]
	v_cmp_gt_i32_e32 vcc, 32, v7
	v_cndmask_b32_e32 v15, 0, v15, vcc
	v_cndmask_b32_e32 v14, 3, v14, vcc
	v_cmp_ne_u64_e32 vcc, 0, v[14:15]
	v_cmp_ne_u32_e64 s[28:29], 0, v7
	s_or_b64 s[28:29], s[28:29], vcc
                                        ; implicit-def: $vgpr25
	s_and_saveexec_b64 vcc, s[28:29]
	s_xor_b64 s[28:29], exec, vcc
; %bb.8157:                             ;   in Loop: Header=BB6_7611 Depth=3
	v_min_i32_e32 v7, 31, v7
	v_lshl_or_b32 v5, v7, 2, v5
	v_and_or_b32 v25, v14, 3, v5
                                        ; implicit-def: $vgpr5
; %bb.8158:                             ;   in Loop: Header=BB6_7611 Depth=3
	s_andn2_saveexec_b64 s[28:29], s[28:29]
; %bb.8159:                             ;   in Loop: Header=BB6_7611 Depth=3
	v_mov_b32_e32 v25, v5
; %bb.8160:                             ;   in Loop: Header=BB6_7611 Depth=3
	s_or_b64 exec, exec, s[28:29]
.LBB6_8161:                             ;   in Loop: Header=BB6_7611 Depth=3
	s_or_b64 exec, exec, s[38:39]
                                        ; implicit-def: $vgpr5
.LBB6_8162:                             ;   in Loop: Header=BB6_7611 Depth=3
	s_andn2_saveexec_b64 s[28:29], s[36:37]
; %bb.8163:                             ;   in Loop: Header=BB6_7611 Depth=3
	v_or_b32_e32 v25, 0x7b, v5
; %bb.8164:                             ;   in Loop: Header=BB6_7611 Depth=3
	s_or_b64 exec, exec, s[28:29]
                                        ; implicit-def: $vgpr7
                                        ; implicit-def: $vgpr14_vgpr15
.LBB6_8165:                             ;   in Loop: Header=BB6_7611 Depth=3
	s_andn2_saveexec_b64 s[28:29], s[34:35]
	s_cbranch_execz .LBB6_8171
; %bb.8166:                             ;   in Loop: Header=BB6_7611 Depth=3
	v_cmp_ne_u64_e32 vcc, 0, v[14:15]
                                        ; implicit-def: $vgpr25
	s_and_saveexec_b64 s[34:35], vcc
	s_xor_b64 vcc, exec, s[34:35]
; %bb.8167:                             ;   in Loop: Header=BB6_7611 Depth=3
	v_or_b32_sdwa v25, v7, s83 dst_sel:DWORD dst_unused:UNUSED_PAD src0_sel:BYTE_3 src1_sel:DWORD
                                        ; implicit-def: $vgpr7
; %bb.8168:                             ;   in Loop: Header=BB6_7611 Depth=3
	s_andn2_saveexec_b64 s[34:35], vcc
; %bb.8169:                             ;   in Loop: Header=BB6_7611 Depth=3
	v_cmp_lt_i32_e32 vcc, -1, v7
	v_mov_b32_e32 v5, 0x7c
	v_cndmask_b32_e32 v25, -4, v5, vcc
; %bb.8170:                             ;   in Loop: Header=BB6_7611 Depth=3
	s_or_b64 exec, exec, s[34:35]
.LBB6_8171:                             ;   in Loop: Header=BB6_7611 Depth=3
	s_or_b64 exec, exec, s[28:29]
	v_cmp_ne_u16_e32 vcc, 0, v42
	v_mov_b32_e32 v5, 0
	v_mov_b32_e32 v7, 0
	s_and_saveexec_b64 s[28:29], vcc
	s_cbranch_execz .LBB6_8179
; %bb.8172:                             ;   in Loop: Header=BB6_7611 Depth=3
	v_cmp_ne_u16_e32 vcc, s80, v42
	v_bfrev_b32_e32 v7, 1
	s_and_saveexec_b64 s[34:35], vcc
	s_cbranch_execz .LBB6_8178
; %bb.8173:                             ;   in Loop: Header=BB6_7611 Depth=3
	v_and_b32_e32 v7, 0x7c, v42
	v_and_b32_e32 v14, 3, v42
	v_cmp_ne_u32_e32 vcc, s81, v7
                                        ; implicit-def: $vgpr7
	s_and_saveexec_b64 s[36:37], vcc
	s_xor_b64 s[36:37], exec, s[36:37]
	s_cbranch_execz .LBB6_8175
; %bb.8174:                             ;   in Loop: Header=BB6_7611 Depth=3
	v_ffbh_u32_e32 v15, v14
	v_min_u32_e32 v28, 32, v15
	v_mov_b32_e32 v43, v34
	v_subrev_u32_e32 v15, 29, v28
	v_and_b32_e32 v7, 0xff, v42
	v_lshlrev_b64 v[15:16], v15, v[42:43]
	v_bfe_u32 v7, v7, 2, 5
	v_sub_u32_e32 v16, 30, v28
	v_and_b32_e32 v15, 3, v15
	v_cmp_eq_u32_e32 vcc, 0, v7
	v_cndmask_b32_e32 v7, v7, v16, vcc
	v_cndmask_b32_e32 v14, v14, v15, vcc
	v_and_b32_sdwa v15, sext(v42), s82 dst_sel:DWORD dst_unused:UNUSED_PAD src0_sel:WORD_0 src1_sel:DWORD
	v_lshl_add_u32 v7, v7, 23, v15
	v_lshl_or_b32 v7, v14, 21, v7
	v_add_u32_e32 v7, 0x38000000, v7
                                        ; implicit-def: $vgpr14
                                        ; implicit-def: $vgpr42
.LBB6_8175:                             ;   in Loop: Header=BB6_7611 Depth=3
	s_andn2_saveexec_b64 s[36:37], s[36:37]
; %bb.8176:                             ;   in Loop: Header=BB6_7611 Depth=3
	v_cmp_lt_i16_e32 vcc, -1, v42
	v_mov_b32_e32 v7, 0xff800000
	v_mov_b32_e32 v15, 0x7f800000
	v_cndmask_b32_e32 v7, v7, v15, vcc
	v_cmp_eq_u32_e32 vcc, 0, v14
	v_mov_b32_e32 v14, 0x7f800001
	v_cndmask_b32_e32 v7, v14, v7, vcc
; %bb.8177:                             ;   in Loop: Header=BB6_7611 Depth=3
	s_or_b64 exec, exec, s[36:37]
.LBB6_8178:                             ;   in Loop: Header=BB6_7611 Depth=3
	s_or_b64 exec, exec, s[34:35]
.LBB6_8179:                             ;   in Loop: Header=BB6_7611 Depth=3
	s_or_b64 exec, exec, s[28:29]
	v_cmp_ne_u16_e32 vcc, 0, v27
	s_and_saveexec_b64 s[28:29], vcc
	s_cbranch_execz .LBB6_8187
; %bb.8180:                             ;   in Loop: Header=BB6_7611 Depth=3
	v_cmp_ne_u16_e32 vcc, s80, v27
	v_bfrev_b32_e32 v5, 1
	s_and_saveexec_b64 s[34:35], vcc
	s_cbranch_execz .LBB6_8186
; %bb.8181:                             ;   in Loop: Header=BB6_7611 Depth=3
	v_and_b32_e32 v5, 0x7c, v27
	v_and_b32_e32 v14, 3, v27
	v_cmp_ne_u32_e32 vcc, s81, v5
                                        ; implicit-def: $vgpr5
	s_and_saveexec_b64 s[36:37], vcc
	s_xor_b64 s[36:37], exec, s[36:37]
	s_cbranch_execz .LBB6_8183
; %bb.8182:                             ;   in Loop: Header=BB6_7611 Depth=3
	v_ffbh_u32_e32 v15, v14
	v_min_u32_e32 v30, 32, v15
	v_mov_b32_e32 v28, v34
	v_subrev_u32_e32 v15, 29, v30
	v_and_b32_e32 v5, 0xff, v27
	v_lshlrev_b64 v[15:16], v15, v[27:28]
	v_bfe_u32 v5, v5, 2, 5
	v_sub_u32_e32 v16, 30, v30
	v_and_b32_e32 v15, 3, v15
	v_cmp_eq_u32_e32 vcc, 0, v5
	v_cndmask_b32_e32 v5, v5, v16, vcc
	v_cndmask_b32_e32 v14, v14, v15, vcc
	v_and_b32_sdwa v15, sext(v27), s82 dst_sel:DWORD dst_unused:UNUSED_PAD src0_sel:WORD_0 src1_sel:DWORD
	v_lshl_add_u32 v5, v5, 23, v15
	v_lshl_or_b32 v5, v14, 21, v5
	v_add_u32_e32 v5, 0x38000000, v5
                                        ; implicit-def: $vgpr14
                                        ; implicit-def: $vgpr27
.LBB6_8183:                             ;   in Loop: Header=BB6_7611 Depth=3
	s_andn2_saveexec_b64 s[36:37], s[36:37]
; %bb.8184:                             ;   in Loop: Header=BB6_7611 Depth=3
	v_cmp_lt_i16_e32 vcc, -1, v27
	v_mov_b32_e32 v5, 0xff800000
	v_mov_b32_e32 v15, 0x7f800000
	v_cndmask_b32_e32 v5, v5, v15, vcc
	v_cmp_eq_u32_e32 vcc, 0, v14
	v_mov_b32_e32 v14, 0x7f800001
	v_cndmask_b32_e32 v5, v14, v5, vcc
; %bb.8185:                             ;   in Loop: Header=BB6_7611 Depth=3
	s_or_b64 exec, exec, s[36:37]
.LBB6_8186:                             ;   in Loop: Header=BB6_7611 Depth=3
	s_or_b64 exec, exec, s[34:35]
.LBB6_8187:                             ;   in Loop: Header=BB6_7611 Depth=3
	s_or_b64 exec, exec, s[28:29]
	v_mul_f32_e32 v7, v7, v5
	v_and_b32_e32 v15, 0x7f800000, v7
	v_mov_b32_e32 v16, v34
	v_cmp_ne_u64_e32 vcc, s[76:77], v[15:16]
	v_and_b32_e32 v14, 0x7fffff, v7
	v_mov_b32_e32 v15, v34
                                        ; implicit-def: $vgpr16
	s_and_saveexec_b64 s[28:29], vcc
	s_xor_b64 s[34:35], exec, s[28:29]
	s_cbranch_execz .LBB6_8205
; %bb.8188:                             ;   in Loop: Header=BB6_7611 Depth=3
	v_and_b32_e32 v27, 0x7fffffff, v7
	v_mov_b32_e32 v28, v34
	v_cmp_gt_u64_e32 vcc, s[78:79], v[27:28]
	v_and_b32_sdwa v5, v7, s44 dst_sel:DWORD dst_unused:UNUSED_PAD src0_sel:BYTE_3 src1_sel:DWORD
                                        ; implicit-def: $vgpr16
	s_and_saveexec_b64 s[28:29], vcc
	s_xor_b64 s[36:37], exec, s[28:29]
	s_cbranch_execz .LBB6_8202
; %bb.8189:                             ;   in Loop: Header=BB6_7611 Depth=3
	v_cmp_ne_u32_e32 vcc, 0, v7
	v_mov_b32_e32 v16, 0
	s_and_saveexec_b64 s[38:39], vcc
	s_cbranch_execz .LBB6_8201
; %bb.8190:                             ;   in Loop: Header=BB6_7611 Depth=3
	v_bfe_u32 v7, v7, 23, 8
	v_cmp_gt_u32_e64 s[28:29], s45, v7
	v_sub_u32_e32 v16, 0x71, v7
	v_cmp_eq_u32_e32 vcc, 0, v7
	v_cndmask_b32_e64 v16, 0, v16, s[28:29]
	v_mov_b32_e32 v27, 0x70
	v_cndmask_b32_e32 v27, v16, v27, vcc
	v_add_u32_e32 v16, 21, v27
	v_or_b32_e32 v28, 0x800000, v14
	v_lshlrev_b64 v[30:31], v16, -1
	v_cndmask_b32_e32 v14, v28, v14, vcc
	v_add_u32_e32 v16, 20, v27
	v_bfi_b32 v30, v30, 0, v14
	v_lshlrev_b64 v[35:36], v16, 1
	v_lshrrev_b64 v[14:15], v27, v[14:15]
	v_bfi_b32 v31, v31, 0, 0
	v_cmp_eq_u64_e64 s[28:29], v[30:31], v[35:36]
	v_mov_b32_e32 v16, v15
	v_mov_b32_e32 v15, v14
	s_and_saveexec_b64 s[48:49], s[28:29]
; %bb.8191:                             ;   in Loop: Header=BB6_7611 Depth=3
	v_bfe_u32 v15, v14, 21, 1
	v_add_co_u32_e64 v15, s[28:29], v14, v15
	v_add_co_u32_e64 v15, s[28:29], -1, v15
; %bb.8192:                             ;   in Loop: Header=BB6_7611 Depth=3
	s_or_b64 exec, exec, s[48:49]
	v_add_u32_e32 v7, 0xffffff81, v7
	v_mov_b32_e32 v16, 0xffffff82
	v_cndmask_b32_e32 v7, v7, v16, vcc
	v_lshrrev_b32_e32 v16, 23, v14
	v_add3_u32 v27, v27, v7, v16
	v_add_u32_e32 v16, 14, v27
	v_and_b32_e32 v7, 0x1fffff, v15
	v_add_u32_e32 v14, v7, v14
	v_mov_b32_e32 v15, v34
	v_cmp_ne_u32_e32 vcc, 0, v16
                                        ; implicit-def: $vgpr7
	s_and_saveexec_b64 s[28:29], vcc
	s_xor_b64 s[28:29], exec, s[28:29]
; %bb.8193:                             ;   in Loop: Header=BB6_7611 Depth=3
	v_cmp_lt_u64_e32 vcc, s[88:89], v[14:15]
	v_add_u32_e32 v7, 15, v27
	v_cndmask_b32_e32 v7, v16, v7, vcc
	v_cndmask_b32_e64 v16, 0, 1, vcc
	v_lshrrev_b64 v[14:15], v16, v[14:15]
; %bb.8194:                             ;   in Loop: Header=BB6_7611 Depth=3
	s_andn2_saveexec_b64 s[28:29], s[28:29]
; %bb.8195:                             ;   in Loop: Header=BB6_7611 Depth=3
	v_bfe_u32 v7, v14, 23, 1
; %bb.8196:                             ;   in Loop: Header=BB6_7611 Depth=3
	s_or_b64 exec, exec, s[28:29]
	v_lshrrev_b64 v[14:15], 21, v[14:15]
	v_cmp_gt_i32_e32 vcc, 32, v7
	v_cndmask_b32_e32 v15, 0, v15, vcc
	v_cndmask_b32_e32 v14, 3, v14, vcc
	v_cmp_ne_u64_e32 vcc, 0, v[14:15]
	v_cmp_ne_u32_e64 s[28:29], 0, v7
	s_or_b64 s[28:29], s[28:29], vcc
                                        ; implicit-def: $vgpr16
	s_and_saveexec_b64 vcc, s[28:29]
	s_xor_b64 s[28:29], exec, vcc
; %bb.8197:                             ;   in Loop: Header=BB6_7611 Depth=3
	v_min_i32_e32 v7, 31, v7
	v_lshl_or_b32 v5, v7, 2, v5
	v_and_or_b32 v16, v14, 3, v5
                                        ; implicit-def: $vgpr5
; %bb.8198:                             ;   in Loop: Header=BB6_7611 Depth=3
	s_andn2_saveexec_b64 s[28:29], s[28:29]
; %bb.8199:                             ;   in Loop: Header=BB6_7611 Depth=3
	v_mov_b32_e32 v16, v5
; %bb.8200:                             ;   in Loop: Header=BB6_7611 Depth=3
	s_or_b64 exec, exec, s[28:29]
.LBB6_8201:                             ;   in Loop: Header=BB6_7611 Depth=3
	s_or_b64 exec, exec, s[38:39]
                                        ; implicit-def: $vgpr5
.LBB6_8202:                             ;   in Loop: Header=BB6_7611 Depth=3
	s_andn2_saveexec_b64 s[28:29], s[36:37]
; %bb.8203:                             ;   in Loop: Header=BB6_7611 Depth=3
	v_or_b32_e32 v16, 0x7b, v5
; %bb.8204:                             ;   in Loop: Header=BB6_7611 Depth=3
	s_or_b64 exec, exec, s[28:29]
                                        ; implicit-def: $vgpr7
                                        ; implicit-def: $vgpr14_vgpr15
.LBB6_8205:                             ;   in Loop: Header=BB6_7611 Depth=3
	s_andn2_saveexec_b64 s[28:29], s[34:35]
	s_cbranch_execz .LBB6_8211
; %bb.8206:                             ;   in Loop: Header=BB6_7611 Depth=3
	v_cmp_ne_u64_e32 vcc, 0, v[14:15]
                                        ; implicit-def: $vgpr16
	s_and_saveexec_b64 s[34:35], vcc
	s_xor_b64 vcc, exec, s[34:35]
; %bb.8207:                             ;   in Loop: Header=BB6_7611 Depth=3
	v_or_b32_sdwa v16, v7, s83 dst_sel:DWORD dst_unused:UNUSED_PAD src0_sel:BYTE_3 src1_sel:DWORD
                                        ; implicit-def: $vgpr7
; %bb.8208:                             ;   in Loop: Header=BB6_7611 Depth=3
	s_andn2_saveexec_b64 s[34:35], vcc
; %bb.8209:                             ;   in Loop: Header=BB6_7611 Depth=3
	v_cmp_lt_i32_e32 vcc, -1, v7
	v_mov_b32_e32 v5, 0x7c
	v_cndmask_b32_e32 v16, -4, v5, vcc
; %bb.8210:                             ;   in Loop: Header=BB6_7611 Depth=3
	s_or_b64 exec, exec, s[34:35]
.LBB6_8211:                             ;   in Loop: Header=BB6_7611 Depth=3
	s_or_b64 exec, exec, s[28:29]
	v_cmp_ne_u16_e32 vcc, 0, v4
	v_mov_b32_e32 v7, 0
	v_mov_b32_e32 v5, 0
	s_and_saveexec_b64 s[28:29], vcc
	s_cbranch_execz .LBB6_8219
; %bb.8212:                             ;   in Loop: Header=BB6_7611 Depth=3
	v_cmp_ne_u16_e32 vcc, s80, v4
	v_bfrev_b32_e32 v5, 1
	s_and_saveexec_b64 s[34:35], vcc
	s_cbranch_execz .LBB6_8218
; %bb.8213:                             ;   in Loop: Header=BB6_7611 Depth=3
	v_and_b32_e32 v5, 0x7c, v4
	v_and_b32_e32 v14, 3, v4
	v_cmp_ne_u32_e32 vcc, s81, v5
                                        ; implicit-def: $vgpr5
	s_and_saveexec_b64 s[36:37], vcc
	s_xor_b64 s[36:37], exec, s[36:37]
	s_cbranch_execz .LBB6_8215
; %bb.8214:                             ;   in Loop: Header=BB6_7611 Depth=3
	v_ffbh_u32_e32 v27, v14
	v_min_u32_e32 v30, 32, v27
	v_and_b32_e32 v15, 0xff, v4
	v_mov_b32_e32 v5, v34
	v_subrev_u32_e32 v27, 29, v30
	v_bfe_u32 v15, v15, 2, 5
	v_lshlrev_b64 v[27:28], v27, v[4:5]
	v_sub_u32_e32 v5, 30, v30
	v_cmp_eq_u32_e32 vcc, 0, v15
	v_and_b32_e32 v27, 3, v27
	v_cndmask_b32_e32 v5, v15, v5, vcc
	v_and_b32_sdwa v4, sext(v4), s82 dst_sel:DWORD dst_unused:UNUSED_PAD src0_sel:WORD_0 src1_sel:DWORD
	v_cndmask_b32_e32 v14, v14, v27, vcc
	v_lshl_add_u32 v4, v5, 23, v4
	v_lshl_or_b32 v4, v14, 21, v4
	v_add_u32_e32 v5, 0x38000000, v4
                                        ; implicit-def: $vgpr14
                                        ; implicit-def: $vgpr4
.LBB6_8215:                             ;   in Loop: Header=BB6_7611 Depth=3
	s_andn2_saveexec_b64 s[36:37], s[36:37]
; %bb.8216:                             ;   in Loop: Header=BB6_7611 Depth=3
	v_cmp_lt_i16_e32 vcc, -1, v4
	v_mov_b32_e32 v4, 0xff800000
	v_mov_b32_e32 v5, 0x7f800000
	v_cndmask_b32_e32 v4, v4, v5, vcc
	v_cmp_eq_u32_e32 vcc, 0, v14
	v_mov_b32_e32 v5, 0x7f800001
	v_cndmask_b32_e32 v5, v5, v4, vcc
; %bb.8217:                             ;   in Loop: Header=BB6_7611 Depth=3
	s_or_b64 exec, exec, s[36:37]
.LBB6_8218:                             ;   in Loop: Header=BB6_7611 Depth=3
	s_or_b64 exec, exec, s[34:35]
.LBB6_8219:                             ;   in Loop: Header=BB6_7611 Depth=3
	s_or_b64 exec, exec, s[28:29]
	v_cmp_ne_u16_e32 vcc, 0, v6
	s_and_saveexec_b64 s[28:29], vcc
	s_cbranch_execz .LBB6_8227
; %bb.8220:                             ;   in Loop: Header=BB6_7611 Depth=3
	v_cmp_ne_u16_e32 vcc, s80, v6
	v_bfrev_b32_e32 v7, 1
	s_and_saveexec_b64 s[34:35], vcc
	s_cbranch_execz .LBB6_8226
; %bb.8221:                             ;   in Loop: Header=BB6_7611 Depth=3
	v_and_b32_e32 v7, 0x7c, v6
	v_and_b32_e32 v4, 3, v6
	v_cmp_ne_u32_e32 vcc, s81, v7
                                        ; implicit-def: $vgpr7
	s_and_saveexec_b64 s[36:37], vcc
	s_xor_b64 s[36:37], exec, s[36:37]
	s_cbranch_execz .LBB6_8223
; %bb.8222:                             ;   in Loop: Header=BB6_7611 Depth=3
	v_and_b32_e32 v14, 0xff, v6
	v_bfe_u32 v27, v14, 2, 5
	v_ffbh_u32_e32 v14, v4
	v_min_u32_e32 v28, 32, v14
	v_mov_b32_e32 v7, v34
	v_subrev_u32_e32 v14, 29, v28
	v_lshlrev_b64 v[14:15], v14, v[6:7]
	v_sub_u32_e32 v7, 30, v28
	v_cmp_eq_u32_e32 vcc, 0, v27
	v_and_b32_e32 v14, 3, v14
	v_cndmask_b32_e32 v7, v27, v7, vcc
	v_and_b32_sdwa v6, sext(v6), s82 dst_sel:DWORD dst_unused:UNUSED_PAD src0_sel:WORD_0 src1_sel:DWORD
	v_cndmask_b32_e32 v4, v4, v14, vcc
	v_lshl_add_u32 v6, v7, 23, v6
	v_lshl_or_b32 v4, v4, 21, v6
	v_add_u32_e32 v7, 0x38000000, v4
                                        ; implicit-def: $vgpr4
                                        ; implicit-def: $vgpr6
.LBB6_8223:                             ;   in Loop: Header=BB6_7611 Depth=3
	s_andn2_saveexec_b64 s[36:37], s[36:37]
; %bb.8224:                             ;   in Loop: Header=BB6_7611 Depth=3
	v_cmp_lt_i16_e32 vcc, -1, v6
	v_mov_b32_e32 v6, 0xff800000
	v_mov_b32_e32 v7, 0x7f800000
	v_cndmask_b32_e32 v6, v6, v7, vcc
	v_cmp_eq_u32_e32 vcc, 0, v4
	v_mov_b32_e32 v4, 0x7f800001
	v_cndmask_b32_e32 v7, v4, v6, vcc
; %bb.8225:                             ;   in Loop: Header=BB6_7611 Depth=3
	s_or_b64 exec, exec, s[36:37]
.LBB6_8226:                             ;   in Loop: Header=BB6_7611 Depth=3
	s_or_b64 exec, exec, s[34:35]
.LBB6_8227:                             ;   in Loop: Header=BB6_7611 Depth=3
	s_or_b64 exec, exec, s[28:29]
	v_mul_f32_e32 v6, v5, v7
	v_and_b32_e32 v14, 0x7f800000, v6
	v_mov_b32_e32 v15, v34
	v_cmp_ne_u64_e32 vcc, s[76:77], v[14:15]
	v_and_b32_e32 v4, 0x7fffff, v6
	v_mov_b32_e32 v5, v34
                                        ; implicit-def: $vgpr7
	s_and_saveexec_b64 s[28:29], vcc
	s_xor_b64 s[34:35], exec, s[28:29]
	s_cbranch_execz .LBB6_8245
; %bb.8228:                             ;   in Loop: Header=BB6_7611 Depth=3
	v_and_b32_e32 v14, 0x7fffffff, v6
	v_mov_b32_e32 v15, v34
	v_cmp_gt_u64_e32 vcc, s[78:79], v[14:15]
	v_and_b32_sdwa v14, v6, s44 dst_sel:DWORD dst_unused:UNUSED_PAD src0_sel:BYTE_3 src1_sel:DWORD
                                        ; implicit-def: $vgpr7
	s_and_saveexec_b64 s[28:29], vcc
	s_xor_b64 s[36:37], exec, s[28:29]
	s_cbranch_execz .LBB6_8242
; %bb.8229:                             ;   in Loop: Header=BB6_7611 Depth=3
	v_cmp_ne_u32_e32 vcc, 0, v6
	v_mov_b32_e32 v7, 0
	s_and_saveexec_b64 s[38:39], vcc
	s_cbranch_execz .LBB6_8241
; %bb.8230:                             ;   in Loop: Header=BB6_7611 Depth=3
	v_bfe_u32 v7, v6, 23, 8
	v_cmp_gt_u32_e64 s[28:29], s45, v7
	v_sub_u32_e32 v6, 0x71, v7
	v_cmp_eq_u32_e32 vcc, 0, v7
	v_cndmask_b32_e64 v6, 0, v6, s[28:29]
	v_mov_b32_e32 v15, 0x70
	v_cndmask_b32_e32 v15, v6, v15, vcc
	v_or_b32_e32 v27, 0x800000, v4
	v_add_u32_e32 v6, 21, v15
	v_cndmask_b32_e32 v4, v27, v4, vcc
	v_lshlrev_b64 v[27:28], v6, -1
	v_add_u32_e32 v6, 20, v15
	v_bfi_b32 v27, v27, 0, v4
	v_lshlrev_b64 v[30:31], v6, 1
	v_lshrrev_b64 v[4:5], v15, v[4:5]
	v_bfi_b32 v28, v28, 0, 0
	v_cmp_eq_u64_e64 s[28:29], v[27:28], v[30:31]
	v_mov_b32_e32 v6, v5
	v_mov_b32_e32 v5, v4
	s_and_saveexec_b64 s[48:49], s[28:29]
; %bb.8231:                             ;   in Loop: Header=BB6_7611 Depth=3
	v_bfe_u32 v5, v4, 21, 1
	v_add_co_u32_e64 v5, s[28:29], v4, v5
	v_add_co_u32_e64 v5, s[28:29], -1, v5
; %bb.8232:                             ;   in Loop: Header=BB6_7611 Depth=3
	s_or_b64 exec, exec, s[48:49]
	v_add_u32_e32 v6, 0xffffff81, v7
	v_mov_b32_e32 v7, 0xffffff82
	v_cndmask_b32_e32 v6, v6, v7, vcc
	v_lshrrev_b32_e32 v7, 23, v4
	v_add3_u32 v15, v15, v6, v7
	v_add_u32_e32 v7, 14, v15
	v_and_b32_e32 v5, 0x1fffff, v5
	v_add_u32_e32 v4, v5, v4
	v_mov_b32_e32 v5, v34
	v_cmp_ne_u32_e32 vcc, 0, v7
                                        ; implicit-def: $vgpr6
	s_and_saveexec_b64 s[28:29], vcc
	s_xor_b64 s[28:29], exec, s[28:29]
; %bb.8233:                             ;   in Loop: Header=BB6_7611 Depth=3
	v_cmp_lt_u64_e32 vcc, s[88:89], v[4:5]
	v_add_u32_e32 v6, 15, v15
	v_cndmask_b32_e32 v6, v7, v6, vcc
	v_cndmask_b32_e64 v7, 0, 1, vcc
	v_lshrrev_b64 v[4:5], v7, v[4:5]
; %bb.8234:                             ;   in Loop: Header=BB6_7611 Depth=3
	s_andn2_saveexec_b64 s[28:29], s[28:29]
; %bb.8235:                             ;   in Loop: Header=BB6_7611 Depth=3
	v_bfe_u32 v6, v4, 23, 1
; %bb.8236:                             ;   in Loop: Header=BB6_7611 Depth=3
	s_or_b64 exec, exec, s[28:29]
	v_lshrrev_b64 v[4:5], 21, v[4:5]
	v_cmp_gt_i32_e32 vcc, 32, v6
	v_cndmask_b32_e32 v5, 0, v5, vcc
	v_cndmask_b32_e32 v4, 3, v4, vcc
	v_cmp_ne_u64_e32 vcc, 0, v[4:5]
	v_cmp_ne_u32_e64 s[28:29], 0, v6
	s_or_b64 s[28:29], s[28:29], vcc
                                        ; implicit-def: $vgpr7
	s_and_saveexec_b64 vcc, s[28:29]
	s_xor_b64 s[28:29], exec, vcc
; %bb.8237:                             ;   in Loop: Header=BB6_7611 Depth=3
	v_min_i32_e32 v5, 31, v6
	v_lshl_or_b32 v5, v5, 2, v14
	v_and_or_b32 v7, v4, 3, v5
                                        ; implicit-def: $vgpr14
; %bb.8238:                             ;   in Loop: Header=BB6_7611 Depth=3
	s_andn2_saveexec_b64 s[28:29], s[28:29]
; %bb.8239:                             ;   in Loop: Header=BB6_7611 Depth=3
	v_mov_b32_e32 v7, v14
; %bb.8240:                             ;   in Loop: Header=BB6_7611 Depth=3
	s_or_b64 exec, exec, s[28:29]
.LBB6_8241:                             ;   in Loop: Header=BB6_7611 Depth=3
	s_or_b64 exec, exec, s[38:39]
                                        ; implicit-def: $vgpr14
.LBB6_8242:                             ;   in Loop: Header=BB6_7611 Depth=3
	s_andn2_saveexec_b64 s[28:29], s[36:37]
; %bb.8243:                             ;   in Loop: Header=BB6_7611 Depth=3
	v_or_b32_e32 v7, 0x7b, v14
; %bb.8244:                             ;   in Loop: Header=BB6_7611 Depth=3
	s_or_b64 exec, exec, s[28:29]
                                        ; implicit-def: $vgpr6
                                        ; implicit-def: $vgpr4_vgpr5
.LBB6_8245:                             ;   in Loop: Header=BB6_7611 Depth=3
	s_andn2_saveexec_b64 s[28:29], s[34:35]
	s_cbranch_execz .LBB6_8251
; %bb.8246:                             ;   in Loop: Header=BB6_7611 Depth=3
	v_cmp_ne_u64_e32 vcc, 0, v[4:5]
                                        ; implicit-def: $vgpr7
	s_and_saveexec_b64 s[34:35], vcc
	s_xor_b64 vcc, exec, s[34:35]
; %bb.8247:                             ;   in Loop: Header=BB6_7611 Depth=3
	v_or_b32_sdwa v7, v6, s83 dst_sel:DWORD dst_unused:UNUSED_PAD src0_sel:BYTE_3 src1_sel:DWORD
                                        ; implicit-def: $vgpr6
; %bb.8248:                             ;   in Loop: Header=BB6_7611 Depth=3
	s_andn2_saveexec_b64 s[34:35], vcc
; %bb.8249:                             ;   in Loop: Header=BB6_7611 Depth=3
	v_cmp_lt_i32_e32 vcc, -1, v6
	v_mov_b32_e32 v4, 0x7c
	v_cndmask_b32_e32 v7, -4, v4, vcc
; %bb.8250:                             ;   in Loop: Header=BB6_7611 Depth=3
	s_or_b64 exec, exec, s[34:35]
.LBB6_8251:                             ;   in Loop: Header=BB6_7611 Depth=3
	s_or_b64 exec, exec, s[28:29]
	v_cmp_ne_u16_e32 vcc, 0, v60
	v_mov_b32_e32 v4, 0
	v_mov_b32_e32 v5, 0
	s_and_saveexec_b64 s[28:29], vcc
	s_cbranch_execz .LBB6_8259
; %bb.8252:                             ;   in Loop: Header=BB6_7611 Depth=3
	v_cmp_ne_u16_e32 vcc, s80, v60
	v_bfrev_b32_e32 v5, 1
	s_and_saveexec_b64 s[34:35], vcc
	s_cbranch_execz .LBB6_8258
; %bb.8253:                             ;   in Loop: Header=BB6_7611 Depth=3
	v_and_b32_e32 v5, 0x7c, v60
	v_and_b32_e32 v6, 3, v60
	v_cmp_ne_u32_e32 vcc, s81, v5
                                        ; implicit-def: $vgpr5
	s_and_saveexec_b64 s[36:37], vcc
	s_xor_b64 s[36:37], exec, s[36:37]
	s_cbranch_execz .LBB6_8255
; %bb.8254:                             ;   in Loop: Header=BB6_7611 Depth=3
	v_ffbh_u32_e32 v14, v6
	v_min_u32_e32 v27, 32, v14
	v_mov_b32_e32 v61, v34
	v_subrev_u32_e32 v14, 29, v27
	v_and_b32_e32 v5, 0xff, v60
	v_lshlrev_b64 v[14:15], v14, v[60:61]
	v_bfe_u32 v5, v5, 2, 5
	v_sub_u32_e32 v15, 30, v27
	v_and_b32_e32 v14, 3, v14
	v_cmp_eq_u32_e32 vcc, 0, v5
	v_cndmask_b32_e32 v5, v5, v15, vcc
	v_cndmask_b32_e32 v6, v6, v14, vcc
	v_and_b32_sdwa v14, sext(v60), s82 dst_sel:DWORD dst_unused:UNUSED_PAD src0_sel:WORD_0 src1_sel:DWORD
	v_lshl_add_u32 v5, v5, 23, v14
	v_lshl_or_b32 v5, v6, 21, v5
	v_add_u32_e32 v5, 0x38000000, v5
                                        ; implicit-def: $vgpr6
                                        ; implicit-def: $vgpr60
.LBB6_8255:                             ;   in Loop: Header=BB6_7611 Depth=3
	s_andn2_saveexec_b64 s[36:37], s[36:37]
; %bb.8256:                             ;   in Loop: Header=BB6_7611 Depth=3
	v_cmp_lt_i16_e32 vcc, -1, v60
	v_mov_b32_e32 v5, 0xff800000
	v_mov_b32_e32 v14, 0x7f800000
	v_cndmask_b32_e32 v5, v5, v14, vcc
	v_cmp_eq_u32_e32 vcc, 0, v6
	v_mov_b32_e32 v6, 0x7f800001
	v_cndmask_b32_e32 v5, v6, v5, vcc
; %bb.8257:                             ;   in Loop: Header=BB6_7611 Depth=3
	s_or_b64 exec, exec, s[36:37]
.LBB6_8258:                             ;   in Loop: Header=BB6_7611 Depth=3
	s_or_b64 exec, exec, s[34:35]
.LBB6_8259:                             ;   in Loop: Header=BB6_7611 Depth=3
	s_or_b64 exec, exec, s[28:29]
	v_cmp_ne_u16_e32 vcc, 0, v59
	s_and_saveexec_b64 s[28:29], vcc
	s_cbranch_execz .LBB6_8267
; %bb.8260:                             ;   in Loop: Header=BB6_7611 Depth=3
	v_cmp_ne_u16_e32 vcc, s80, v59
	v_bfrev_b32_e32 v4, 1
	s_and_saveexec_b64 s[34:35], vcc
	s_cbranch_execz .LBB6_8266
; %bb.8261:                             ;   in Loop: Header=BB6_7611 Depth=3
	v_and_b32_e32 v4, 0x7c, v59
	v_and_b32_e32 v6, 3, v59
	v_cmp_ne_u32_e32 vcc, s81, v4
                                        ; implicit-def: $vgpr4
	s_and_saveexec_b64 s[36:37], vcc
	s_xor_b64 s[36:37], exec, s[36:37]
	s_cbranch_execz .LBB6_8263
; %bb.8262:                             ;   in Loop: Header=BB6_7611 Depth=3
	v_ffbh_u32_e32 v14, v6
	v_min_u32_e32 v27, 32, v14
	v_mov_b32_e32 v60, v34
	v_subrev_u32_e32 v14, 29, v27
	v_and_b32_e32 v4, 0xff, v59
	v_lshlrev_b64 v[14:15], v14, v[59:60]
	v_bfe_u32 v4, v4, 2, 5
	v_sub_u32_e32 v15, 30, v27
	v_and_b32_e32 v14, 3, v14
	v_cmp_eq_u32_e32 vcc, 0, v4
	v_cndmask_b32_e32 v4, v4, v15, vcc
	v_cndmask_b32_e32 v6, v6, v14, vcc
	v_and_b32_sdwa v14, sext(v59), s82 dst_sel:DWORD dst_unused:UNUSED_PAD src0_sel:WORD_0 src1_sel:DWORD
	v_lshl_add_u32 v4, v4, 23, v14
	v_lshl_or_b32 v4, v6, 21, v4
	v_add_u32_e32 v4, 0x38000000, v4
                                        ; implicit-def: $vgpr6
                                        ; implicit-def: $vgpr59
.LBB6_8263:                             ;   in Loop: Header=BB6_7611 Depth=3
	s_andn2_saveexec_b64 s[36:37], s[36:37]
; %bb.8264:                             ;   in Loop: Header=BB6_7611 Depth=3
	v_cmp_lt_i16_e32 vcc, -1, v59
	v_mov_b32_e32 v4, 0xff800000
	v_mov_b32_e32 v14, 0x7f800000
	v_cndmask_b32_e32 v4, v4, v14, vcc
	v_cmp_eq_u32_e32 vcc, 0, v6
	v_mov_b32_e32 v6, 0x7f800001
	v_cndmask_b32_e32 v4, v6, v4, vcc
; %bb.8265:                             ;   in Loop: Header=BB6_7611 Depth=3
	s_or_b64 exec, exec, s[36:37]
.LBB6_8266:                             ;   in Loop: Header=BB6_7611 Depth=3
	s_or_b64 exec, exec, s[34:35]
.LBB6_8267:                             ;   in Loop: Header=BB6_7611 Depth=3
	s_or_b64 exec, exec, s[28:29]
	v_mul_f32_e32 v6, v5, v4
	v_and_b32_e32 v14, 0x7f800000, v6
	v_mov_b32_e32 v15, v34
	v_cmp_ne_u64_e32 vcc, s[76:77], v[14:15]
	v_and_b32_e32 v4, 0x7fffff, v6
	v_mov_b32_e32 v5, v34
                                        ; implicit-def: $vgpr14
	s_and_saveexec_b64 s[28:29], vcc
	s_xor_b64 s[34:35], exec, s[28:29]
	s_cbranch_execz .LBB6_8285
; %bb.8268:                             ;   in Loop: Header=BB6_7611 Depth=3
	v_and_b32_e32 v14, 0x7fffffff, v6
	v_mov_b32_e32 v15, v34
	v_cmp_gt_u64_e32 vcc, s[78:79], v[14:15]
	v_and_b32_sdwa v15, v6, s44 dst_sel:DWORD dst_unused:UNUSED_PAD src0_sel:BYTE_3 src1_sel:DWORD
                                        ; implicit-def: $vgpr14
	s_and_saveexec_b64 s[28:29], vcc
	s_xor_b64 s[36:37], exec, s[28:29]
	s_cbranch_execz .LBB6_8282
; %bb.8269:                             ;   in Loop: Header=BB6_7611 Depth=3
	v_cmp_ne_u32_e32 vcc, 0, v6
	v_mov_b32_e32 v14, 0
	s_and_saveexec_b64 s[38:39], vcc
	s_cbranch_execz .LBB6_8281
; %bb.8270:                             ;   in Loop: Header=BB6_7611 Depth=3
	v_bfe_u32 v14, v6, 23, 8
	v_cmp_gt_u32_e64 s[28:29], s45, v14
	v_sub_u32_e32 v6, 0x71, v14
	v_cmp_eq_u32_e32 vcc, 0, v14
	v_cndmask_b32_e64 v6, 0, v6, s[28:29]
	v_mov_b32_e32 v27, 0x70
	v_cndmask_b32_e32 v27, v6, v27, vcc
	v_add_u32_e32 v6, 21, v27
	v_or_b32_e32 v28, 0x800000, v4
	v_lshlrev_b64 v[30:31], v6, -1
	v_cndmask_b32_e32 v4, v28, v4, vcc
	v_add_u32_e32 v6, 20, v27
	v_bfi_b32 v30, v30, 0, v4
	v_lshlrev_b64 v[35:36], v6, 1
	v_lshrrev_b64 v[4:5], v27, v[4:5]
	v_bfi_b32 v31, v31, 0, 0
	v_cmp_eq_u64_e64 s[28:29], v[30:31], v[35:36]
	v_mov_b32_e32 v6, v5
	v_mov_b32_e32 v5, v4
	s_and_saveexec_b64 s[48:49], s[28:29]
; %bb.8271:                             ;   in Loop: Header=BB6_7611 Depth=3
	v_bfe_u32 v5, v4, 21, 1
	v_add_co_u32_e64 v5, s[28:29], v4, v5
	v_add_co_u32_e64 v5, s[28:29], -1, v5
; %bb.8272:                             ;   in Loop: Header=BB6_7611 Depth=3
	s_or_b64 exec, exec, s[48:49]
	v_add_u32_e32 v6, 0xffffff81, v14
	v_mov_b32_e32 v14, 0xffffff82
	v_cndmask_b32_e32 v6, v6, v14, vcc
	v_lshrrev_b32_e32 v14, 23, v4
	v_add3_u32 v27, v27, v6, v14
	v_add_u32_e32 v14, 14, v27
	v_and_b32_e32 v5, 0x1fffff, v5
	v_add_u32_e32 v4, v5, v4
	v_mov_b32_e32 v5, v34
	v_cmp_ne_u32_e32 vcc, 0, v14
                                        ; implicit-def: $vgpr6
	s_and_saveexec_b64 s[28:29], vcc
	s_xor_b64 s[28:29], exec, s[28:29]
; %bb.8273:                             ;   in Loop: Header=BB6_7611 Depth=3
	v_cmp_lt_u64_e32 vcc, s[88:89], v[4:5]
	v_add_u32_e32 v6, 15, v27
	v_cndmask_b32_e32 v6, v14, v6, vcc
	v_cndmask_b32_e64 v14, 0, 1, vcc
	v_lshrrev_b64 v[4:5], v14, v[4:5]
; %bb.8274:                             ;   in Loop: Header=BB6_7611 Depth=3
	s_andn2_saveexec_b64 s[28:29], s[28:29]
; %bb.8275:                             ;   in Loop: Header=BB6_7611 Depth=3
	v_bfe_u32 v6, v4, 23, 1
; %bb.8276:                             ;   in Loop: Header=BB6_7611 Depth=3
	s_or_b64 exec, exec, s[28:29]
	v_lshrrev_b64 v[4:5], 21, v[4:5]
	v_cmp_gt_i32_e32 vcc, 32, v6
	v_cndmask_b32_e32 v5, 0, v5, vcc
	v_cndmask_b32_e32 v4, 3, v4, vcc
	v_cmp_ne_u64_e32 vcc, 0, v[4:5]
	v_cmp_ne_u32_e64 s[28:29], 0, v6
	s_or_b64 s[28:29], s[28:29], vcc
                                        ; implicit-def: $vgpr14
	s_and_saveexec_b64 vcc, s[28:29]
	s_xor_b64 s[28:29], exec, vcc
; %bb.8277:                             ;   in Loop: Header=BB6_7611 Depth=3
	v_min_i32_e32 v5, 31, v6
	v_lshl_or_b32 v5, v5, 2, v15
	v_and_or_b32 v14, v4, 3, v5
                                        ; implicit-def: $vgpr15
; %bb.8278:                             ;   in Loop: Header=BB6_7611 Depth=3
	s_andn2_saveexec_b64 s[28:29], s[28:29]
; %bb.8279:                             ;   in Loop: Header=BB6_7611 Depth=3
	v_mov_b32_e32 v14, v15
; %bb.8280:                             ;   in Loop: Header=BB6_7611 Depth=3
	s_or_b64 exec, exec, s[28:29]
.LBB6_8281:                             ;   in Loop: Header=BB6_7611 Depth=3
	s_or_b64 exec, exec, s[38:39]
                                        ; implicit-def: $vgpr15
.LBB6_8282:                             ;   in Loop: Header=BB6_7611 Depth=3
	s_andn2_saveexec_b64 s[28:29], s[36:37]
; %bb.8283:                             ;   in Loop: Header=BB6_7611 Depth=3
	v_or_b32_e32 v14, 0x7b, v15
; %bb.8284:                             ;   in Loop: Header=BB6_7611 Depth=3
	s_or_b64 exec, exec, s[28:29]
                                        ; implicit-def: $vgpr6
                                        ; implicit-def: $vgpr4_vgpr5
.LBB6_8285:                             ;   in Loop: Header=BB6_7611 Depth=3
	s_andn2_saveexec_b64 s[28:29], s[34:35]
	s_cbranch_execz .LBB6_8291
; %bb.8286:                             ;   in Loop: Header=BB6_7611 Depth=3
	v_cmp_ne_u64_e32 vcc, 0, v[4:5]
                                        ; implicit-def: $vgpr14
	s_and_saveexec_b64 s[34:35], vcc
	s_xor_b64 vcc, exec, s[34:35]
; %bb.8287:                             ;   in Loop: Header=BB6_7611 Depth=3
	v_or_b32_sdwa v14, v6, s83 dst_sel:DWORD dst_unused:UNUSED_PAD src0_sel:BYTE_3 src1_sel:DWORD
                                        ; implicit-def: $vgpr6
; %bb.8288:                             ;   in Loop: Header=BB6_7611 Depth=3
	s_andn2_saveexec_b64 s[34:35], vcc
; %bb.8289:                             ;   in Loop: Header=BB6_7611 Depth=3
	v_cmp_lt_i32_e32 vcc, -1, v6
	v_mov_b32_e32 v4, 0x7c
	v_cndmask_b32_e32 v14, -4, v4, vcc
; %bb.8290:                             ;   in Loop: Header=BB6_7611 Depth=3
	s_or_b64 exec, exec, s[34:35]
.LBB6_8291:                             ;   in Loop: Header=BB6_7611 Depth=3
	s_or_b64 exec, exec, s[28:29]
	v_cmp_ne_u16_e32 vcc, 0, v58
	v_mov_b32_e32 v4, 0
	v_mov_b32_e32 v5, 0
	s_and_saveexec_b64 s[28:29], vcc
	s_cbranch_execz .LBB6_8299
; %bb.8292:                             ;   in Loop: Header=BB6_7611 Depth=3
	v_cmp_ne_u16_e32 vcc, s80, v58
	v_bfrev_b32_e32 v5, 1
	s_and_saveexec_b64 s[34:35], vcc
	s_cbranch_execz .LBB6_8298
; %bb.8293:                             ;   in Loop: Header=BB6_7611 Depth=3
	v_and_b32_e32 v5, 0x7c, v58
	v_and_b32_e32 v6, 3, v58
	v_cmp_ne_u32_e32 vcc, s81, v5
                                        ; implicit-def: $vgpr5
	s_and_saveexec_b64 s[36:37], vcc
	s_xor_b64 s[36:37], exec, s[36:37]
	s_cbranch_execz .LBB6_8295
; %bb.8294:                             ;   in Loop: Header=BB6_7611 Depth=3
	v_ffbh_u32_e32 v15, v6
	v_min_u32_e32 v15, 32, v15
	v_and_b32_e32 v5, 0xff, v58
	v_mov_b32_e32 v59, v34
	v_subrev_u32_e32 v27, 29, v15
	v_bfe_u32 v5, v5, 2, 5
	v_lshlrev_b64 v[27:28], v27, v[58:59]
	v_sub_u32_e32 v15, 30, v15
	v_cmp_eq_u32_e32 vcc, 0, v5
	v_and_b32_e32 v27, 3, v27
	v_cndmask_b32_e32 v5, v5, v15, vcc
	v_and_b32_sdwa v15, sext(v58), s82 dst_sel:DWORD dst_unused:UNUSED_PAD src0_sel:WORD_0 src1_sel:DWORD
	v_cndmask_b32_e32 v6, v6, v27, vcc
	v_lshl_add_u32 v5, v5, 23, v15
	v_lshl_or_b32 v5, v6, 21, v5
	v_add_u32_e32 v5, 0x38000000, v5
                                        ; implicit-def: $vgpr6
                                        ; implicit-def: $vgpr58
.LBB6_8295:                             ;   in Loop: Header=BB6_7611 Depth=3
	s_andn2_saveexec_b64 s[36:37], s[36:37]
; %bb.8296:                             ;   in Loop: Header=BB6_7611 Depth=3
	v_cmp_lt_i16_e32 vcc, -1, v58
	v_mov_b32_e32 v5, 0xff800000
	v_mov_b32_e32 v15, 0x7f800000
	v_cndmask_b32_e32 v5, v5, v15, vcc
	v_cmp_eq_u32_e32 vcc, 0, v6
	v_mov_b32_e32 v6, 0x7f800001
	v_cndmask_b32_e32 v5, v6, v5, vcc
; %bb.8297:                             ;   in Loop: Header=BB6_7611 Depth=3
	s_or_b64 exec, exec, s[36:37]
.LBB6_8298:                             ;   in Loop: Header=BB6_7611 Depth=3
	s_or_b64 exec, exec, s[34:35]
.LBB6_8299:                             ;   in Loop: Header=BB6_7611 Depth=3
	s_or_b64 exec, exec, s[28:29]
	v_cmp_ne_u16_e32 vcc, 0, v44
	s_and_saveexec_b64 s[28:29], vcc
	s_cbranch_execz .LBB6_8307
; %bb.8300:                             ;   in Loop: Header=BB6_7611 Depth=3
	v_cmp_ne_u16_e32 vcc, s80, v44
	v_bfrev_b32_e32 v4, 1
	s_and_saveexec_b64 s[34:35], vcc
	s_cbranch_execz .LBB6_8306
; %bb.8301:                             ;   in Loop: Header=BB6_7611 Depth=3
	v_and_b32_e32 v4, 0x7c, v44
	v_and_b32_e32 v6, 3, v44
	v_cmp_ne_u32_e32 vcc, s81, v4
                                        ; implicit-def: $vgpr4
	s_and_saveexec_b64 s[36:37], vcc
	s_xor_b64 s[36:37], exec, s[36:37]
	s_cbranch_execz .LBB6_8303
; %bb.8302:                             ;   in Loop: Header=BB6_7611 Depth=3
	v_ffbh_u32_e32 v15, v6
	v_min_u32_e32 v15, 32, v15
	v_and_b32_e32 v4, 0xff, v44
	v_mov_b32_e32 v45, v34
	v_subrev_u32_e32 v27, 29, v15
	v_bfe_u32 v4, v4, 2, 5
	v_lshlrev_b64 v[27:28], v27, v[44:45]
	v_sub_u32_e32 v15, 30, v15
	v_cmp_eq_u32_e32 vcc, 0, v4
	v_and_b32_e32 v27, 3, v27
	v_cndmask_b32_e32 v4, v4, v15, vcc
	v_and_b32_sdwa v15, sext(v44), s82 dst_sel:DWORD dst_unused:UNUSED_PAD src0_sel:WORD_0 src1_sel:DWORD
	v_cndmask_b32_e32 v6, v6, v27, vcc
	v_lshl_add_u32 v4, v4, 23, v15
	v_lshl_or_b32 v4, v6, 21, v4
	v_add_u32_e32 v4, 0x38000000, v4
                                        ; implicit-def: $vgpr6
                                        ; implicit-def: $vgpr44
.LBB6_8303:                             ;   in Loop: Header=BB6_7611 Depth=3
	s_andn2_saveexec_b64 s[36:37], s[36:37]
; %bb.8304:                             ;   in Loop: Header=BB6_7611 Depth=3
	v_cmp_lt_i16_e32 vcc, -1, v44
	v_mov_b32_e32 v4, 0xff800000
	v_mov_b32_e32 v15, 0x7f800000
	v_cndmask_b32_e32 v4, v4, v15, vcc
	v_cmp_eq_u32_e32 vcc, 0, v6
	v_mov_b32_e32 v6, 0x7f800001
	v_cndmask_b32_e32 v4, v6, v4, vcc
; %bb.8305:                             ;   in Loop: Header=BB6_7611 Depth=3
	s_or_b64 exec, exec, s[36:37]
.LBB6_8306:                             ;   in Loop: Header=BB6_7611 Depth=3
	s_or_b64 exec, exec, s[34:35]
.LBB6_8307:                             ;   in Loop: Header=BB6_7611 Depth=3
	s_or_b64 exec, exec, s[28:29]
	v_mul_f32_e32 v6, v5, v4
	v_and_b32_e32 v27, 0x7f800000, v6
	v_mov_b32_e32 v28, v34
	v_cmp_ne_u64_e32 vcc, s[76:77], v[27:28]
	v_and_b32_e32 v4, 0x7fffff, v6
	v_mov_b32_e32 v5, v34
                                        ; implicit-def: $vgpr15
	s_and_saveexec_b64 s[28:29], vcc
	s_xor_b64 s[34:35], exec, s[28:29]
	s_cbranch_execz .LBB6_8325
; %bb.8308:                             ;   in Loop: Header=BB6_7611 Depth=3
	v_and_b32_e32 v27, 0x7fffffff, v6
	v_mov_b32_e32 v28, v34
	v_cmp_gt_u64_e32 vcc, s[78:79], v[27:28]
	v_and_b32_sdwa v27, v6, s44 dst_sel:DWORD dst_unused:UNUSED_PAD src0_sel:BYTE_3 src1_sel:DWORD
                                        ; implicit-def: $vgpr15
	s_and_saveexec_b64 s[28:29], vcc
	s_xor_b64 s[36:37], exec, s[28:29]
	s_cbranch_execz .LBB6_8322
; %bb.8309:                             ;   in Loop: Header=BB6_7611 Depth=3
	v_cmp_ne_u32_e32 vcc, 0, v6
	v_mov_b32_e32 v15, 0
	s_and_saveexec_b64 s[38:39], vcc
	s_cbranch_execz .LBB6_8321
; %bb.8310:                             ;   in Loop: Header=BB6_7611 Depth=3
	v_bfe_u32 v15, v6, 23, 8
	v_cmp_gt_u32_e64 s[28:29], s45, v15
	v_sub_u32_e32 v6, 0x71, v15
	v_cmp_eq_u32_e32 vcc, 0, v15
	v_cndmask_b32_e64 v6, 0, v6, s[28:29]
	v_mov_b32_e32 v28, 0x70
	v_cndmask_b32_e32 v28, v6, v28, vcc
	v_or_b32_e32 v30, 0x800000, v4
	v_add_u32_e32 v6, 21, v28
	v_cndmask_b32_e32 v4, v30, v4, vcc
	v_lshlrev_b64 v[30:31], v6, -1
	v_add_u32_e32 v6, 20, v28
	v_bfi_b32 v30, v30, 0, v4
	v_lshlrev_b64 v[35:36], v6, 1
	v_lshrrev_b64 v[4:5], v28, v[4:5]
	v_bfi_b32 v31, v31, 0, 0
	v_cmp_eq_u64_e64 s[28:29], v[30:31], v[35:36]
	v_mov_b32_e32 v6, v5
	v_mov_b32_e32 v5, v4
	s_and_saveexec_b64 s[48:49], s[28:29]
; %bb.8311:                             ;   in Loop: Header=BB6_7611 Depth=3
	v_bfe_u32 v5, v4, 21, 1
	v_add_co_u32_e64 v5, s[28:29], v4, v5
	v_add_co_u32_e64 v5, s[28:29], -1, v5
; %bb.8312:                             ;   in Loop: Header=BB6_7611 Depth=3
	s_or_b64 exec, exec, s[48:49]
	v_add_u32_e32 v6, 0xffffff81, v15
	v_mov_b32_e32 v15, 0xffffff82
	v_cndmask_b32_e32 v6, v6, v15, vcc
	v_lshrrev_b32_e32 v15, 23, v4
	v_add3_u32 v28, v28, v6, v15
	v_add_u32_e32 v15, 14, v28
	v_and_b32_e32 v5, 0x1fffff, v5
	v_add_u32_e32 v4, v5, v4
	v_mov_b32_e32 v5, v34
	v_cmp_ne_u32_e32 vcc, 0, v15
                                        ; implicit-def: $vgpr6
	s_and_saveexec_b64 s[28:29], vcc
	s_xor_b64 s[28:29], exec, s[28:29]
; %bb.8313:                             ;   in Loop: Header=BB6_7611 Depth=3
	v_cmp_lt_u64_e32 vcc, s[88:89], v[4:5]
	v_add_u32_e32 v6, 15, v28
	v_cndmask_b32_e32 v6, v15, v6, vcc
	v_cndmask_b32_e64 v15, 0, 1, vcc
	v_lshrrev_b64 v[4:5], v15, v[4:5]
; %bb.8314:                             ;   in Loop: Header=BB6_7611 Depth=3
	s_andn2_saveexec_b64 s[28:29], s[28:29]
; %bb.8315:                             ;   in Loop: Header=BB6_7611 Depth=3
	v_bfe_u32 v6, v4, 23, 1
; %bb.8316:                             ;   in Loop: Header=BB6_7611 Depth=3
	s_or_b64 exec, exec, s[28:29]
	v_lshrrev_b64 v[4:5], 21, v[4:5]
	v_cmp_gt_i32_e32 vcc, 32, v6
	v_cndmask_b32_e32 v5, 0, v5, vcc
	v_cndmask_b32_e32 v4, 3, v4, vcc
	v_cmp_ne_u64_e32 vcc, 0, v[4:5]
	v_cmp_ne_u32_e64 s[28:29], 0, v6
	s_or_b64 s[28:29], s[28:29], vcc
                                        ; implicit-def: $vgpr15
	s_and_saveexec_b64 vcc, s[28:29]
	s_xor_b64 s[28:29], exec, vcc
; %bb.8317:                             ;   in Loop: Header=BB6_7611 Depth=3
	v_min_i32_e32 v5, 31, v6
	v_lshl_or_b32 v5, v5, 2, v27
	v_and_or_b32 v15, v4, 3, v5
                                        ; implicit-def: $vgpr27
; %bb.8318:                             ;   in Loop: Header=BB6_7611 Depth=3
	s_andn2_saveexec_b64 s[28:29], s[28:29]
; %bb.8319:                             ;   in Loop: Header=BB6_7611 Depth=3
	v_mov_b32_e32 v15, v27
; %bb.8320:                             ;   in Loop: Header=BB6_7611 Depth=3
	s_or_b64 exec, exec, s[28:29]
.LBB6_8321:                             ;   in Loop: Header=BB6_7611 Depth=3
	s_or_b64 exec, exec, s[38:39]
                                        ; implicit-def: $vgpr27
.LBB6_8322:                             ;   in Loop: Header=BB6_7611 Depth=3
	s_andn2_saveexec_b64 s[28:29], s[36:37]
; %bb.8323:                             ;   in Loop: Header=BB6_7611 Depth=3
	v_or_b32_e32 v15, 0x7b, v27
; %bb.8324:                             ;   in Loop: Header=BB6_7611 Depth=3
	s_or_b64 exec, exec, s[28:29]
                                        ; implicit-def: $vgpr6
                                        ; implicit-def: $vgpr4_vgpr5
.LBB6_8325:                             ;   in Loop: Header=BB6_7611 Depth=3
	s_andn2_saveexec_b64 s[28:29], s[34:35]
	s_cbranch_execz .LBB6_8331
; %bb.8326:                             ;   in Loop: Header=BB6_7611 Depth=3
	v_cmp_ne_u64_e32 vcc, 0, v[4:5]
                                        ; implicit-def: $vgpr15
	s_and_saveexec_b64 s[34:35], vcc
	s_xor_b64 vcc, exec, s[34:35]
; %bb.8327:                             ;   in Loop: Header=BB6_7611 Depth=3
	v_or_b32_sdwa v15, v6, s83 dst_sel:DWORD dst_unused:UNUSED_PAD src0_sel:BYTE_3 src1_sel:DWORD
                                        ; implicit-def: $vgpr6
; %bb.8328:                             ;   in Loop: Header=BB6_7611 Depth=3
	s_andn2_saveexec_b64 s[34:35], vcc
; %bb.8329:                             ;   in Loop: Header=BB6_7611 Depth=3
	v_cmp_lt_i32_e32 vcc, -1, v6
	v_mov_b32_e32 v4, 0x7c
	v_cndmask_b32_e32 v15, -4, v4, vcc
; %bb.8330:                             ;   in Loop: Header=BB6_7611 Depth=3
	s_or_b64 exec, exec, s[34:35]
.LBB6_8331:                             ;   in Loop: Header=BB6_7611 Depth=3
	s_or_b64 exec, exec, s[28:29]
	v_cmp_ne_u16_e32 vcc, 0, v52
	v_mov_b32_e32 v4, 0
	v_mov_b32_e32 v5, 0
	s_and_saveexec_b64 s[28:29], vcc
	s_cbranch_execz .LBB6_8339
; %bb.8332:                             ;   in Loop: Header=BB6_7611 Depth=3
	v_cmp_ne_u16_e32 vcc, s80, v52
	v_bfrev_b32_e32 v5, 1
	s_and_saveexec_b64 s[34:35], vcc
	s_cbranch_execz .LBB6_8338
; %bb.8333:                             ;   in Loop: Header=BB6_7611 Depth=3
	v_and_b32_e32 v5, 0x7c, v52
	v_and_b32_e32 v6, 3, v52
	v_cmp_ne_u32_e32 vcc, s81, v5
                                        ; implicit-def: $vgpr5
	s_and_saveexec_b64 s[36:37], vcc
	s_xor_b64 s[36:37], exec, s[36:37]
	s_cbranch_execz .LBB6_8335
; %bb.8334:                             ;   in Loop: Header=BB6_7611 Depth=3
	v_ffbh_u32_e32 v27, v6
	v_min_u32_e32 v30, 32, v27
	v_mov_b32_e32 v53, v34
	v_subrev_u32_e32 v27, 29, v30
	v_and_b32_e32 v5, 0xff, v52
	v_lshlrev_b64 v[27:28], v27, v[52:53]
	v_bfe_u32 v5, v5, 2, 5
	v_sub_u32_e32 v28, 30, v30
	v_and_b32_e32 v27, 3, v27
	v_cmp_eq_u32_e32 vcc, 0, v5
	v_cndmask_b32_e32 v5, v5, v28, vcc
	v_cndmask_b32_e32 v6, v6, v27, vcc
	v_and_b32_sdwa v27, sext(v52), s82 dst_sel:DWORD dst_unused:UNUSED_PAD src0_sel:WORD_0 src1_sel:DWORD
	v_lshl_add_u32 v5, v5, 23, v27
	v_lshl_or_b32 v5, v6, 21, v5
	v_add_u32_e32 v5, 0x38000000, v5
                                        ; implicit-def: $vgpr6
                                        ; implicit-def: $vgpr52
.LBB6_8335:                             ;   in Loop: Header=BB6_7611 Depth=3
	s_andn2_saveexec_b64 s[36:37], s[36:37]
; %bb.8336:                             ;   in Loop: Header=BB6_7611 Depth=3
	v_cmp_lt_i16_e32 vcc, -1, v52
	v_mov_b32_e32 v5, 0xff800000
	v_mov_b32_e32 v27, 0x7f800000
	v_cndmask_b32_e32 v5, v5, v27, vcc
	v_cmp_eq_u32_e32 vcc, 0, v6
	v_mov_b32_e32 v6, 0x7f800001
	v_cndmask_b32_e32 v5, v6, v5, vcc
; %bb.8337:                             ;   in Loop: Header=BB6_7611 Depth=3
	s_or_b64 exec, exec, s[36:37]
.LBB6_8338:                             ;   in Loop: Header=BB6_7611 Depth=3
	s_or_b64 exec, exec, s[34:35]
.LBB6_8339:                             ;   in Loop: Header=BB6_7611 Depth=3
	s_or_b64 exec, exec, s[28:29]
	buffer_load_dword v27, off, s[0:3], s33 offset:392 ; 4-byte Folded Reload
	buffer_load_dword v28, off, s[0:3], s33 offset:396 ; 4-byte Folded Reload
	s_waitcnt vmcnt(1)
	v_cmp_ne_u16_e32 vcc, 0, v27
	s_and_saveexec_b64 s[28:29], vcc
	s_cbranch_execz .LBB6_8347
; %bb.8340:                             ;   in Loop: Header=BB6_7611 Depth=3
	v_cmp_ne_u16_e32 vcc, s80, v27
	v_bfrev_b32_e32 v4, 1
	s_and_saveexec_b64 s[34:35], vcc
	s_cbranch_execz .LBB6_8346
; %bb.8341:                             ;   in Loop: Header=BB6_7611 Depth=3
	v_and_b32_e32 v4, 0x7c, v27
	v_and_b32_e32 v6, 3, v27
	v_cmp_ne_u32_e32 vcc, s81, v4
                                        ; implicit-def: $vgpr4
	s_and_saveexec_b64 s[36:37], vcc
	s_xor_b64 s[36:37], exec, s[36:37]
	s_cbranch_execz .LBB6_8343
; %bb.8342:                             ;   in Loop: Header=BB6_7611 Depth=3
	buffer_load_dword v35, off, s[0:3], s33 offset:392 ; 4-byte Folded Reload
	buffer_load_dword v36, off, s[0:3], s33 offset:396 ; 4-byte Folded Reload
	v_ffbh_u32_e32 v27, v6
	v_min_u32_e32 v30, 32, v27
	s_waitcnt vmcnt(0)
	v_mov_b32_e32 v36, v34
	v_subrev_u32_e32 v27, 29, v30
	v_and_b32_e32 v4, 0xff, v35
	v_lshlrev_b64 v[27:28], v27, v[35:36]
	v_bfe_u32 v4, v4, 2, 5
	v_sub_u32_e32 v28, 30, v30
	v_and_b32_e32 v27, 3, v27
	v_cmp_eq_u32_e32 vcc, 0, v4
	v_cndmask_b32_e32 v4, v4, v28, vcc
	v_cndmask_b32_e32 v6, v6, v27, vcc
	v_and_b32_sdwa v27, sext(v35), s82 dst_sel:DWORD dst_unused:UNUSED_PAD src0_sel:WORD_0 src1_sel:DWORD
	v_lshl_add_u32 v4, v4, 23, v27
	v_lshl_or_b32 v4, v6, 21, v4
	v_add_u32_e32 v4, 0x38000000, v4
                                        ; implicit-def: $vgpr27
                                        ; implicit-def: $vgpr6
	buffer_store_dword v27, off, s[0:3], s33 offset:392 ; 4-byte Folded Spill
	s_nop 0
	buffer_store_dword v28, off, s[0:3], s33 offset:396 ; 4-byte Folded Spill
.LBB6_8343:                             ;   in Loop: Header=BB6_7611 Depth=3
	s_andn2_saveexec_b64 s[36:37], s[36:37]
	s_cbranch_execz .LBB6_8345
; %bb.8344:                             ;   in Loop: Header=BB6_7611 Depth=3
	buffer_load_dword v27, off, s[0:3], s33 offset:392 ; 4-byte Folded Reload
	buffer_load_dword v28, off, s[0:3], s33 offset:396 ; 4-byte Folded Reload
	v_mov_b32_e32 v4, 0xff800000
	s_waitcnt vmcnt(1)
	v_cmp_lt_i16_e32 vcc, -1, v27
	v_mov_b32_e32 v27, 0x7f800000
	v_cndmask_b32_e32 v4, v4, v27, vcc
	v_cmp_eq_u32_e32 vcc, 0, v6
	v_mov_b32_e32 v6, 0x7f800001
	v_cndmask_b32_e32 v4, v6, v4, vcc
.LBB6_8345:                             ;   in Loop: Header=BB6_7611 Depth=3
	s_or_b64 exec, exec, s[36:37]
.LBB6_8346:                             ;   in Loop: Header=BB6_7611 Depth=3
	s_or_b64 exec, exec, s[34:35]
.LBB6_8347:                             ;   in Loop: Header=BB6_7611 Depth=3
	s_or_b64 exec, exec, s[28:29]
	v_mul_f32_e32 v6, v5, v4
	v_and_b32_e32 v27, 0x7f800000, v6
	s_waitcnt vmcnt(0)
	v_mov_b32_e32 v28, v34
	v_cmp_ne_u64_e32 vcc, s[76:77], v[27:28]
	v_and_b32_e32 v4, 0x7fffff, v6
	v_mov_b32_e32 v5, v34
                                        ; implicit-def: $vgpr27
	s_and_saveexec_b64 s[28:29], vcc
	s_xor_b64 s[34:35], exec, s[28:29]
	s_cbranch_execz .LBB6_8365
; %bb.8348:                             ;   in Loop: Header=BB6_7611 Depth=3
	v_and_b32_e32 v27, 0x7fffffff, v6
	v_mov_b32_e32 v28, v34
	v_cmp_gt_u64_e32 vcc, s[78:79], v[27:28]
	v_and_b32_sdwa v28, v6, s44 dst_sel:DWORD dst_unused:UNUSED_PAD src0_sel:BYTE_3 src1_sel:DWORD
                                        ; implicit-def: $vgpr27
	s_and_saveexec_b64 s[28:29], vcc
	s_xor_b64 s[36:37], exec, s[28:29]
	s_cbranch_execz .LBB6_8362
; %bb.8349:                             ;   in Loop: Header=BB6_7611 Depth=3
	v_cmp_ne_u32_e32 vcc, 0, v6
	v_mov_b32_e32 v27, 0
	s_and_saveexec_b64 s[38:39], vcc
	s_cbranch_execz .LBB6_8361
; %bb.8350:                             ;   in Loop: Header=BB6_7611 Depth=3
	v_bfe_u32 v27, v6, 23, 8
	v_cmp_gt_u32_e64 s[28:29], s45, v27
	v_sub_u32_e32 v6, 0x71, v27
	v_cmp_eq_u32_e32 vcc, 0, v27
	v_cndmask_b32_e64 v6, 0, v6, s[28:29]
	v_mov_b32_e32 v30, 0x70
	v_cndmask_b32_e32 v30, v6, v30, vcc
	v_add_u32_e32 v6, 21, v30
	v_or_b32_e32 v31, 0x800000, v4
	v_lshlrev_b64 v[35:36], v6, -1
	v_cndmask_b32_e32 v4, v31, v4, vcc
	v_add_u32_e32 v6, 20, v30
	v_bfi_b32 v35, v35, 0, v4
	v_lshlrev_b64 v[38:39], v6, 1
	v_lshrrev_b64 v[4:5], v30, v[4:5]
	v_bfi_b32 v36, v36, 0, 0
	v_cmp_eq_u64_e64 s[28:29], v[35:36], v[38:39]
	v_mov_b32_e32 v6, v5
	v_mov_b32_e32 v5, v4
	s_and_saveexec_b64 s[48:49], s[28:29]
; %bb.8351:                             ;   in Loop: Header=BB6_7611 Depth=3
	v_bfe_u32 v5, v4, 21, 1
	v_add_co_u32_e64 v5, s[28:29], v4, v5
	v_add_co_u32_e64 v5, s[28:29], -1, v5
; %bb.8352:                             ;   in Loop: Header=BB6_7611 Depth=3
	s_or_b64 exec, exec, s[48:49]
	v_add_u32_e32 v6, 0xffffff81, v27
	v_mov_b32_e32 v27, 0xffffff82
	v_cndmask_b32_e32 v6, v6, v27, vcc
	v_lshrrev_b32_e32 v27, 23, v4
	v_add3_u32 v30, v30, v6, v27
	v_add_u32_e32 v27, 14, v30
	v_and_b32_e32 v5, 0x1fffff, v5
	v_add_u32_e32 v4, v5, v4
	v_mov_b32_e32 v5, v34
	v_cmp_ne_u32_e32 vcc, 0, v27
                                        ; implicit-def: $vgpr6
	s_and_saveexec_b64 s[28:29], vcc
	s_xor_b64 s[28:29], exec, s[28:29]
; %bb.8353:                             ;   in Loop: Header=BB6_7611 Depth=3
	v_cmp_lt_u64_e32 vcc, s[88:89], v[4:5]
	v_add_u32_e32 v6, 15, v30
	v_cndmask_b32_e32 v6, v27, v6, vcc
	v_cndmask_b32_e64 v27, 0, 1, vcc
	v_lshrrev_b64 v[4:5], v27, v[4:5]
; %bb.8354:                             ;   in Loop: Header=BB6_7611 Depth=3
	s_andn2_saveexec_b64 s[28:29], s[28:29]
; %bb.8355:                             ;   in Loop: Header=BB6_7611 Depth=3
	v_bfe_u32 v6, v4, 23, 1
; %bb.8356:                             ;   in Loop: Header=BB6_7611 Depth=3
	s_or_b64 exec, exec, s[28:29]
	v_lshrrev_b64 v[4:5], 21, v[4:5]
	v_cmp_gt_i32_e32 vcc, 32, v6
	v_cndmask_b32_e32 v5, 0, v5, vcc
	v_cndmask_b32_e32 v4, 3, v4, vcc
	v_cmp_ne_u64_e32 vcc, 0, v[4:5]
	v_cmp_ne_u32_e64 s[28:29], 0, v6
	s_or_b64 s[28:29], s[28:29], vcc
                                        ; implicit-def: $vgpr27
	s_and_saveexec_b64 vcc, s[28:29]
	s_xor_b64 s[28:29], exec, vcc
; %bb.8357:                             ;   in Loop: Header=BB6_7611 Depth=3
	v_min_i32_e32 v5, 31, v6
	v_lshl_or_b32 v5, v5, 2, v28
	v_and_or_b32 v27, v4, 3, v5
                                        ; implicit-def: $vgpr28
; %bb.8358:                             ;   in Loop: Header=BB6_7611 Depth=3
	s_andn2_saveexec_b64 s[28:29], s[28:29]
; %bb.8359:                             ;   in Loop: Header=BB6_7611 Depth=3
	v_mov_b32_e32 v27, v28
; %bb.8360:                             ;   in Loop: Header=BB6_7611 Depth=3
	s_or_b64 exec, exec, s[28:29]
.LBB6_8361:                             ;   in Loop: Header=BB6_7611 Depth=3
	s_or_b64 exec, exec, s[38:39]
                                        ; implicit-def: $vgpr28
.LBB6_8362:                             ;   in Loop: Header=BB6_7611 Depth=3
	s_andn2_saveexec_b64 s[28:29], s[36:37]
; %bb.8363:                             ;   in Loop: Header=BB6_7611 Depth=3
	v_or_b32_e32 v27, 0x7b, v28
; %bb.8364:                             ;   in Loop: Header=BB6_7611 Depth=3
	s_or_b64 exec, exec, s[28:29]
                                        ; implicit-def: $vgpr6
                                        ; implicit-def: $vgpr4_vgpr5
.LBB6_8365:                             ;   in Loop: Header=BB6_7611 Depth=3
	s_andn2_saveexec_b64 s[28:29], s[34:35]
	s_cbranch_execz .LBB6_8371
; %bb.8366:                             ;   in Loop: Header=BB6_7611 Depth=3
	v_cmp_ne_u64_e32 vcc, 0, v[4:5]
                                        ; implicit-def: $vgpr27
	s_and_saveexec_b64 s[34:35], vcc
	s_xor_b64 vcc, exec, s[34:35]
; %bb.8367:                             ;   in Loop: Header=BB6_7611 Depth=3
	v_or_b32_sdwa v27, v6, s83 dst_sel:DWORD dst_unused:UNUSED_PAD src0_sel:BYTE_3 src1_sel:DWORD
                                        ; implicit-def: $vgpr6
; %bb.8368:                             ;   in Loop: Header=BB6_7611 Depth=3
	s_andn2_saveexec_b64 s[34:35], vcc
; %bb.8369:                             ;   in Loop: Header=BB6_7611 Depth=3
	v_cmp_lt_i32_e32 vcc, -1, v6
	v_mov_b32_e32 v4, 0x7c
	v_cndmask_b32_e32 v27, -4, v4, vcc
; %bb.8370:                             ;   in Loop: Header=BB6_7611 Depth=3
	s_or_b64 exec, exec, s[34:35]
.LBB6_8371:                             ;   in Loop: Header=BB6_7611 Depth=3
	s_or_b64 exec, exec, s[28:29]
	buffer_load_dword v4, off, s[0:3], s33 offset:384 ; 4-byte Folded Reload
	buffer_load_dword v5, off, s[0:3], s33 offset:388 ; 4-byte Folded Reload
	s_waitcnt vmcnt(0)
	v_mov_b32_e32 v5, 0
	v_mov_b32_e32 v28, v4
	v_cmp_ne_u16_e32 vcc, 0, v28
	v_mov_b32_e32 v4, 0
	s_and_saveexec_b64 s[28:29], vcc
	s_cbranch_execz .LBB6_8379
; %bb.8372:                             ;   in Loop: Header=BB6_7611 Depth=3
	v_cmp_ne_u16_e32 vcc, s80, v28
	v_bfrev_b32_e32 v5, 1
	s_and_saveexec_b64 s[34:35], vcc
	s_cbranch_execz .LBB6_8378
; %bb.8373:                             ;   in Loop: Header=BB6_7611 Depth=3
	v_and_b32_e32 v5, 0x7c, v28
	v_and_b32_e32 v6, 3, v28
	v_cmp_ne_u32_e32 vcc, s81, v5
                                        ; implicit-def: $vgpr5
	s_and_saveexec_b64 s[36:37], vcc
	s_xor_b64 s[36:37], exec, s[36:37]
	s_cbranch_execz .LBB6_8375
; %bb.8374:                             ;   in Loop: Header=BB6_7611 Depth=3
	buffer_load_dword v35, off, s[0:3], s33 offset:384 ; 4-byte Folded Reload
	buffer_load_dword v36, off, s[0:3], s33 offset:388 ; 4-byte Folded Reload
	v_ffbh_u32_e32 v28, v6
	v_min_u32_e32 v28, 32, v28
	s_waitcnt vmcnt(0)
	v_mov_b32_e32 v36, v34
	v_subrev_u32_e32 v30, 29, v28
	v_sub_u32_e32 v28, 30, v28
	v_and_b32_e32 v5, 0xff, v35
	v_bfe_u32 v5, v5, 2, 5
	v_lshlrev_b64 v[30:31], v30, v[35:36]
	v_cmp_eq_u32_e32 vcc, 0, v5
	v_and_b32_e32 v30, 3, v30
	v_cndmask_b32_e32 v5, v5, v28, vcc
	v_and_b32_sdwa v28, sext(v35), s82 dst_sel:DWORD dst_unused:UNUSED_PAD src0_sel:WORD_0 src1_sel:DWORD
	v_cndmask_b32_e32 v6, v6, v30, vcc
	v_lshl_add_u32 v5, v5, 23, v28
	v_lshl_or_b32 v5, v6, 21, v5
	v_add_u32_e32 v5, 0x38000000, v5
                                        ; implicit-def: $vgpr28
                                        ; implicit-def: $vgpr6
	buffer_store_dword v28, off, s[0:3], s33 offset:384 ; 4-byte Folded Spill
	s_nop 0
	buffer_store_dword v29, off, s[0:3], s33 offset:388 ; 4-byte Folded Spill
.LBB6_8375:                             ;   in Loop: Header=BB6_7611 Depth=3
	s_andn2_saveexec_b64 s[36:37], s[36:37]
	s_cbranch_execz .LBB6_8377
; %bb.8376:                             ;   in Loop: Header=BB6_7611 Depth=3
	buffer_load_dword v30, off, s[0:3], s33 offset:384 ; 4-byte Folded Reload
	buffer_load_dword v31, off, s[0:3], s33 offset:388 ; 4-byte Folded Reload
	v_mov_b32_e32 v5, 0xff800000
	v_mov_b32_e32 v28, 0x7f800000
	s_waitcnt vmcnt(1)
	v_cmp_lt_i16_e32 vcc, -1, v30
	v_cndmask_b32_e32 v5, v5, v28, vcc
	v_cmp_eq_u32_e32 vcc, 0, v6
	v_mov_b32_e32 v6, 0x7f800001
	v_cndmask_b32_e32 v5, v6, v5, vcc
.LBB6_8377:                             ;   in Loop: Header=BB6_7611 Depth=3
	s_or_b64 exec, exec, s[36:37]
.LBB6_8378:                             ;   in Loop: Header=BB6_7611 Depth=3
	s_or_b64 exec, exec, s[34:35]
.LBB6_8379:                             ;   in Loop: Header=BB6_7611 Depth=3
	s_or_b64 exec, exec, s[28:29]
	buffer_load_dword v30, off, s[0:3], s33 offset:376 ; 4-byte Folded Reload
	buffer_load_dword v31, off, s[0:3], s33 offset:380 ; 4-byte Folded Reload
	s_waitcnt vmcnt(1)
	v_mov_b32_e32 v28, v30
	v_cmp_ne_u16_e32 vcc, 0, v28
	s_and_saveexec_b64 s[28:29], vcc
	s_cbranch_execz .LBB6_8387
; %bb.8380:                             ;   in Loop: Header=BB6_7611 Depth=3
	v_cmp_ne_u16_e32 vcc, s80, v28
	v_bfrev_b32_e32 v4, 1
	s_and_saveexec_b64 s[34:35], vcc
	s_cbranch_execz .LBB6_8386
; %bb.8381:                             ;   in Loop: Header=BB6_7611 Depth=3
	v_and_b32_e32 v4, 0x7c, v28
	v_and_b32_e32 v6, 3, v28
	v_cmp_ne_u32_e32 vcc, s81, v4
                                        ; implicit-def: $vgpr4
	s_and_saveexec_b64 s[36:37], vcc
	s_xor_b64 s[36:37], exec, s[36:37]
	s_cbranch_execz .LBB6_8383
; %bb.8382:                             ;   in Loop: Header=BB6_7611 Depth=3
	buffer_load_dword v35, off, s[0:3], s33 offset:376 ; 4-byte Folded Reload
	buffer_load_dword v36, off, s[0:3], s33 offset:380 ; 4-byte Folded Reload
	v_ffbh_u32_e32 v28, v6
	v_min_u32_e32 v28, 32, v28
	s_waitcnt vmcnt(0)
	v_mov_b32_e32 v36, v34
	v_subrev_u32_e32 v30, 29, v28
	v_sub_u32_e32 v28, 30, v28
	v_and_b32_e32 v4, 0xff, v35
	v_bfe_u32 v4, v4, 2, 5
	v_lshlrev_b64 v[30:31], v30, v[35:36]
	v_cmp_eq_u32_e32 vcc, 0, v4
	v_and_b32_e32 v30, 3, v30
	v_cndmask_b32_e32 v4, v4, v28, vcc
	v_and_b32_sdwa v28, sext(v35), s82 dst_sel:DWORD dst_unused:UNUSED_PAD src0_sel:WORD_0 src1_sel:DWORD
	v_cndmask_b32_e32 v6, v6, v30, vcc
	v_lshl_add_u32 v4, v4, 23, v28
	v_lshl_or_b32 v4, v6, 21, v4
	v_add_u32_e32 v4, 0x38000000, v4
                                        ; implicit-def: $vgpr28
                                        ; implicit-def: $vgpr6
	buffer_store_dword v28, off, s[0:3], s33 offset:376 ; 4-byte Folded Spill
	s_nop 0
	buffer_store_dword v29, off, s[0:3], s33 offset:380 ; 4-byte Folded Spill
.LBB6_8383:                             ;   in Loop: Header=BB6_7611 Depth=3
	s_andn2_saveexec_b64 s[36:37], s[36:37]
	s_cbranch_execz .LBB6_8385
; %bb.8384:                             ;   in Loop: Header=BB6_7611 Depth=3
	buffer_load_dword v30, off, s[0:3], s33 offset:376 ; 4-byte Folded Reload
	buffer_load_dword v31, off, s[0:3], s33 offset:380 ; 4-byte Folded Reload
	v_mov_b32_e32 v4, 0xff800000
	v_mov_b32_e32 v28, 0x7f800000
	s_waitcnt vmcnt(1)
	v_cmp_lt_i16_e32 vcc, -1, v30
	v_cndmask_b32_e32 v4, v4, v28, vcc
	v_cmp_eq_u32_e32 vcc, 0, v6
	v_mov_b32_e32 v6, 0x7f800001
	v_cndmask_b32_e32 v4, v6, v4, vcc
.LBB6_8385:                             ;   in Loop: Header=BB6_7611 Depth=3
	s_or_b64 exec, exec, s[36:37]
.LBB6_8386:                             ;   in Loop: Header=BB6_7611 Depth=3
	s_or_b64 exec, exec, s[34:35]
.LBB6_8387:                             ;   in Loop: Header=BB6_7611 Depth=3
	s_or_b64 exec, exec, s[28:29]
	v_mul_f32_e32 v6, v5, v4
	v_and_b32_e32 v30, 0x7f800000, v6
	s_waitcnt vmcnt(0)
	v_mov_b32_e32 v31, v34
	v_cmp_ne_u64_e32 vcc, s[76:77], v[30:31]
	v_and_b32_e32 v4, 0x7fffff, v6
	v_mov_b32_e32 v5, v34
                                        ; implicit-def: $vgpr28
	s_and_saveexec_b64 s[28:29], vcc
	s_xor_b64 s[34:35], exec, s[28:29]
	s_cbranch_execz .LBB6_8405
; %bb.8388:                             ;   in Loop: Header=BB6_7611 Depth=3
	v_and_b32_e32 v30, 0x7fffffff, v6
	v_mov_b32_e32 v31, v34
	v_cmp_gt_u64_e32 vcc, s[78:79], v[30:31]
	v_and_b32_sdwa v30, v6, s44 dst_sel:DWORD dst_unused:UNUSED_PAD src0_sel:BYTE_3 src1_sel:DWORD
                                        ; implicit-def: $vgpr28
	s_and_saveexec_b64 s[28:29], vcc
	s_xor_b64 s[36:37], exec, s[28:29]
	s_cbranch_execz .LBB6_8402
; %bb.8389:                             ;   in Loop: Header=BB6_7611 Depth=3
	v_cmp_ne_u32_e32 vcc, 0, v6
	v_mov_b32_e32 v28, 0
	s_and_saveexec_b64 s[38:39], vcc
	s_cbranch_execz .LBB6_8401
; %bb.8390:                             ;   in Loop: Header=BB6_7611 Depth=3
	v_bfe_u32 v28, v6, 23, 8
	v_cmp_gt_u32_e64 s[28:29], s45, v28
	v_sub_u32_e32 v6, 0x71, v28
	v_cmp_eq_u32_e32 vcc, 0, v28
	v_cndmask_b32_e64 v6, 0, v6, s[28:29]
	v_mov_b32_e32 v31, 0x70
	v_cndmask_b32_e32 v31, v6, v31, vcc
	v_add_u32_e32 v6, 21, v31
	v_or_b32_e32 v33, 0x800000, v4
	v_lshlrev_b64 v[35:36], v6, -1
	v_cndmask_b32_e32 v4, v33, v4, vcc
	v_add_u32_e32 v6, 20, v31
	v_bfi_b32 v35, v35, 0, v4
	v_lshlrev_b64 v[38:39], v6, 1
	v_lshrrev_b64 v[4:5], v31, v[4:5]
	v_bfi_b32 v36, v36, 0, 0
	v_cmp_eq_u64_e64 s[28:29], v[35:36], v[38:39]
	v_mov_b32_e32 v6, v5
	v_mov_b32_e32 v5, v4
	s_and_saveexec_b64 s[48:49], s[28:29]
; %bb.8391:                             ;   in Loop: Header=BB6_7611 Depth=3
	v_bfe_u32 v5, v4, 21, 1
	v_add_co_u32_e64 v5, s[28:29], v4, v5
	v_add_co_u32_e64 v5, s[28:29], -1, v5
; %bb.8392:                             ;   in Loop: Header=BB6_7611 Depth=3
	s_or_b64 exec, exec, s[48:49]
	v_add_u32_e32 v6, 0xffffff81, v28
	v_mov_b32_e32 v28, 0xffffff82
	v_cndmask_b32_e32 v6, v6, v28, vcc
	v_lshrrev_b32_e32 v28, 23, v4
	v_add3_u32 v31, v31, v6, v28
	v_add_u32_e32 v28, 14, v31
	v_and_b32_e32 v5, 0x1fffff, v5
	v_add_u32_e32 v4, v5, v4
	v_mov_b32_e32 v5, v34
	v_cmp_ne_u32_e32 vcc, 0, v28
                                        ; implicit-def: $vgpr6
	s_and_saveexec_b64 s[28:29], vcc
	s_xor_b64 s[28:29], exec, s[28:29]
; %bb.8393:                             ;   in Loop: Header=BB6_7611 Depth=3
	v_cmp_lt_u64_e32 vcc, s[88:89], v[4:5]
	v_add_u32_e32 v6, 15, v31
	v_cndmask_b32_e32 v6, v28, v6, vcc
	v_cndmask_b32_e64 v28, 0, 1, vcc
	v_lshrrev_b64 v[4:5], v28, v[4:5]
; %bb.8394:                             ;   in Loop: Header=BB6_7611 Depth=3
	s_andn2_saveexec_b64 s[28:29], s[28:29]
; %bb.8395:                             ;   in Loop: Header=BB6_7611 Depth=3
	v_bfe_u32 v6, v4, 23, 1
; %bb.8396:                             ;   in Loop: Header=BB6_7611 Depth=3
	s_or_b64 exec, exec, s[28:29]
	v_lshrrev_b64 v[4:5], 21, v[4:5]
	v_cmp_gt_i32_e32 vcc, 32, v6
	v_cndmask_b32_e32 v5, 0, v5, vcc
	v_cndmask_b32_e32 v4, 3, v4, vcc
	v_cmp_ne_u64_e32 vcc, 0, v[4:5]
	v_cmp_ne_u32_e64 s[28:29], 0, v6
	s_or_b64 s[28:29], s[28:29], vcc
                                        ; implicit-def: $vgpr28
	s_and_saveexec_b64 vcc, s[28:29]
	s_xor_b64 s[28:29], exec, vcc
; %bb.8397:                             ;   in Loop: Header=BB6_7611 Depth=3
	v_min_i32_e32 v5, 31, v6
	v_lshl_or_b32 v5, v5, 2, v30
	v_and_or_b32 v28, v4, 3, v5
                                        ; implicit-def: $vgpr30
; %bb.8398:                             ;   in Loop: Header=BB6_7611 Depth=3
	s_andn2_saveexec_b64 s[28:29], s[28:29]
; %bb.8399:                             ;   in Loop: Header=BB6_7611 Depth=3
	v_mov_b32_e32 v28, v30
; %bb.8400:                             ;   in Loop: Header=BB6_7611 Depth=3
	s_or_b64 exec, exec, s[28:29]
.LBB6_8401:                             ;   in Loop: Header=BB6_7611 Depth=3
	s_or_b64 exec, exec, s[38:39]
                                        ; implicit-def: $vgpr30
.LBB6_8402:                             ;   in Loop: Header=BB6_7611 Depth=3
	s_andn2_saveexec_b64 s[28:29], s[36:37]
; %bb.8403:                             ;   in Loop: Header=BB6_7611 Depth=3
	v_or_b32_e32 v28, 0x7b, v30
; %bb.8404:                             ;   in Loop: Header=BB6_7611 Depth=3
	s_or_b64 exec, exec, s[28:29]
                                        ; implicit-def: $vgpr6
                                        ; implicit-def: $vgpr4_vgpr5
.LBB6_8405:                             ;   in Loop: Header=BB6_7611 Depth=3
	s_andn2_saveexec_b64 s[28:29], s[34:35]
	s_cbranch_execz .LBB6_8411
; %bb.8406:                             ;   in Loop: Header=BB6_7611 Depth=3
	v_cmp_ne_u64_e32 vcc, 0, v[4:5]
                                        ; implicit-def: $vgpr28
	s_and_saveexec_b64 s[34:35], vcc
	s_xor_b64 vcc, exec, s[34:35]
; %bb.8407:                             ;   in Loop: Header=BB6_7611 Depth=3
	v_or_b32_sdwa v28, v6, s83 dst_sel:DWORD dst_unused:UNUSED_PAD src0_sel:BYTE_3 src1_sel:DWORD
                                        ; implicit-def: $vgpr6
; %bb.8408:                             ;   in Loop: Header=BB6_7611 Depth=3
	s_andn2_saveexec_b64 s[34:35], vcc
; %bb.8409:                             ;   in Loop: Header=BB6_7611 Depth=3
	v_cmp_lt_i32_e32 vcc, -1, v6
	v_mov_b32_e32 v4, 0x7c
	v_cndmask_b32_e32 v28, -4, v4, vcc
; %bb.8410:                             ;   in Loop: Header=BB6_7611 Depth=3
	s_or_b64 exec, exec, s[34:35]
.LBB6_8411:                             ;   in Loop: Header=BB6_7611 Depth=3
	s_or_b64 exec, exec, s[28:29]
	buffer_load_dword v30, off, s[0:3], s33 offset:264 ; 4-byte Folded Reload
	buffer_load_dword v31, off, s[0:3], s33 offset:268 ; 4-byte Folded Reload
	v_mov_b32_e32 v4, 0
	v_mov_b32_e32 v5, 0
	s_waitcnt vmcnt(1)
	v_cmp_ne_u16_e32 vcc, 0, v30
	s_and_saveexec_b64 s[28:29], vcc
	s_cbranch_execz .LBB6_8419
; %bb.8412:                             ;   in Loop: Header=BB6_7611 Depth=3
	v_cmp_ne_u16_e32 vcc, s80, v30
	v_bfrev_b32_e32 v5, 1
	s_and_saveexec_b64 s[34:35], vcc
	s_cbranch_execz .LBB6_8418
; %bb.8413:                             ;   in Loop: Header=BB6_7611 Depth=3
	v_and_b32_e32 v5, 0x7c, v30
	v_and_b32_e32 v6, 3, v30
	v_cmp_ne_u32_e32 vcc, s81, v5
                                        ; implicit-def: $vgpr5
	s_and_saveexec_b64 s[36:37], vcc
	s_xor_b64 s[36:37], exec, s[36:37]
	s_cbranch_execz .LBB6_8415
; %bb.8414:                             ;   in Loop: Header=BB6_7611 Depth=3
	buffer_load_dword v35, off, s[0:3], s33 offset:264 ; 4-byte Folded Reload
	buffer_load_dword v36, off, s[0:3], s33 offset:268 ; 4-byte Folded Reload
	v_ffbh_u32_e32 v30, v6
	v_min_u32_e32 v33, 32, v30
	s_waitcnt vmcnt(0)
	v_mov_b32_e32 v36, v34
	v_subrev_u32_e32 v30, 29, v33
	v_and_b32_e32 v5, 0xff, v35
	v_lshlrev_b64 v[30:31], v30, v[35:36]
	v_bfe_u32 v5, v5, 2, 5
	v_sub_u32_e32 v31, 30, v33
	v_and_b32_e32 v30, 3, v30
	v_cmp_eq_u32_e32 vcc, 0, v5
	v_cndmask_b32_e32 v5, v5, v31, vcc
	v_cndmask_b32_e32 v6, v6, v30, vcc
	v_and_b32_sdwa v30, sext(v35), s82 dst_sel:DWORD dst_unused:UNUSED_PAD src0_sel:WORD_0 src1_sel:DWORD
	v_lshl_add_u32 v5, v5, 23, v30
	v_lshl_or_b32 v5, v6, 21, v5
	v_add_u32_e32 v5, 0x38000000, v5
                                        ; implicit-def: $vgpr30
                                        ; implicit-def: $vgpr6
	buffer_store_dword v30, off, s[0:3], s33 offset:264 ; 4-byte Folded Spill
	s_nop 0
	buffer_store_dword v31, off, s[0:3], s33 offset:268 ; 4-byte Folded Spill
.LBB6_8415:                             ;   in Loop: Header=BB6_7611 Depth=3
	s_andn2_saveexec_b64 s[36:37], s[36:37]
	s_cbranch_execz .LBB6_8417
; %bb.8416:                             ;   in Loop: Header=BB6_7611 Depth=3
	buffer_load_dword v30, off, s[0:3], s33 offset:264 ; 4-byte Folded Reload
	buffer_load_dword v31, off, s[0:3], s33 offset:268 ; 4-byte Folded Reload
	v_mov_b32_e32 v5, 0xff800000
	s_waitcnt vmcnt(1)
	v_cmp_lt_i16_e32 vcc, -1, v30
	v_mov_b32_e32 v30, 0x7f800000
	v_cndmask_b32_e32 v5, v5, v30, vcc
	v_cmp_eq_u32_e32 vcc, 0, v6
	v_mov_b32_e32 v6, 0x7f800001
	v_cndmask_b32_e32 v5, v6, v5, vcc
.LBB6_8417:                             ;   in Loop: Header=BB6_7611 Depth=3
	s_or_b64 exec, exec, s[36:37]
.LBB6_8418:                             ;   in Loop: Header=BB6_7611 Depth=3
	s_or_b64 exec, exec, s[34:35]
.LBB6_8419:                             ;   in Loop: Header=BB6_7611 Depth=3
	s_or_b64 exec, exec, s[28:29]
	buffer_load_dword v30, off, s[0:3], s33 offset:256 ; 4-byte Folded Reload
	buffer_load_dword v31, off, s[0:3], s33 offset:260 ; 4-byte Folded Reload
	s_waitcnt vmcnt(1)
	v_cmp_ne_u16_e32 vcc, 0, v30
	s_and_saveexec_b64 s[28:29], vcc
	s_cbranch_execz .LBB6_8427
; %bb.8420:                             ;   in Loop: Header=BB6_7611 Depth=3
	v_cmp_ne_u16_e32 vcc, s80, v30
	v_bfrev_b32_e32 v4, 1
	s_and_saveexec_b64 s[34:35], vcc
	s_cbranch_execz .LBB6_8426
; %bb.8421:                             ;   in Loop: Header=BB6_7611 Depth=3
	v_and_b32_e32 v4, 0x7c, v30
	v_and_b32_e32 v6, 3, v30
	v_cmp_ne_u32_e32 vcc, s81, v4
                                        ; implicit-def: $vgpr4
	s_and_saveexec_b64 s[36:37], vcc
	s_xor_b64 s[36:37], exec, s[36:37]
	s_cbranch_execz .LBB6_8423
; %bb.8422:                             ;   in Loop: Header=BB6_7611 Depth=3
	buffer_load_dword v35, off, s[0:3], s33 offset:256 ; 4-byte Folded Reload
	buffer_load_dword v36, off, s[0:3], s33 offset:260 ; 4-byte Folded Reload
	v_ffbh_u32_e32 v30, v6
	v_min_u32_e32 v33, 32, v30
	s_waitcnt vmcnt(0)
	v_mov_b32_e32 v36, v34
	v_subrev_u32_e32 v30, 29, v33
	v_and_b32_e32 v4, 0xff, v35
	v_lshlrev_b64 v[30:31], v30, v[35:36]
	v_bfe_u32 v4, v4, 2, 5
	v_sub_u32_e32 v31, 30, v33
	v_and_b32_e32 v30, 3, v30
	v_cmp_eq_u32_e32 vcc, 0, v4
	v_cndmask_b32_e32 v4, v4, v31, vcc
	v_cndmask_b32_e32 v6, v6, v30, vcc
	v_and_b32_sdwa v30, sext(v35), s82 dst_sel:DWORD dst_unused:UNUSED_PAD src0_sel:WORD_0 src1_sel:DWORD
	v_lshl_add_u32 v4, v4, 23, v30
	v_lshl_or_b32 v4, v6, 21, v4
	v_add_u32_e32 v4, 0x38000000, v4
                                        ; implicit-def: $vgpr30
                                        ; implicit-def: $vgpr6
	buffer_store_dword v30, off, s[0:3], s33 offset:256 ; 4-byte Folded Spill
	s_nop 0
	buffer_store_dword v31, off, s[0:3], s33 offset:260 ; 4-byte Folded Spill
.LBB6_8423:                             ;   in Loop: Header=BB6_7611 Depth=3
	s_andn2_saveexec_b64 s[36:37], s[36:37]
	s_cbranch_execz .LBB6_8425
; %bb.8424:                             ;   in Loop: Header=BB6_7611 Depth=3
	buffer_load_dword v30, off, s[0:3], s33 offset:256 ; 4-byte Folded Reload
	buffer_load_dword v31, off, s[0:3], s33 offset:260 ; 4-byte Folded Reload
	v_mov_b32_e32 v4, 0xff800000
	s_waitcnt vmcnt(1)
	v_cmp_lt_i16_e32 vcc, -1, v30
	v_mov_b32_e32 v30, 0x7f800000
	v_cndmask_b32_e32 v4, v4, v30, vcc
	v_cmp_eq_u32_e32 vcc, 0, v6
	v_mov_b32_e32 v6, 0x7f800001
	v_cndmask_b32_e32 v4, v6, v4, vcc
.LBB6_8425:                             ;   in Loop: Header=BB6_7611 Depth=3
	s_or_b64 exec, exec, s[36:37]
.LBB6_8426:                             ;   in Loop: Header=BB6_7611 Depth=3
	s_or_b64 exec, exec, s[34:35]
.LBB6_8427:                             ;   in Loop: Header=BB6_7611 Depth=3
	s_or_b64 exec, exec, s[28:29]
	v_mul_f32_e32 v6, v5, v4
	v_and_b32_e32 v30, 0x7f800000, v6
	s_waitcnt vmcnt(0)
	v_mov_b32_e32 v31, v34
	v_cmp_ne_u64_e32 vcc, s[76:77], v[30:31]
	v_and_b32_e32 v4, 0x7fffff, v6
	v_mov_b32_e32 v5, v34
                                        ; implicit-def: $vgpr30
	s_and_saveexec_b64 s[28:29], vcc
	s_xor_b64 s[34:35], exec, s[28:29]
	s_cbranch_execz .LBB6_8445
; %bb.8428:                             ;   in Loop: Header=BB6_7611 Depth=3
	v_and_b32_e32 v30, 0x7fffffff, v6
	v_mov_b32_e32 v31, v34
	v_cmp_gt_u64_e32 vcc, s[78:79], v[30:31]
	v_and_b32_sdwa v31, v6, s44 dst_sel:DWORD dst_unused:UNUSED_PAD src0_sel:BYTE_3 src1_sel:DWORD
                                        ; implicit-def: $vgpr30
	s_and_saveexec_b64 s[28:29], vcc
	s_xor_b64 s[36:37], exec, s[28:29]
	s_cbranch_execz .LBB6_8442
; %bb.8429:                             ;   in Loop: Header=BB6_7611 Depth=3
	v_cmp_ne_u32_e32 vcc, 0, v6
	v_mov_b32_e32 v30, 0
	s_and_saveexec_b64 s[38:39], vcc
	s_cbranch_execz .LBB6_8441
; %bb.8430:                             ;   in Loop: Header=BB6_7611 Depth=3
	v_bfe_u32 v30, v6, 23, 8
	v_cmp_gt_u32_e64 s[28:29], s45, v30
	v_sub_u32_e32 v6, 0x71, v30
	v_cmp_eq_u32_e32 vcc, 0, v30
	v_cndmask_b32_e64 v6, 0, v6, s[28:29]
	v_mov_b32_e32 v33, 0x70
	v_cndmask_b32_e32 v33, v6, v33, vcc
	v_or_b32_e32 v35, 0x800000, v4
	v_add_u32_e32 v6, 21, v33
	v_cndmask_b32_e32 v4, v35, v4, vcc
	v_lshlrev_b64 v[35:36], v6, -1
	v_add_u32_e32 v6, 20, v33
	v_bfi_b32 v35, v35, 0, v4
	v_lshlrev_b64 v[38:39], v6, 1
	v_lshrrev_b64 v[4:5], v33, v[4:5]
	v_bfi_b32 v36, v36, 0, 0
	v_cmp_eq_u64_e64 s[28:29], v[35:36], v[38:39]
	v_mov_b32_e32 v6, v5
	v_mov_b32_e32 v5, v4
	s_and_saveexec_b64 s[48:49], s[28:29]
; %bb.8431:                             ;   in Loop: Header=BB6_7611 Depth=3
	v_bfe_u32 v5, v4, 21, 1
	v_add_co_u32_e64 v5, s[28:29], v4, v5
	v_add_co_u32_e64 v5, s[28:29], -1, v5
; %bb.8432:                             ;   in Loop: Header=BB6_7611 Depth=3
	s_or_b64 exec, exec, s[48:49]
	v_add_u32_e32 v6, 0xffffff81, v30
	v_mov_b32_e32 v30, 0xffffff82
	v_cndmask_b32_e32 v6, v6, v30, vcc
	v_lshrrev_b32_e32 v30, 23, v4
	v_add3_u32 v33, v33, v6, v30
	v_add_u32_e32 v30, 14, v33
	v_and_b32_e32 v5, 0x1fffff, v5
	v_add_u32_e32 v4, v5, v4
	v_mov_b32_e32 v5, v34
	v_cmp_ne_u32_e32 vcc, 0, v30
                                        ; implicit-def: $vgpr6
	s_and_saveexec_b64 s[28:29], vcc
	s_xor_b64 s[28:29], exec, s[28:29]
; %bb.8433:                             ;   in Loop: Header=BB6_7611 Depth=3
	v_cmp_lt_u64_e32 vcc, s[88:89], v[4:5]
	v_add_u32_e32 v6, 15, v33
	v_cndmask_b32_e32 v6, v30, v6, vcc
	v_cndmask_b32_e64 v30, 0, 1, vcc
	v_lshrrev_b64 v[4:5], v30, v[4:5]
; %bb.8434:                             ;   in Loop: Header=BB6_7611 Depth=3
	s_andn2_saveexec_b64 s[28:29], s[28:29]
; %bb.8435:                             ;   in Loop: Header=BB6_7611 Depth=3
	v_bfe_u32 v6, v4, 23, 1
; %bb.8436:                             ;   in Loop: Header=BB6_7611 Depth=3
	s_or_b64 exec, exec, s[28:29]
	v_lshrrev_b64 v[4:5], 21, v[4:5]
	v_cmp_gt_i32_e32 vcc, 32, v6
	v_cndmask_b32_e32 v5, 0, v5, vcc
	v_cndmask_b32_e32 v4, 3, v4, vcc
	v_cmp_ne_u64_e32 vcc, 0, v[4:5]
	v_cmp_ne_u32_e64 s[28:29], 0, v6
	s_or_b64 s[28:29], s[28:29], vcc
                                        ; implicit-def: $vgpr30
	s_and_saveexec_b64 vcc, s[28:29]
	s_xor_b64 s[28:29], exec, vcc
; %bb.8437:                             ;   in Loop: Header=BB6_7611 Depth=3
	v_min_i32_e32 v5, 31, v6
	v_lshl_or_b32 v5, v5, 2, v31
	v_and_or_b32 v30, v4, 3, v5
                                        ; implicit-def: $vgpr31
; %bb.8438:                             ;   in Loop: Header=BB6_7611 Depth=3
	s_andn2_saveexec_b64 s[28:29], s[28:29]
; %bb.8439:                             ;   in Loop: Header=BB6_7611 Depth=3
	v_mov_b32_e32 v30, v31
; %bb.8440:                             ;   in Loop: Header=BB6_7611 Depth=3
	s_or_b64 exec, exec, s[28:29]
.LBB6_8441:                             ;   in Loop: Header=BB6_7611 Depth=3
	s_or_b64 exec, exec, s[38:39]
                                        ; implicit-def: $vgpr31
.LBB6_8442:                             ;   in Loop: Header=BB6_7611 Depth=3
	s_andn2_saveexec_b64 s[28:29], s[36:37]
; %bb.8443:                             ;   in Loop: Header=BB6_7611 Depth=3
	v_or_b32_e32 v30, 0x7b, v31
; %bb.8444:                             ;   in Loop: Header=BB6_7611 Depth=3
	s_or_b64 exec, exec, s[28:29]
                                        ; implicit-def: $vgpr6
                                        ; implicit-def: $vgpr4_vgpr5
.LBB6_8445:                             ;   in Loop: Header=BB6_7611 Depth=3
	s_andn2_saveexec_b64 s[28:29], s[34:35]
	s_cbranch_execz .LBB6_8451
; %bb.8446:                             ;   in Loop: Header=BB6_7611 Depth=3
	v_cmp_ne_u64_e32 vcc, 0, v[4:5]
                                        ; implicit-def: $vgpr30
	s_and_saveexec_b64 s[34:35], vcc
	s_xor_b64 vcc, exec, s[34:35]
; %bb.8447:                             ;   in Loop: Header=BB6_7611 Depth=3
	v_or_b32_sdwa v30, v6, s83 dst_sel:DWORD dst_unused:UNUSED_PAD src0_sel:BYTE_3 src1_sel:DWORD
                                        ; implicit-def: $vgpr6
; %bb.8448:                             ;   in Loop: Header=BB6_7611 Depth=3
	s_andn2_saveexec_b64 s[34:35], vcc
; %bb.8449:                             ;   in Loop: Header=BB6_7611 Depth=3
	v_cmp_lt_i32_e32 vcc, -1, v6
	v_mov_b32_e32 v4, 0x7c
	v_cndmask_b32_e32 v30, -4, v4, vcc
; %bb.8450:                             ;   in Loop: Header=BB6_7611 Depth=3
	s_or_b64 exec, exec, s[34:35]
.LBB6_8451:                             ;   in Loop: Header=BB6_7611 Depth=3
	s_or_b64 exec, exec, s[28:29]
	buffer_load_dword v4, off, s[0:3], s33 offset:248 ; 4-byte Folded Reload
	buffer_load_dword v5, off, s[0:3], s33 offset:252 ; 4-byte Folded Reload
	s_waitcnt vmcnt(0)
	v_mov_b32_e32 v5, 0
	v_mov_b32_e32 v31, v4
	v_cmp_ne_u16_e32 vcc, 0, v31
	v_mov_b32_e32 v4, 0
	s_and_saveexec_b64 s[28:29], vcc
	s_cbranch_execz .LBB6_8459
; %bb.8452:                             ;   in Loop: Header=BB6_7611 Depth=3
	v_cmp_ne_u16_e32 vcc, s80, v31
	v_bfrev_b32_e32 v5, 1
	s_and_saveexec_b64 s[34:35], vcc
	s_cbranch_execz .LBB6_8458
; %bb.8453:                             ;   in Loop: Header=BB6_7611 Depth=3
	v_and_b32_e32 v5, 0x7c, v31
	v_and_b32_e32 v6, 3, v31
	v_cmp_ne_u32_e32 vcc, s81, v5
                                        ; implicit-def: $vgpr5
	s_and_saveexec_b64 s[36:37], vcc
	s_xor_b64 s[36:37], exec, s[36:37]
	s_cbranch_execz .LBB6_8455
; %bb.8454:                             ;   in Loop: Header=BB6_7611 Depth=3
	buffer_load_dword v38, off, s[0:3], s33 offset:248 ; 4-byte Folded Reload
	buffer_load_dword v39, off, s[0:3], s33 offset:252 ; 4-byte Folded Reload
	v_ffbh_u32_e32 v31, v6
	v_min_u32_e32 v31, 32, v31
	s_waitcnt vmcnt(0)
	v_mov_b32_e32 v39, v34
	v_subrev_u32_e32 v33, 29, v31
	v_sub_u32_e32 v31, 30, v31
	v_and_b32_e32 v5, 0xff, v38
	v_bfe_u32 v5, v5, 2, 5
	v_lshlrev_b64 v[35:36], v33, v[38:39]
	v_cmp_eq_u32_e32 vcc, 0, v5
	v_and_b32_e32 v33, 3, v35
	v_cndmask_b32_e32 v5, v5, v31, vcc
	v_and_b32_sdwa v31, sext(v38), s82 dst_sel:DWORD dst_unused:UNUSED_PAD src0_sel:WORD_0 src1_sel:DWORD
	v_cndmask_b32_e32 v6, v6, v33, vcc
	v_lshl_add_u32 v5, v5, 23, v31
	v_lshl_or_b32 v5, v6, 21, v5
	v_add_u32_e32 v5, 0x38000000, v5
                                        ; implicit-def: $vgpr31
                                        ; implicit-def: $vgpr6
	buffer_store_dword v31, off, s[0:3], s33 offset:248 ; 4-byte Folded Spill
	s_nop 0
	buffer_store_dword v32, off, s[0:3], s33 offset:252 ; 4-byte Folded Spill
.LBB6_8455:                             ;   in Loop: Header=BB6_7611 Depth=3
	s_andn2_saveexec_b64 s[36:37], s[36:37]
	s_cbranch_execz .LBB6_8457
; %bb.8456:                             ;   in Loop: Header=BB6_7611 Depth=3
	buffer_load_dword v35, off, s[0:3], s33 offset:248 ; 4-byte Folded Reload
	buffer_load_dword v36, off, s[0:3], s33 offset:252 ; 4-byte Folded Reload
	v_mov_b32_e32 v5, 0xff800000
	v_mov_b32_e32 v31, 0x7f800000
	s_waitcnt vmcnt(1)
	v_cmp_lt_i16_e32 vcc, -1, v35
	v_cndmask_b32_e32 v5, v5, v31, vcc
	v_cmp_eq_u32_e32 vcc, 0, v6
	v_mov_b32_e32 v6, 0x7f800001
	v_cndmask_b32_e32 v5, v6, v5, vcc
.LBB6_8457:                             ;   in Loop: Header=BB6_7611 Depth=3
	s_or_b64 exec, exec, s[36:37]
.LBB6_8458:                             ;   in Loop: Header=BB6_7611 Depth=3
	s_or_b64 exec, exec, s[34:35]
.LBB6_8459:                             ;   in Loop: Header=BB6_7611 Depth=3
	s_or_b64 exec, exec, s[28:29]
	buffer_load_dword v35, off, s[0:3], s33 offset:240 ; 4-byte Folded Reload
	buffer_load_dword v36, off, s[0:3], s33 offset:244 ; 4-byte Folded Reload
	s_waitcnt vmcnt(1)
	v_mov_b32_e32 v31, v35
	v_cmp_ne_u16_e32 vcc, 0, v31
	s_and_saveexec_b64 s[28:29], vcc
	s_cbranch_execz .LBB6_8467
; %bb.8460:                             ;   in Loop: Header=BB6_7611 Depth=3
	v_cmp_ne_u16_e32 vcc, s80, v31
	v_bfrev_b32_e32 v4, 1
	s_and_saveexec_b64 s[34:35], vcc
	s_cbranch_execz .LBB6_8466
; %bb.8461:                             ;   in Loop: Header=BB6_7611 Depth=3
	v_and_b32_e32 v4, 0x7c, v31
	v_and_b32_e32 v6, 3, v31
	v_cmp_ne_u32_e32 vcc, s81, v4
                                        ; implicit-def: $vgpr4
	s_and_saveexec_b64 s[36:37], vcc
	s_xor_b64 s[36:37], exec, s[36:37]
	s_cbranch_execz .LBB6_8463
; %bb.8462:                             ;   in Loop: Header=BB6_7611 Depth=3
	buffer_load_dword v38, off, s[0:3], s33 offset:240 ; 4-byte Folded Reload
	buffer_load_dword v39, off, s[0:3], s33 offset:244 ; 4-byte Folded Reload
	v_ffbh_u32_e32 v31, v6
	v_min_u32_e32 v31, 32, v31
	s_waitcnt vmcnt(0)
	v_mov_b32_e32 v39, v34
	v_subrev_u32_e32 v33, 29, v31
	v_sub_u32_e32 v31, 30, v31
	v_and_b32_e32 v4, 0xff, v38
	v_bfe_u32 v4, v4, 2, 5
	v_lshlrev_b64 v[35:36], v33, v[38:39]
	v_cmp_eq_u32_e32 vcc, 0, v4
	v_and_b32_e32 v33, 3, v35
	v_cndmask_b32_e32 v4, v4, v31, vcc
	v_and_b32_sdwa v31, sext(v38), s82 dst_sel:DWORD dst_unused:UNUSED_PAD src0_sel:WORD_0 src1_sel:DWORD
	v_cndmask_b32_e32 v6, v6, v33, vcc
	v_lshl_add_u32 v4, v4, 23, v31
	v_lshl_or_b32 v4, v6, 21, v4
	v_add_u32_e32 v4, 0x38000000, v4
                                        ; implicit-def: $vgpr31
                                        ; implicit-def: $vgpr6
	buffer_store_dword v31, off, s[0:3], s33 offset:240 ; 4-byte Folded Spill
	s_nop 0
	buffer_store_dword v32, off, s[0:3], s33 offset:244 ; 4-byte Folded Spill
.LBB6_8463:                             ;   in Loop: Header=BB6_7611 Depth=3
	s_andn2_saveexec_b64 s[36:37], s[36:37]
	s_cbranch_execz .LBB6_8465
; %bb.8464:                             ;   in Loop: Header=BB6_7611 Depth=3
	buffer_load_dword v35, off, s[0:3], s33 offset:240 ; 4-byte Folded Reload
	buffer_load_dword v36, off, s[0:3], s33 offset:244 ; 4-byte Folded Reload
	v_mov_b32_e32 v4, 0xff800000
	v_mov_b32_e32 v31, 0x7f800000
	s_waitcnt vmcnt(1)
	v_cmp_lt_i16_e32 vcc, -1, v35
	v_cndmask_b32_e32 v4, v4, v31, vcc
	v_cmp_eq_u32_e32 vcc, 0, v6
	v_mov_b32_e32 v6, 0x7f800001
	v_cndmask_b32_e32 v4, v6, v4, vcc
.LBB6_8465:                             ;   in Loop: Header=BB6_7611 Depth=3
	s_or_b64 exec, exec, s[36:37]
.LBB6_8466:                             ;   in Loop: Header=BB6_7611 Depth=3
	s_or_b64 exec, exec, s[34:35]
.LBB6_8467:                             ;   in Loop: Header=BB6_7611 Depth=3
	s_or_b64 exec, exec, s[28:29]
	v_mul_f32_e32 v6, v5, v4
	v_and_b32_e32 v35, 0x7f800000, v6
	s_waitcnt vmcnt(0)
	v_mov_b32_e32 v36, v34
	v_cmp_ne_u64_e32 vcc, s[76:77], v[35:36]
	v_and_b32_e32 v4, 0x7fffff, v6
	v_mov_b32_e32 v5, v34
                                        ; implicit-def: $vgpr31
	s_and_saveexec_b64 s[28:29], vcc
	s_xor_b64 s[34:35], exec, s[28:29]
	s_cbranch_execz .LBB6_8485
; %bb.8468:                             ;   in Loop: Header=BB6_7611 Depth=3
	v_and_b32_e32 v35, 0x7fffffff, v6
	v_mov_b32_e32 v36, v34
	v_cmp_gt_u64_e32 vcc, s[78:79], v[35:36]
	v_and_b32_sdwa v33, v6, s44 dst_sel:DWORD dst_unused:UNUSED_PAD src0_sel:BYTE_3 src1_sel:DWORD
                                        ; implicit-def: $vgpr31
	s_and_saveexec_b64 s[28:29], vcc
	s_xor_b64 s[36:37], exec, s[28:29]
	s_cbranch_execz .LBB6_8482
; %bb.8469:                             ;   in Loop: Header=BB6_7611 Depth=3
	v_cmp_ne_u32_e32 vcc, 0, v6
	v_mov_b32_e32 v31, 0
	s_and_saveexec_b64 s[38:39], vcc
	s_cbranch_execz .LBB6_8481
; %bb.8470:                             ;   in Loop: Header=BB6_7611 Depth=3
	v_bfe_u32 v31, v6, 23, 8
	v_cmp_gt_u32_e64 s[28:29], s45, v31
	v_sub_u32_e32 v6, 0x71, v31
	v_cmp_eq_u32_e32 vcc, 0, v31
	v_cndmask_b32_e64 v6, 0, v6, s[28:29]
	v_mov_b32_e32 v35, 0x70
	v_cndmask_b32_e32 v35, v6, v35, vcc
	v_add_u32_e32 v6, 21, v35
	v_or_b32_e32 v36, 0x800000, v4
	v_lshlrev_b64 v[38:39], v6, -1
	v_cndmask_b32_e32 v4, v36, v4, vcc
	v_add_u32_e32 v6, 20, v35
	v_bfi_b32 v38, v38, 0, v4
	v_lshlrev_b64 v[48:49], v6, 1
	v_lshrrev_b64 v[4:5], v35, v[4:5]
	v_bfi_b32 v39, v39, 0, 0
	v_cmp_eq_u64_e64 s[28:29], v[38:39], v[48:49]
	v_mov_b32_e32 v6, v5
	v_mov_b32_e32 v5, v4
	s_and_saveexec_b64 s[48:49], s[28:29]
; %bb.8471:                             ;   in Loop: Header=BB6_7611 Depth=3
	v_bfe_u32 v5, v4, 21, 1
	v_add_co_u32_e64 v5, s[28:29], v4, v5
	v_add_co_u32_e64 v5, s[28:29], -1, v5
; %bb.8472:                             ;   in Loop: Header=BB6_7611 Depth=3
	s_or_b64 exec, exec, s[48:49]
	v_add_u32_e32 v6, 0xffffff81, v31
	v_mov_b32_e32 v31, 0xffffff82
	v_cndmask_b32_e32 v6, v6, v31, vcc
	v_lshrrev_b32_e32 v31, 23, v4
	v_add3_u32 v35, v35, v6, v31
	v_add_u32_e32 v31, 14, v35
	v_and_b32_e32 v5, 0x1fffff, v5
	v_add_u32_e32 v4, v5, v4
	v_mov_b32_e32 v5, v34
	v_cmp_ne_u32_e32 vcc, 0, v31
                                        ; implicit-def: $vgpr6
	s_and_saveexec_b64 s[28:29], vcc
	s_xor_b64 s[28:29], exec, s[28:29]
; %bb.8473:                             ;   in Loop: Header=BB6_7611 Depth=3
	v_cmp_lt_u64_e32 vcc, s[88:89], v[4:5]
	v_add_u32_e32 v6, 15, v35
	v_cndmask_b32_e32 v6, v31, v6, vcc
	v_cndmask_b32_e64 v31, 0, 1, vcc
	v_lshrrev_b64 v[4:5], v31, v[4:5]
; %bb.8474:                             ;   in Loop: Header=BB6_7611 Depth=3
	s_andn2_saveexec_b64 s[28:29], s[28:29]
; %bb.8475:                             ;   in Loop: Header=BB6_7611 Depth=3
	v_bfe_u32 v6, v4, 23, 1
; %bb.8476:                             ;   in Loop: Header=BB6_7611 Depth=3
	s_or_b64 exec, exec, s[28:29]
	v_lshrrev_b64 v[4:5], 21, v[4:5]
	v_cmp_gt_i32_e32 vcc, 32, v6
	v_cndmask_b32_e32 v5, 0, v5, vcc
	v_cndmask_b32_e32 v4, 3, v4, vcc
	v_cmp_ne_u64_e32 vcc, 0, v[4:5]
	v_cmp_ne_u32_e64 s[28:29], 0, v6
	s_or_b64 s[28:29], s[28:29], vcc
                                        ; implicit-def: $vgpr31
	s_and_saveexec_b64 vcc, s[28:29]
	s_xor_b64 s[28:29], exec, vcc
; %bb.8477:                             ;   in Loop: Header=BB6_7611 Depth=3
	v_min_i32_e32 v5, 31, v6
	v_lshl_or_b32 v5, v5, 2, v33
	v_and_or_b32 v31, v4, 3, v5
                                        ; implicit-def: $vgpr33
; %bb.8478:                             ;   in Loop: Header=BB6_7611 Depth=3
	s_andn2_saveexec_b64 s[28:29], s[28:29]
; %bb.8479:                             ;   in Loop: Header=BB6_7611 Depth=3
	v_mov_b32_e32 v31, v33
; %bb.8480:                             ;   in Loop: Header=BB6_7611 Depth=3
	s_or_b64 exec, exec, s[28:29]
.LBB6_8481:                             ;   in Loop: Header=BB6_7611 Depth=3
	s_or_b64 exec, exec, s[38:39]
                                        ; implicit-def: $vgpr33
.LBB6_8482:                             ;   in Loop: Header=BB6_7611 Depth=3
	s_andn2_saveexec_b64 s[28:29], s[36:37]
; %bb.8483:                             ;   in Loop: Header=BB6_7611 Depth=3
	v_or_b32_e32 v31, 0x7b, v33
; %bb.8484:                             ;   in Loop: Header=BB6_7611 Depth=3
	s_or_b64 exec, exec, s[28:29]
                                        ; implicit-def: $vgpr6
                                        ; implicit-def: $vgpr4_vgpr5
.LBB6_8485:                             ;   in Loop: Header=BB6_7611 Depth=3
	s_andn2_saveexec_b64 s[28:29], s[34:35]
	s_cbranch_execz .LBB6_8491
; %bb.8486:                             ;   in Loop: Header=BB6_7611 Depth=3
	v_cmp_ne_u64_e32 vcc, 0, v[4:5]
                                        ; implicit-def: $vgpr31
	s_and_saveexec_b64 s[34:35], vcc
	s_xor_b64 vcc, exec, s[34:35]
; %bb.8487:                             ;   in Loop: Header=BB6_7611 Depth=3
	v_or_b32_sdwa v31, v6, s83 dst_sel:DWORD dst_unused:UNUSED_PAD src0_sel:BYTE_3 src1_sel:DWORD
                                        ; implicit-def: $vgpr6
; %bb.8488:                             ;   in Loop: Header=BB6_7611 Depth=3
	s_andn2_saveexec_b64 s[34:35], vcc
; %bb.8489:                             ;   in Loop: Header=BB6_7611 Depth=3
	v_cmp_lt_i32_e32 vcc, -1, v6
	v_mov_b32_e32 v4, 0x7c
	v_cndmask_b32_e32 v31, -4, v4, vcc
; %bb.8490:                             ;   in Loop: Header=BB6_7611 Depth=3
	s_or_b64 exec, exec, s[34:35]
.LBB6_8491:                             ;   in Loop: Header=BB6_7611 Depth=3
	s_or_b64 exec, exec, s[28:29]
	buffer_load_dword v4, off, s[0:3], s33 offset:232 ; 4-byte Folded Reload
	buffer_load_dword v5, off, s[0:3], s33 offset:236 ; 4-byte Folded Reload
	s_waitcnt vmcnt(0)
	v_mov_b32_e32 v5, 0
	v_mov_b32_e32 v33, v4
	v_cmp_ne_u16_e32 vcc, 0, v33
	v_mov_b32_e32 v4, 0
	s_and_saveexec_b64 s[28:29], vcc
	s_cbranch_execz .LBB6_8499
; %bb.8492:                             ;   in Loop: Header=BB6_7611 Depth=3
	v_cmp_ne_u16_e32 vcc, s80, v33
	v_bfrev_b32_e32 v5, 1
	s_and_saveexec_b64 s[34:35], vcc
	s_cbranch_execz .LBB6_8498
; %bb.8493:                             ;   in Loop: Header=BB6_7611 Depth=3
	v_and_b32_e32 v5, 0x7c, v33
	v_and_b32_e32 v6, 3, v33
	v_cmp_ne_u32_e32 vcc, s81, v5
                                        ; implicit-def: $vgpr5
	s_and_saveexec_b64 s[36:37], vcc
	s_xor_b64 s[36:37], exec, s[36:37]
	s_cbranch_execz .LBB6_8495
; %bb.8494:                             ;   in Loop: Header=BB6_7611 Depth=3
	buffer_load_dword v38, off, s[0:3], s33 offset:232 ; 4-byte Folded Reload
	buffer_load_dword v39, off, s[0:3], s33 offset:236 ; 4-byte Folded Reload
	v_ffbh_u32_e32 v33, v6
	v_min_u32_e32 v33, 32, v33
	s_waitcnt vmcnt(0)
	v_mov_b32_e32 v39, v34
	v_subrev_u32_e32 v35, 29, v33
	v_sub_u32_e32 v33, 30, v33
	v_and_b32_e32 v5, 0xff, v38
	v_bfe_u32 v5, v5, 2, 5
	v_lshlrev_b64 v[35:36], v35, v[38:39]
	v_cmp_eq_u32_e32 vcc, 0, v5
	v_and_b32_e32 v35, 3, v35
	v_cndmask_b32_e32 v5, v5, v33, vcc
	v_and_b32_sdwa v33, sext(v38), s82 dst_sel:DWORD dst_unused:UNUSED_PAD src0_sel:WORD_0 src1_sel:DWORD
	v_cndmask_b32_e32 v6, v6, v35, vcc
	v_lshl_add_u32 v5, v5, 23, v33
	v_lshl_or_b32 v5, v6, 21, v5
	v_add_u32_e32 v5, 0x38000000, v5
                                        ; implicit-def: $vgpr33
                                        ; implicit-def: $vgpr6
	buffer_store_dword v33, off, s[0:3], s33 offset:232 ; 4-byte Folded Spill
	s_nop 0
	buffer_store_dword v34, off, s[0:3], s33 offset:236 ; 4-byte Folded Spill
.LBB6_8495:                             ;   in Loop: Header=BB6_7611 Depth=3
	s_andn2_saveexec_b64 s[36:37], s[36:37]
	s_cbranch_execz .LBB6_8497
; %bb.8496:                             ;   in Loop: Header=BB6_7611 Depth=3
	buffer_load_dword v35, off, s[0:3], s33 offset:232 ; 4-byte Folded Reload
	buffer_load_dword v36, off, s[0:3], s33 offset:236 ; 4-byte Folded Reload
	v_mov_b32_e32 v5, 0xff800000
	v_mov_b32_e32 v33, 0x7f800000
	s_waitcnt vmcnt(1)
	v_cmp_lt_i16_e32 vcc, -1, v35
	v_cndmask_b32_e32 v5, v5, v33, vcc
	v_cmp_eq_u32_e32 vcc, 0, v6
	v_mov_b32_e32 v6, 0x7f800001
	v_cndmask_b32_e32 v5, v6, v5, vcc
.LBB6_8497:                             ;   in Loop: Header=BB6_7611 Depth=3
	s_or_b64 exec, exec, s[36:37]
.LBB6_8498:                             ;   in Loop: Header=BB6_7611 Depth=3
	s_or_b64 exec, exec, s[34:35]
.LBB6_8499:                             ;   in Loop: Header=BB6_7611 Depth=3
	s_or_b64 exec, exec, s[28:29]
	buffer_load_dword v35, off, s[0:3], s33 offset:224 ; 4-byte Folded Reload
	buffer_load_dword v36, off, s[0:3], s33 offset:228 ; 4-byte Folded Reload
	s_waitcnt vmcnt(1)
	v_mov_b32_e32 v33, v35
	v_cmp_ne_u16_e32 vcc, 0, v33
	s_and_saveexec_b64 s[28:29], vcc
	s_cbranch_execz .LBB6_8507
; %bb.8500:                             ;   in Loop: Header=BB6_7611 Depth=3
	v_cmp_ne_u16_e32 vcc, s80, v33
	v_bfrev_b32_e32 v4, 1
	s_and_saveexec_b64 s[34:35], vcc
	s_cbranch_execz .LBB6_8506
; %bb.8501:                             ;   in Loop: Header=BB6_7611 Depth=3
	v_and_b32_e32 v4, 0x7c, v33
	v_and_b32_e32 v6, 3, v33
	v_cmp_ne_u32_e32 vcc, s81, v4
                                        ; implicit-def: $vgpr4
	s_and_saveexec_b64 s[36:37], vcc
	s_xor_b64 s[36:37], exec, s[36:37]
	s_cbranch_execz .LBB6_8503
; %bb.8502:                             ;   in Loop: Header=BB6_7611 Depth=3
	buffer_load_dword v38, off, s[0:3], s33 offset:224 ; 4-byte Folded Reload
	buffer_load_dword v39, off, s[0:3], s33 offset:228 ; 4-byte Folded Reload
	v_ffbh_u32_e32 v33, v6
	v_min_u32_e32 v33, 32, v33
	s_waitcnt vmcnt(0)
	v_mov_b32_e32 v39, v34
	v_subrev_u32_e32 v35, 29, v33
	v_sub_u32_e32 v33, 30, v33
	v_and_b32_e32 v4, 0xff, v38
	v_bfe_u32 v4, v4, 2, 5
	v_lshlrev_b64 v[35:36], v35, v[38:39]
	v_cmp_eq_u32_e32 vcc, 0, v4
	v_and_b32_e32 v35, 3, v35
	v_cndmask_b32_e32 v4, v4, v33, vcc
	v_and_b32_sdwa v33, sext(v38), s82 dst_sel:DWORD dst_unused:UNUSED_PAD src0_sel:WORD_0 src1_sel:DWORD
	v_cndmask_b32_e32 v6, v6, v35, vcc
	v_lshl_add_u32 v4, v4, 23, v33
	v_lshl_or_b32 v4, v6, 21, v4
	v_add_u32_e32 v4, 0x38000000, v4
                                        ; implicit-def: $vgpr33
                                        ; implicit-def: $vgpr6
	buffer_store_dword v33, off, s[0:3], s33 offset:224 ; 4-byte Folded Spill
	s_nop 0
	buffer_store_dword v34, off, s[0:3], s33 offset:228 ; 4-byte Folded Spill
.LBB6_8503:                             ;   in Loop: Header=BB6_7611 Depth=3
	s_andn2_saveexec_b64 s[36:37], s[36:37]
	s_cbranch_execz .LBB6_8505
; %bb.8504:                             ;   in Loop: Header=BB6_7611 Depth=3
	buffer_load_dword v35, off, s[0:3], s33 offset:224 ; 4-byte Folded Reload
	buffer_load_dword v36, off, s[0:3], s33 offset:228 ; 4-byte Folded Reload
	v_mov_b32_e32 v4, 0xff800000
	v_mov_b32_e32 v33, 0x7f800000
	s_waitcnt vmcnt(1)
	v_cmp_lt_i16_e32 vcc, -1, v35
	v_cndmask_b32_e32 v4, v4, v33, vcc
	v_cmp_eq_u32_e32 vcc, 0, v6
	v_mov_b32_e32 v6, 0x7f800001
	v_cndmask_b32_e32 v4, v6, v4, vcc
.LBB6_8505:                             ;   in Loop: Header=BB6_7611 Depth=3
	s_or_b64 exec, exec, s[36:37]
.LBB6_8506:                             ;   in Loop: Header=BB6_7611 Depth=3
	s_or_b64 exec, exec, s[34:35]
.LBB6_8507:                             ;   in Loop: Header=BB6_7611 Depth=3
	s_or_b64 exec, exec, s[28:29]
	v_mul_f32_e32 v6, v5, v4
	v_and_b32_e32 v35, 0x7f800000, v6
	s_waitcnt vmcnt(0)
	v_mov_b32_e32 v36, v34
	v_cmp_ne_u64_e32 vcc, s[76:77], v[35:36]
	v_and_b32_e32 v4, 0x7fffff, v6
	v_mov_b32_e32 v5, v34
                                        ; implicit-def: $vgpr33
	s_and_saveexec_b64 s[28:29], vcc
	s_xor_b64 s[34:35], exec, s[28:29]
	s_cbranch_execz .LBB6_8525
; %bb.8508:                             ;   in Loop: Header=BB6_7611 Depth=3
	v_and_b32_e32 v35, 0x7fffffff, v6
	v_mov_b32_e32 v36, v34
	v_cmp_gt_u64_e32 vcc, s[78:79], v[35:36]
	v_and_b32_sdwa v35, v6, s44 dst_sel:DWORD dst_unused:UNUSED_PAD src0_sel:BYTE_3 src1_sel:DWORD
                                        ; implicit-def: $vgpr33
	s_and_saveexec_b64 s[28:29], vcc
	s_xor_b64 s[36:37], exec, s[28:29]
	s_cbranch_execz .LBB6_8522
; %bb.8509:                             ;   in Loop: Header=BB6_7611 Depth=3
	v_cmp_ne_u32_e32 vcc, 0, v6
	v_mov_b32_e32 v33, 0
	s_and_saveexec_b64 s[38:39], vcc
	s_cbranch_execz .LBB6_8521
; %bb.8510:                             ;   in Loop: Header=BB6_7611 Depth=3
	v_bfe_u32 v33, v6, 23, 8
	v_cmp_gt_u32_e64 s[28:29], s45, v33
	v_sub_u32_e32 v6, 0x71, v33
	v_cmp_eq_u32_e32 vcc, 0, v33
	v_cndmask_b32_e64 v6, 0, v6, s[28:29]
	v_mov_b32_e32 v36, 0x70
	v_cndmask_b32_e32 v36, v6, v36, vcc
	v_or_b32_e32 v38, 0x800000, v4
	v_add_u32_e32 v6, 21, v36
	v_cndmask_b32_e32 v4, v38, v4, vcc
	v_lshlrev_b64 v[38:39], v6, -1
	v_add_u32_e32 v6, 20, v36
	v_bfi_b32 v38, v38, 0, v4
	v_lshlrev_b64 v[48:49], v6, 1
	v_lshrrev_b64 v[4:5], v36, v[4:5]
	v_bfi_b32 v39, v39, 0, 0
	v_cmp_eq_u64_e64 s[28:29], v[38:39], v[48:49]
	v_mov_b32_e32 v6, v5
	v_mov_b32_e32 v5, v4
	s_and_saveexec_b64 s[48:49], s[28:29]
; %bb.8511:                             ;   in Loop: Header=BB6_7611 Depth=3
	v_bfe_u32 v5, v4, 21, 1
	v_add_co_u32_e64 v5, s[28:29], v4, v5
	v_add_co_u32_e64 v5, s[28:29], -1, v5
; %bb.8512:                             ;   in Loop: Header=BB6_7611 Depth=3
	s_or_b64 exec, exec, s[48:49]
	v_add_u32_e32 v6, 0xffffff81, v33
	v_mov_b32_e32 v33, 0xffffff82
	v_cndmask_b32_e32 v6, v6, v33, vcc
	v_lshrrev_b32_e32 v33, 23, v4
	v_add3_u32 v36, v36, v6, v33
	v_add_u32_e32 v33, 14, v36
	v_and_b32_e32 v5, 0x1fffff, v5
	v_add_u32_e32 v4, v5, v4
	v_mov_b32_e32 v5, v34
	v_cmp_ne_u32_e32 vcc, 0, v33
                                        ; implicit-def: $vgpr6
	s_and_saveexec_b64 s[28:29], vcc
	s_xor_b64 s[28:29], exec, s[28:29]
; %bb.8513:                             ;   in Loop: Header=BB6_7611 Depth=3
	v_cmp_lt_u64_e32 vcc, s[88:89], v[4:5]
	v_add_u32_e32 v6, 15, v36
	v_cndmask_b32_e32 v6, v33, v6, vcc
	v_cndmask_b32_e64 v33, 0, 1, vcc
	v_lshrrev_b64 v[4:5], v33, v[4:5]
; %bb.8514:                             ;   in Loop: Header=BB6_7611 Depth=3
	s_andn2_saveexec_b64 s[28:29], s[28:29]
; %bb.8515:                             ;   in Loop: Header=BB6_7611 Depth=3
	v_bfe_u32 v6, v4, 23, 1
; %bb.8516:                             ;   in Loop: Header=BB6_7611 Depth=3
	s_or_b64 exec, exec, s[28:29]
	v_lshrrev_b64 v[4:5], 21, v[4:5]
	v_cmp_gt_i32_e32 vcc, 32, v6
	v_cndmask_b32_e32 v5, 0, v5, vcc
	v_cndmask_b32_e32 v4, 3, v4, vcc
	v_cmp_ne_u64_e32 vcc, 0, v[4:5]
	v_cmp_ne_u32_e64 s[28:29], 0, v6
	s_or_b64 s[28:29], s[28:29], vcc
                                        ; implicit-def: $vgpr33
	s_and_saveexec_b64 vcc, s[28:29]
	s_xor_b64 s[28:29], exec, vcc
; %bb.8517:                             ;   in Loop: Header=BB6_7611 Depth=3
	v_min_i32_e32 v5, 31, v6
	v_lshl_or_b32 v5, v5, 2, v35
	v_and_or_b32 v33, v4, 3, v5
                                        ; implicit-def: $vgpr35
; %bb.8518:                             ;   in Loop: Header=BB6_7611 Depth=3
	s_andn2_saveexec_b64 s[28:29], s[28:29]
; %bb.8519:                             ;   in Loop: Header=BB6_7611 Depth=3
	v_mov_b32_e32 v33, v35
; %bb.8520:                             ;   in Loop: Header=BB6_7611 Depth=3
	s_or_b64 exec, exec, s[28:29]
.LBB6_8521:                             ;   in Loop: Header=BB6_7611 Depth=3
	s_or_b64 exec, exec, s[38:39]
                                        ; implicit-def: $vgpr35
.LBB6_8522:                             ;   in Loop: Header=BB6_7611 Depth=3
	s_andn2_saveexec_b64 s[28:29], s[36:37]
; %bb.8523:                             ;   in Loop: Header=BB6_7611 Depth=3
	v_or_b32_e32 v33, 0x7b, v35
; %bb.8524:                             ;   in Loop: Header=BB6_7611 Depth=3
	s_or_b64 exec, exec, s[28:29]
                                        ; implicit-def: $vgpr6
                                        ; implicit-def: $vgpr4_vgpr5
.LBB6_8525:                             ;   in Loop: Header=BB6_7611 Depth=3
	s_andn2_saveexec_b64 s[28:29], s[34:35]
	s_cbranch_execz .LBB6_8531
; %bb.8526:                             ;   in Loop: Header=BB6_7611 Depth=3
	v_cmp_ne_u64_e32 vcc, 0, v[4:5]
                                        ; implicit-def: $vgpr33
	s_and_saveexec_b64 s[34:35], vcc
	s_xor_b64 vcc, exec, s[34:35]
; %bb.8527:                             ;   in Loop: Header=BB6_7611 Depth=3
	v_or_b32_sdwa v33, v6, s83 dst_sel:DWORD dst_unused:UNUSED_PAD src0_sel:BYTE_3 src1_sel:DWORD
                                        ; implicit-def: $vgpr6
; %bb.8528:                             ;   in Loop: Header=BB6_7611 Depth=3
	s_andn2_saveexec_b64 s[34:35], vcc
; %bb.8529:                             ;   in Loop: Header=BB6_7611 Depth=3
	v_cmp_lt_i32_e32 vcc, -1, v6
	v_mov_b32_e32 v4, 0x7c
	v_cndmask_b32_e32 v33, -4, v4, vcc
; %bb.8530:                             ;   in Loop: Header=BB6_7611 Depth=3
	s_or_b64 exec, exec, s[34:35]
.LBB6_8531:                             ;   in Loop: Header=BB6_7611 Depth=3
	s_or_b64 exec, exec, s[28:29]
	buffer_load_dword v35, off, s[0:3], s33 offset:216 ; 4-byte Folded Reload
	buffer_load_dword v36, off, s[0:3], s33 offset:220 ; 4-byte Folded Reload
	v_mov_b32_e32 v4, 0
	v_mov_b32_e32 v5, 0
	s_waitcnt vmcnt(1)
	v_cmp_ne_u16_e32 vcc, 0, v35
	s_and_saveexec_b64 s[28:29], vcc
	s_cbranch_execz .LBB6_8539
; %bb.8532:                             ;   in Loop: Header=BB6_7611 Depth=3
	v_cmp_ne_u16_e32 vcc, s80, v35
	v_bfrev_b32_e32 v5, 1
	s_and_saveexec_b64 s[34:35], vcc
	s_cbranch_execz .LBB6_8538
; %bb.8533:                             ;   in Loop: Header=BB6_7611 Depth=3
	v_and_b32_e32 v5, 0x7c, v35
	v_and_b32_e32 v6, 3, v35
	v_cmp_ne_u32_e32 vcc, s81, v5
                                        ; implicit-def: $vgpr5
	s_and_saveexec_b64 s[36:37], vcc
	s_xor_b64 s[36:37], exec, s[36:37]
	s_cbranch_execz .LBB6_8535
; %bb.8534:                             ;   in Loop: Header=BB6_7611 Depth=3
	buffer_load_dword v48, off, s[0:3], s33 offset:216 ; 4-byte Folded Reload
	buffer_load_dword v49, off, s[0:3], s33 offset:220 ; 4-byte Folded Reload
	v_ffbh_u32_e32 v35, v6
	v_min_u32_e32 v38, 32, v35
	s_waitcnt vmcnt(0)
	v_mov_b32_e32 v49, v34
	v_subrev_u32_e32 v35, 29, v38
	v_and_b32_e32 v5, 0xff, v48
	v_lshlrev_b64 v[35:36], v35, v[48:49]
	v_bfe_u32 v5, v5, 2, 5
	v_sub_u32_e32 v36, 30, v38
	v_and_b32_e32 v35, 3, v35
	v_cmp_eq_u32_e32 vcc, 0, v5
	v_cndmask_b32_e32 v5, v5, v36, vcc
	v_cndmask_b32_e32 v6, v6, v35, vcc
	v_and_b32_sdwa v35, sext(v48), s82 dst_sel:DWORD dst_unused:UNUSED_PAD src0_sel:WORD_0 src1_sel:DWORD
	v_lshl_add_u32 v5, v5, 23, v35
	v_lshl_or_b32 v5, v6, 21, v5
	v_add_u32_e32 v5, 0x38000000, v5
                                        ; implicit-def: $vgpr35
                                        ; implicit-def: $vgpr6
	buffer_store_dword v35, off, s[0:3], s33 offset:216 ; 4-byte Folded Spill
	s_nop 0
	buffer_store_dword v36, off, s[0:3], s33 offset:220 ; 4-byte Folded Spill
.LBB6_8535:                             ;   in Loop: Header=BB6_7611 Depth=3
	s_andn2_saveexec_b64 s[36:37], s[36:37]
	s_cbranch_execz .LBB6_8537
; %bb.8536:                             ;   in Loop: Header=BB6_7611 Depth=3
	buffer_load_dword v35, off, s[0:3], s33 offset:216 ; 4-byte Folded Reload
	buffer_load_dword v36, off, s[0:3], s33 offset:220 ; 4-byte Folded Reload
	v_mov_b32_e32 v5, 0xff800000
	s_waitcnt vmcnt(1)
	v_cmp_lt_i16_e32 vcc, -1, v35
	v_mov_b32_e32 v35, 0x7f800000
	v_cndmask_b32_e32 v5, v5, v35, vcc
	v_cmp_eq_u32_e32 vcc, 0, v6
	v_mov_b32_e32 v6, 0x7f800001
	v_cndmask_b32_e32 v5, v6, v5, vcc
.LBB6_8537:                             ;   in Loop: Header=BB6_7611 Depth=3
	s_or_b64 exec, exec, s[36:37]
.LBB6_8538:                             ;   in Loop: Header=BB6_7611 Depth=3
	s_or_b64 exec, exec, s[34:35]
.LBB6_8539:                             ;   in Loop: Header=BB6_7611 Depth=3
	s_or_b64 exec, exec, s[28:29]
	buffer_load_dword v35, off, s[0:3], s33 offset:208 ; 4-byte Folded Reload
	buffer_load_dword v36, off, s[0:3], s33 offset:212 ; 4-byte Folded Reload
	s_waitcnt vmcnt(1)
	v_cmp_ne_u16_e32 vcc, 0, v35
	s_and_saveexec_b64 s[28:29], vcc
	s_cbranch_execz .LBB6_8547
; %bb.8540:                             ;   in Loop: Header=BB6_7611 Depth=3
	v_cmp_ne_u16_e32 vcc, s80, v35
	v_bfrev_b32_e32 v4, 1
	s_and_saveexec_b64 s[34:35], vcc
	s_cbranch_execz .LBB6_8546
; %bb.8541:                             ;   in Loop: Header=BB6_7611 Depth=3
	v_and_b32_e32 v4, 0x7c, v35
	v_and_b32_e32 v6, 3, v35
	v_cmp_ne_u32_e32 vcc, s81, v4
                                        ; implicit-def: $vgpr4
	s_and_saveexec_b64 s[36:37], vcc
	s_xor_b64 s[36:37], exec, s[36:37]
	s_cbranch_execz .LBB6_8543
; %bb.8542:                             ;   in Loop: Header=BB6_7611 Depth=3
	buffer_load_dword v48, off, s[0:3], s33 offset:208 ; 4-byte Folded Reload
	buffer_load_dword v49, off, s[0:3], s33 offset:212 ; 4-byte Folded Reload
	v_ffbh_u32_e32 v35, v6
	v_min_u32_e32 v38, 32, v35
	s_waitcnt vmcnt(0)
	v_mov_b32_e32 v49, v34
	v_subrev_u32_e32 v35, 29, v38
	v_and_b32_e32 v4, 0xff, v48
	v_lshlrev_b64 v[35:36], v35, v[48:49]
	v_bfe_u32 v4, v4, 2, 5
	v_sub_u32_e32 v36, 30, v38
	v_and_b32_e32 v35, 3, v35
	v_cmp_eq_u32_e32 vcc, 0, v4
	v_cndmask_b32_e32 v4, v4, v36, vcc
	v_cndmask_b32_e32 v6, v6, v35, vcc
	v_and_b32_sdwa v35, sext(v48), s82 dst_sel:DWORD dst_unused:UNUSED_PAD src0_sel:WORD_0 src1_sel:DWORD
	v_lshl_add_u32 v4, v4, 23, v35
	v_lshl_or_b32 v4, v6, 21, v4
	v_add_u32_e32 v4, 0x38000000, v4
                                        ; implicit-def: $vgpr35
                                        ; implicit-def: $vgpr6
	buffer_store_dword v35, off, s[0:3], s33 offset:208 ; 4-byte Folded Spill
	s_nop 0
	buffer_store_dword v36, off, s[0:3], s33 offset:212 ; 4-byte Folded Spill
.LBB6_8543:                             ;   in Loop: Header=BB6_7611 Depth=3
	s_andn2_saveexec_b64 s[36:37], s[36:37]
	s_cbranch_execz .LBB6_8545
; %bb.8544:                             ;   in Loop: Header=BB6_7611 Depth=3
	buffer_load_dword v35, off, s[0:3], s33 offset:208 ; 4-byte Folded Reload
	buffer_load_dword v36, off, s[0:3], s33 offset:212 ; 4-byte Folded Reload
	v_mov_b32_e32 v4, 0xff800000
	s_waitcnt vmcnt(1)
	v_cmp_lt_i16_e32 vcc, -1, v35
	v_mov_b32_e32 v35, 0x7f800000
	v_cndmask_b32_e32 v4, v4, v35, vcc
	v_cmp_eq_u32_e32 vcc, 0, v6
	v_mov_b32_e32 v6, 0x7f800001
	v_cndmask_b32_e32 v4, v6, v4, vcc
.LBB6_8545:                             ;   in Loop: Header=BB6_7611 Depth=3
	s_or_b64 exec, exec, s[36:37]
.LBB6_8546:                             ;   in Loop: Header=BB6_7611 Depth=3
	s_or_b64 exec, exec, s[34:35]
.LBB6_8547:                             ;   in Loop: Header=BB6_7611 Depth=3
	s_or_b64 exec, exec, s[28:29]
	s_waitcnt vmcnt(0)
	v_mul_f32_e32 v36, v5, v4
	v_and_b32_e32 v5, 0x7f800000, v36
	v_mov_b32_e32 v6, v34
	v_cmp_ne_u64_e32 vcc, s[76:77], v[5:6]
	v_and_b32_e32 v4, 0x7fffff, v36
	v_mov_b32_e32 v5, v34
                                        ; implicit-def: $vgpr6
	s_and_saveexec_b64 s[28:29], vcc
	s_xor_b64 s[34:35], exec, s[28:29]
	s_cbranch_execz .LBB6_8565
; %bb.8548:                             ;   in Loop: Header=BB6_7611 Depth=3
	v_and_b32_e32 v38, 0x7fffffff, v36
	v_mov_b32_e32 v39, v34
	v_cmp_gt_u64_e32 vcc, s[78:79], v[38:39]
	v_and_b32_sdwa v35, v36, s44 dst_sel:DWORD dst_unused:UNUSED_PAD src0_sel:BYTE_3 src1_sel:DWORD
                                        ; implicit-def: $vgpr6
	s_and_saveexec_b64 s[28:29], vcc
	s_xor_b64 s[36:37], exec, s[28:29]
	s_cbranch_execz .LBB6_8562
; %bb.8549:                             ;   in Loop: Header=BB6_7611 Depth=3
	v_cmp_ne_u32_e32 vcc, 0, v36
	v_mov_b32_e32 v6, 0
	s_and_saveexec_b64 s[38:39], vcc
	s_cbranch_execz .LBB6_8561
; %bb.8550:                             ;   in Loop: Header=BB6_7611 Depth=3
	v_bfe_u32 v36, v36, 23, 8
	v_cmp_gt_u32_e64 s[28:29], s45, v36
	v_sub_u32_e32 v6, 0x71, v36
	v_cmp_eq_u32_e32 vcc, 0, v36
	v_cndmask_b32_e64 v6, 0, v6, s[28:29]
	v_mov_b32_e32 v38, 0x70
	v_cndmask_b32_e32 v38, v6, v38, vcc
	v_add_u32_e32 v6, 21, v38
	v_or_b32_e32 v39, 0x800000, v4
	v_lshlrev_b64 v[48:49], v6, -1
	v_cndmask_b32_e32 v4, v39, v4, vcc
	v_add_u32_e32 v6, 20, v38
	v_bfi_b32 v48, v48, 0, v4
	v_lshlrev_b64 v[50:51], v6, 1
	v_lshrrev_b64 v[4:5], v38, v[4:5]
	v_bfi_b32 v49, v49, 0, 0
	v_cmp_eq_u64_e64 s[28:29], v[48:49], v[50:51]
	v_mov_b32_e32 v6, v5
	v_mov_b32_e32 v5, v4
	s_and_saveexec_b64 s[48:49], s[28:29]
; %bb.8551:                             ;   in Loop: Header=BB6_7611 Depth=3
	v_bfe_u32 v5, v4, 21, 1
	v_add_co_u32_e64 v5, s[28:29], v4, v5
	v_add_co_u32_e64 v5, s[28:29], -1, v5
; %bb.8552:                             ;   in Loop: Header=BB6_7611 Depth=3
	s_or_b64 exec, exec, s[48:49]
	v_add_u32_e32 v6, 0xffffff81, v36
	v_mov_b32_e32 v36, 0xffffff82
	v_cndmask_b32_e32 v6, v6, v36, vcc
	v_lshrrev_b32_e32 v36, 23, v4
	v_add3_u32 v38, v38, v6, v36
	v_add_u32_e32 v6, 14, v38
	v_and_b32_e32 v5, 0x1fffff, v5
	v_add_u32_e32 v4, v5, v4
	v_mov_b32_e32 v5, v34
	v_cmp_ne_u32_e32 vcc, 0, v6
                                        ; implicit-def: $vgpr36
	s_and_saveexec_b64 s[28:29], vcc
	s_xor_b64 s[28:29], exec, s[28:29]
; %bb.8553:                             ;   in Loop: Header=BB6_7611 Depth=3
	v_cmp_lt_u64_e32 vcc, s[88:89], v[4:5]
	v_add_u32_e32 v36, 15, v38
	v_cndmask_b32_e32 v36, v6, v36, vcc
	v_cndmask_b32_e64 v6, 0, 1, vcc
	v_lshrrev_b64 v[4:5], v6, v[4:5]
; %bb.8554:                             ;   in Loop: Header=BB6_7611 Depth=3
	s_or_saveexec_b64 s[28:29], s[28:29]
	buffer_load_dword v50, off, s[0:3], s33 offset:400 ; 4-byte Folded Reload
	buffer_load_dword v51, off, s[0:3], s33 offset:404 ; 4-byte Folded Reload
	s_xor_b64 exec, exec, s[28:29]
; %bb.8555:                             ;   in Loop: Header=BB6_7611 Depth=3
	v_bfe_u32 v36, v4, 23, 1
; %bb.8556:                             ;   in Loop: Header=BB6_7611 Depth=3
	s_or_b64 exec, exec, s[28:29]
	v_lshrrev_b64 v[4:5], 21, v[4:5]
	v_cmp_gt_i32_e32 vcc, 32, v36
	v_cndmask_b32_e32 v5, 0, v5, vcc
	v_cndmask_b32_e32 v4, 3, v4, vcc
	v_cmp_ne_u64_e32 vcc, 0, v[4:5]
	v_cmp_ne_u32_e64 s[28:29], 0, v36
	s_or_b64 s[28:29], s[28:29], vcc
                                        ; implicit-def: $vgpr6
	s_and_saveexec_b64 vcc, s[28:29]
	s_xor_b64 s[28:29], exec, vcc
; %bb.8557:                             ;   in Loop: Header=BB6_7611 Depth=3
	v_min_i32_e32 v5, 31, v36
	v_lshl_or_b32 v5, v5, 2, v35
	v_and_or_b32 v6, v4, 3, v5
                                        ; implicit-def: $vgpr35
; %bb.8558:                             ;   in Loop: Header=BB6_7611 Depth=3
	s_andn2_saveexec_b64 s[28:29], s[28:29]
; %bb.8559:                             ;   in Loop: Header=BB6_7611 Depth=3
	v_mov_b32_e32 v6, v35
; %bb.8560:                             ;   in Loop: Header=BB6_7611 Depth=3
	s_or_b64 exec, exec, s[28:29]
.LBB6_8561:                             ;   in Loop: Header=BB6_7611 Depth=3
	s_or_b64 exec, exec, s[38:39]
                                        ; implicit-def: $vgpr35
.LBB6_8562:                             ;   in Loop: Header=BB6_7611 Depth=3
	s_andn2_saveexec_b64 s[28:29], s[36:37]
; %bb.8563:                             ;   in Loop: Header=BB6_7611 Depth=3
	v_or_b32_e32 v6, 0x7b, v35
; %bb.8564:                             ;   in Loop: Header=BB6_7611 Depth=3
	s_or_b64 exec, exec, s[28:29]
                                        ; implicit-def: $vgpr36
                                        ; implicit-def: $vgpr4_vgpr5
.LBB6_8565:                             ;   in Loop: Header=BB6_7611 Depth=3
	s_andn2_saveexec_b64 s[28:29], s[34:35]
	s_cbranch_execz .LBB6_8571
; %bb.8566:                             ;   in Loop: Header=BB6_7611 Depth=3
	v_cmp_ne_u64_e32 vcc, 0, v[4:5]
                                        ; implicit-def: $vgpr6
	s_and_saveexec_b64 s[34:35], vcc
	s_xor_b64 vcc, exec, s[34:35]
; %bb.8567:                             ;   in Loop: Header=BB6_7611 Depth=3
	v_or_b32_sdwa v6, v36, s83 dst_sel:DWORD dst_unused:UNUSED_PAD src0_sel:BYTE_3 src1_sel:DWORD
                                        ; implicit-def: $vgpr36
; %bb.8568:                             ;   in Loop: Header=BB6_7611 Depth=3
	s_andn2_saveexec_b64 s[34:35], vcc
; %bb.8569:                             ;   in Loop: Header=BB6_7611 Depth=3
	v_cmp_lt_i32_e32 vcc, -1, v36
	v_mov_b32_e32 v4, 0x7c
	v_cndmask_b32_e32 v6, -4, v4, vcc
; %bb.8570:                             ;   in Loop: Header=BB6_7611 Depth=3
	s_or_b64 exec, exec, s[34:35]
.LBB6_8571:                             ;   in Loop: Header=BB6_7611 Depth=3
	s_or_b64 exec, exec, s[28:29]
	v_cmp_ne_u16_e32 vcc, 0, v3
	v_mov_b32_e32 v5, 0
	v_mov_b32_e32 v4, 0
	s_and_saveexec_b64 s[28:29], vcc
	s_cbranch_execz .LBB6_8579
; %bb.8572:                             ;   in Loop: Header=BB6_7611 Depth=3
	v_cmp_ne_u16_e32 vcc, s80, v3
	v_bfrev_b32_e32 v4, 1
	s_and_saveexec_b64 s[34:35], vcc
	s_cbranch_execz .LBB6_8578
; %bb.8573:                             ;   in Loop: Header=BB6_7611 Depth=3
	v_and_b32_e32 v4, 0x7c, v3
	v_and_b32_e32 v35, 3, v3
	v_cmp_ne_u32_e32 vcc, s81, v4
                                        ; implicit-def: $vgpr4
	s_and_saveexec_b64 s[36:37], vcc
	s_xor_b64 s[36:37], exec, s[36:37]
	s_cbranch_execz .LBB6_8575
; %bb.8574:                             ;   in Loop: Header=BB6_7611 Depth=3
	v_ffbh_u32_e32 v38, v35
	v_min_u32_e32 v48, 32, v38
	v_and_b32_e32 v36, 0xff, v3
	v_mov_b32_e32 v4, v34
	v_subrev_u32_e32 v38, 29, v48
	v_bfe_u32 v36, v36, 2, 5
	v_lshlrev_b64 v[38:39], v38, v[3:4]
	v_sub_u32_e32 v4, 30, v48
	v_cmp_eq_u32_e32 vcc, 0, v36
	v_and_b32_e32 v38, 3, v38
	v_cndmask_b32_e32 v4, v36, v4, vcc
	v_and_b32_sdwa v3, sext(v3), s82 dst_sel:DWORD dst_unused:UNUSED_PAD src0_sel:WORD_0 src1_sel:DWORD
	v_cndmask_b32_e32 v35, v35, v38, vcc
	v_lshl_add_u32 v3, v4, 23, v3
	v_lshl_or_b32 v3, v35, 21, v3
	v_add_u32_e32 v4, 0x38000000, v3
                                        ; implicit-def: $vgpr35
                                        ; implicit-def: $vgpr3
.LBB6_8575:                             ;   in Loop: Header=BB6_7611 Depth=3
	s_andn2_saveexec_b64 s[36:37], s[36:37]
; %bb.8576:                             ;   in Loop: Header=BB6_7611 Depth=3
	v_cmp_lt_i16_e32 vcc, -1, v3
	v_mov_b32_e32 v3, 0xff800000
	v_mov_b32_e32 v4, 0x7f800000
	v_cndmask_b32_e32 v3, v3, v4, vcc
	v_cmp_eq_u32_e32 vcc, 0, v35
	v_mov_b32_e32 v4, 0x7f800001
	v_cndmask_b32_e32 v4, v4, v3, vcc
; %bb.8577:                             ;   in Loop: Header=BB6_7611 Depth=3
	s_or_b64 exec, exec, s[36:37]
.LBB6_8578:                             ;   in Loop: Header=BB6_7611 Depth=3
	s_or_b64 exec, exec, s[34:35]
.LBB6_8579:                             ;   in Loop: Header=BB6_7611 Depth=3
	s_or_b64 exec, exec, s[28:29]
	buffer_load_dword v35, off, s[0:3], s33 offset:200 ; 4-byte Folded Reload
	buffer_load_dword v36, off, s[0:3], s33 offset:204 ; 4-byte Folded Reload
	s_waitcnt vmcnt(1)
	v_cmp_ne_u16_e32 vcc, 0, v35
	s_and_saveexec_b64 s[28:29], vcc
	s_cbranch_execz .LBB6_8587
; %bb.8580:                             ;   in Loop: Header=BB6_7611 Depth=3
	v_cmp_ne_u16_e32 vcc, s80, v35
	v_bfrev_b32_e32 v5, 1
	s_and_saveexec_b64 s[34:35], vcc
	s_cbranch_execz .LBB6_8586
; %bb.8581:                             ;   in Loop: Header=BB6_7611 Depth=3
	v_and_b32_e32 v5, 0x7c, v35
	v_and_b32_e32 v3, 3, v35
	v_cmp_ne_u32_e32 vcc, s81, v5
                                        ; implicit-def: $vgpr5
	s_and_saveexec_b64 s[36:37], vcc
	s_xor_b64 s[36:37], exec, s[36:37]
	s_cbranch_execz .LBB6_8583
; %bb.8582:                             ;   in Loop: Header=BB6_7611 Depth=3
	buffer_load_dword v48, off, s[0:3], s33 offset:200 ; 4-byte Folded Reload
	buffer_load_dword v49, off, s[0:3], s33 offset:204 ; 4-byte Folded Reload
	v_ffbh_u32_e32 v35, v3
	v_min_u32_e32 v38, 32, v35
	s_waitcnt vmcnt(0)
	v_mov_b32_e32 v49, v34
	v_subrev_u32_e32 v35, 29, v38
	v_and_b32_e32 v5, 0xff, v48
	v_lshlrev_b64 v[35:36], v35, v[48:49]
	v_bfe_u32 v5, v5, 2, 5
	v_sub_u32_e32 v36, 30, v38
	v_and_b32_e32 v35, 3, v35
	v_cmp_eq_u32_e32 vcc, 0, v5
	v_cndmask_b32_e32 v5, v5, v36, vcc
	v_cndmask_b32_e32 v3, v3, v35, vcc
	v_and_b32_sdwa v35, sext(v48), s82 dst_sel:DWORD dst_unused:UNUSED_PAD src0_sel:WORD_0 src1_sel:DWORD
	v_lshl_add_u32 v5, v5, 23, v35
	v_lshl_or_b32 v3, v3, 21, v5
	v_add_u32_e32 v5, 0x38000000, v3
                                        ; implicit-def: $vgpr35
                                        ; implicit-def: $vgpr3
	buffer_store_dword v35, off, s[0:3], s33 offset:200 ; 4-byte Folded Spill
	s_nop 0
	buffer_store_dword v36, off, s[0:3], s33 offset:204 ; 4-byte Folded Spill
.LBB6_8583:                             ;   in Loop: Header=BB6_7611 Depth=3
	s_andn2_saveexec_b64 s[36:37], s[36:37]
	s_cbranch_execz .LBB6_8585
; %bb.8584:                             ;   in Loop: Header=BB6_7611 Depth=3
	buffer_load_dword v35, off, s[0:3], s33 offset:200 ; 4-byte Folded Reload
	buffer_load_dword v36, off, s[0:3], s33 offset:204 ; 4-byte Folded Reload
	v_mov_b32_e32 v5, 0xff800000
	s_waitcnt vmcnt(1)
	v_cmp_lt_i16_e32 vcc, -1, v35
	v_mov_b32_e32 v35, 0x7f800000
	v_cndmask_b32_e32 v5, v5, v35, vcc
	v_cmp_eq_u32_e32 vcc, 0, v3
	v_mov_b32_e32 v3, 0x7f800001
	v_cndmask_b32_e32 v5, v3, v5, vcc
.LBB6_8585:                             ;   in Loop: Header=BB6_7611 Depth=3
	s_or_b64 exec, exec, s[36:37]
.LBB6_8586:                             ;   in Loop: Header=BB6_7611 Depth=3
	s_or_b64 exec, exec, s[34:35]
.LBB6_8587:                             ;   in Loop: Header=BB6_7611 Depth=3
	s_or_b64 exec, exec, s[28:29]
	v_mul_f32_e32 v5, v4, v5
	v_and_b32_e32 v35, 0x7f800000, v5
	s_waitcnt vmcnt(0)
	v_mov_b32_e32 v36, v34
	v_cmp_ne_u64_e32 vcc, s[76:77], v[35:36]
	v_and_b32_e32 v3, 0x7fffff, v5
	v_mov_b32_e32 v4, v34
                                        ; implicit-def: $vgpr35
	s_and_saveexec_b64 s[28:29], vcc
	s_xor_b64 s[34:35], exec, s[28:29]
	s_cbranch_execz .LBB6_8605
; %bb.8588:                             ;   in Loop: Header=BB6_7611 Depth=3
	v_and_b32_e32 v35, 0x7fffffff, v5
	v_mov_b32_e32 v36, v34
	v_cmp_gt_u64_e32 vcc, s[78:79], v[35:36]
	v_and_b32_sdwa v36, v5, s44 dst_sel:DWORD dst_unused:UNUSED_PAD src0_sel:BYTE_3 src1_sel:DWORD
                                        ; implicit-def: $vgpr35
	s_and_saveexec_b64 s[28:29], vcc
	s_xor_b64 s[36:37], exec, s[28:29]
	s_cbranch_execz .LBB6_8602
; %bb.8589:                             ;   in Loop: Header=BB6_7611 Depth=3
	v_cmp_ne_u32_e32 vcc, 0, v5
	v_mov_b32_e32 v35, 0
	s_and_saveexec_b64 s[38:39], vcc
	s_cbranch_execz .LBB6_8601
; %bb.8590:                             ;   in Loop: Header=BB6_7611 Depth=3
	v_bfe_u32 v35, v5, 23, 8
	v_cmp_gt_u32_e64 s[28:29], s45, v35
	v_sub_u32_e32 v5, 0x71, v35
	v_cmp_eq_u32_e32 vcc, 0, v35
	v_cndmask_b32_e64 v5, 0, v5, s[28:29]
	v_mov_b32_e32 v38, 0x70
	v_cndmask_b32_e32 v38, v5, v38, vcc
	v_add_u32_e32 v5, 21, v38
	v_or_b32_e32 v39, 0x800000, v3
	v_lshlrev_b64 v[48:49], v5, -1
	v_cndmask_b32_e32 v3, v39, v3, vcc
	v_add_u32_e32 v5, 20, v38
	v_bfi_b32 v48, v48, 0, v3
	v_lshlrev_b64 v[50:51], v5, 1
	v_lshrrev_b64 v[3:4], v38, v[3:4]
	v_bfi_b32 v49, v49, 0, 0
	v_cmp_eq_u64_e64 s[28:29], v[48:49], v[50:51]
	v_mov_b32_e32 v5, v4
	v_mov_b32_e32 v4, v3
	s_and_saveexec_b64 s[48:49], s[28:29]
; %bb.8591:                             ;   in Loop: Header=BB6_7611 Depth=3
	v_bfe_u32 v4, v3, 21, 1
	v_add_co_u32_e64 v4, s[28:29], v3, v4
	v_add_co_u32_e64 v4, s[28:29], -1, v4
; %bb.8592:                             ;   in Loop: Header=BB6_7611 Depth=3
	s_or_b64 exec, exec, s[48:49]
	v_add_u32_e32 v5, 0xffffff81, v35
	v_mov_b32_e32 v35, 0xffffff82
	v_cndmask_b32_e32 v5, v5, v35, vcc
	v_lshrrev_b32_e32 v35, 23, v3
	v_add3_u32 v38, v38, v5, v35
	v_add_u32_e32 v35, 14, v38
	v_and_b32_e32 v4, 0x1fffff, v4
	v_add_u32_e32 v3, v4, v3
	v_mov_b32_e32 v4, v34
	v_cmp_ne_u32_e32 vcc, 0, v35
                                        ; implicit-def: $vgpr5
	s_and_saveexec_b64 s[28:29], vcc
	s_xor_b64 s[28:29], exec, s[28:29]
; %bb.8593:                             ;   in Loop: Header=BB6_7611 Depth=3
	v_cmp_lt_u64_e32 vcc, s[88:89], v[3:4]
	v_add_u32_e32 v5, 15, v38
	v_cndmask_b32_e32 v5, v35, v5, vcc
	v_cndmask_b32_e64 v35, 0, 1, vcc
	v_lshrrev_b64 v[3:4], v35, v[3:4]
; %bb.8594:                             ;   in Loop: Header=BB6_7611 Depth=3
	s_or_saveexec_b64 s[28:29], s[28:29]
	buffer_load_dword v50, off, s[0:3], s33 offset:400 ; 4-byte Folded Reload
	buffer_load_dword v51, off, s[0:3], s33 offset:404 ; 4-byte Folded Reload
	s_xor_b64 exec, exec, s[28:29]
; %bb.8595:                             ;   in Loop: Header=BB6_7611 Depth=3
	v_bfe_u32 v5, v3, 23, 1
; %bb.8596:                             ;   in Loop: Header=BB6_7611 Depth=3
	s_or_b64 exec, exec, s[28:29]
	v_lshrrev_b64 v[3:4], 21, v[3:4]
	v_cmp_gt_i32_e32 vcc, 32, v5
	v_cndmask_b32_e32 v4, 0, v4, vcc
	v_cndmask_b32_e32 v3, 3, v3, vcc
	v_cmp_ne_u64_e32 vcc, 0, v[3:4]
	v_cmp_ne_u32_e64 s[28:29], 0, v5
	s_or_b64 s[28:29], s[28:29], vcc
                                        ; implicit-def: $vgpr35
	s_and_saveexec_b64 vcc, s[28:29]
	s_xor_b64 s[28:29], exec, vcc
; %bb.8597:                             ;   in Loop: Header=BB6_7611 Depth=3
	v_min_i32_e32 v4, 31, v5
	v_lshl_or_b32 v4, v4, 2, v36
	v_and_or_b32 v35, v3, 3, v4
                                        ; implicit-def: $vgpr36
; %bb.8598:                             ;   in Loop: Header=BB6_7611 Depth=3
	s_andn2_saveexec_b64 s[28:29], s[28:29]
; %bb.8599:                             ;   in Loop: Header=BB6_7611 Depth=3
	v_mov_b32_e32 v35, v36
; %bb.8600:                             ;   in Loop: Header=BB6_7611 Depth=3
	s_or_b64 exec, exec, s[28:29]
.LBB6_8601:                             ;   in Loop: Header=BB6_7611 Depth=3
	s_or_b64 exec, exec, s[38:39]
                                        ; implicit-def: $vgpr36
.LBB6_8602:                             ;   in Loop: Header=BB6_7611 Depth=3
	s_andn2_saveexec_b64 s[28:29], s[36:37]
; %bb.8603:                             ;   in Loop: Header=BB6_7611 Depth=3
	v_or_b32_e32 v35, 0x7b, v36
; %bb.8604:                             ;   in Loop: Header=BB6_7611 Depth=3
	s_or_b64 exec, exec, s[28:29]
                                        ; implicit-def: $vgpr5
                                        ; implicit-def: $vgpr3_vgpr4
.LBB6_8605:                             ;   in Loop: Header=BB6_7611 Depth=3
	s_andn2_saveexec_b64 s[28:29], s[34:35]
	s_cbranch_execz .LBB6_8611
; %bb.8606:                             ;   in Loop: Header=BB6_7611 Depth=3
	v_cmp_ne_u64_e32 vcc, 0, v[3:4]
                                        ; implicit-def: $vgpr35
	s_and_saveexec_b64 s[34:35], vcc
	s_xor_b64 vcc, exec, s[34:35]
; %bb.8607:                             ;   in Loop: Header=BB6_7611 Depth=3
	v_or_b32_sdwa v35, v5, s83 dst_sel:DWORD dst_unused:UNUSED_PAD src0_sel:BYTE_3 src1_sel:DWORD
                                        ; implicit-def: $vgpr5
; %bb.8608:                             ;   in Loop: Header=BB6_7611 Depth=3
	s_andn2_saveexec_b64 s[34:35], vcc
; %bb.8609:                             ;   in Loop: Header=BB6_7611 Depth=3
	v_cmp_lt_i32_e32 vcc, -1, v5
	v_mov_b32_e32 v3, 0x7c
	v_cndmask_b32_e32 v35, -4, v3, vcc
; %bb.8610:                             ;   in Loop: Header=BB6_7611 Depth=3
	s_or_b64 exec, exec, s[34:35]
.LBB6_8611:                             ;   in Loop: Header=BB6_7611 Depth=3
	s_or_b64 exec, exec, s[28:29]
	buffer_load_dword v3, off, s[0:3], s33 offset:192 ; 4-byte Folded Reload
	buffer_load_dword v4, off, s[0:3], s33 offset:196 ; 4-byte Folded Reload
	s_waitcnt vmcnt(0)
	v_mov_b32_e32 v4, 0
	v_mov_b32_e32 v36, v3
	v_cmp_ne_u16_e32 vcc, 0, v36
	v_mov_b32_e32 v3, 0
	s_and_saveexec_b64 s[28:29], vcc
	s_cbranch_execz .LBB6_8619
; %bb.8612:                             ;   in Loop: Header=BB6_7611 Depth=3
	v_cmp_ne_u16_e32 vcc, s80, v36
	v_bfrev_b32_e32 v4, 1
	s_and_saveexec_b64 s[34:35], vcc
	s_cbranch_execz .LBB6_8618
; %bb.8613:                             ;   in Loop: Header=BB6_7611 Depth=3
	v_and_b32_e32 v4, 0x7c, v36
	v_and_b32_e32 v5, 3, v36
	v_cmp_ne_u32_e32 vcc, s81, v4
                                        ; implicit-def: $vgpr4
	s_and_saveexec_b64 s[36:37], vcc
	s_xor_b64 s[36:37], exec, s[36:37]
	s_cbranch_execz .LBB6_8615
; %bb.8614:                             ;   in Loop: Header=BB6_7611 Depth=3
	buffer_load_dword v48, off, s[0:3], s33 offset:192 ; 4-byte Folded Reload
	buffer_load_dword v49, off, s[0:3], s33 offset:196 ; 4-byte Folded Reload
	v_ffbh_u32_e32 v36, v5
	v_min_u32_e32 v36, 32, v36
	s_waitcnt vmcnt(0)
	v_mov_b32_e32 v49, v34
	v_subrev_u32_e32 v38, 29, v36
	v_sub_u32_e32 v36, 30, v36
	v_and_b32_e32 v4, 0xff, v48
	v_bfe_u32 v4, v4, 2, 5
	v_lshlrev_b64 v[38:39], v38, v[48:49]
	v_cmp_eq_u32_e32 vcc, 0, v4
	v_and_b32_e32 v38, 3, v38
	v_cndmask_b32_e32 v4, v4, v36, vcc
	v_and_b32_sdwa v36, sext(v48), s82 dst_sel:DWORD dst_unused:UNUSED_PAD src0_sel:WORD_0 src1_sel:DWORD
	v_cndmask_b32_e32 v5, v5, v38, vcc
	v_lshl_add_u32 v4, v4, 23, v36
	v_lshl_or_b32 v4, v5, 21, v4
	v_add_u32_e32 v4, 0x38000000, v4
                                        ; implicit-def: $vgpr36
                                        ; implicit-def: $vgpr5
	buffer_store_dword v36, off, s[0:3], s33 offset:192 ; 4-byte Folded Spill
	s_nop 0
	buffer_store_dword v37, off, s[0:3], s33 offset:196 ; 4-byte Folded Spill
.LBB6_8615:                             ;   in Loop: Header=BB6_7611 Depth=3
	s_andn2_saveexec_b64 s[36:37], s[36:37]
	s_cbranch_execz .LBB6_8617
; %bb.8616:                             ;   in Loop: Header=BB6_7611 Depth=3
	buffer_load_dword v38, off, s[0:3], s33 offset:192 ; 4-byte Folded Reload
	buffer_load_dword v39, off, s[0:3], s33 offset:196 ; 4-byte Folded Reload
	v_mov_b32_e32 v4, 0xff800000
	v_mov_b32_e32 v36, 0x7f800000
	s_waitcnt vmcnt(1)
	v_cmp_lt_i16_e32 vcc, -1, v38
	v_cndmask_b32_e32 v4, v4, v36, vcc
	v_cmp_eq_u32_e32 vcc, 0, v5
	v_mov_b32_e32 v5, 0x7f800001
	v_cndmask_b32_e32 v4, v5, v4, vcc
.LBB6_8617:                             ;   in Loop: Header=BB6_7611 Depth=3
	s_or_b64 exec, exec, s[36:37]
.LBB6_8618:                             ;   in Loop: Header=BB6_7611 Depth=3
	s_or_b64 exec, exec, s[34:35]
.LBB6_8619:                             ;   in Loop: Header=BB6_7611 Depth=3
	s_or_b64 exec, exec, s[28:29]
	buffer_load_dword v38, off, s[0:3], s33 offset:184 ; 4-byte Folded Reload
	buffer_load_dword v39, off, s[0:3], s33 offset:188 ; 4-byte Folded Reload
	s_waitcnt vmcnt(1)
	v_mov_b32_e32 v36, v38
	v_cmp_ne_u16_e32 vcc, 0, v36
	s_and_saveexec_b64 s[28:29], vcc
	s_cbranch_execz .LBB6_8627
; %bb.8620:                             ;   in Loop: Header=BB6_7611 Depth=3
	v_cmp_ne_u16_e32 vcc, s80, v36
	v_bfrev_b32_e32 v3, 1
	s_and_saveexec_b64 s[34:35], vcc
	s_cbranch_execz .LBB6_8626
; %bb.8621:                             ;   in Loop: Header=BB6_7611 Depth=3
	v_and_b32_e32 v3, 0x7c, v36
	v_and_b32_e32 v5, 3, v36
	v_cmp_ne_u32_e32 vcc, s81, v3
                                        ; implicit-def: $vgpr3
	s_and_saveexec_b64 s[36:37], vcc
	s_xor_b64 s[36:37], exec, s[36:37]
	s_cbranch_execz .LBB6_8623
; %bb.8622:                             ;   in Loop: Header=BB6_7611 Depth=3
	buffer_load_dword v48, off, s[0:3], s33 offset:184 ; 4-byte Folded Reload
	buffer_load_dword v49, off, s[0:3], s33 offset:188 ; 4-byte Folded Reload
	v_ffbh_u32_e32 v36, v5
	v_min_u32_e32 v36, 32, v36
	s_waitcnt vmcnt(0)
	v_mov_b32_e32 v49, v34
	v_subrev_u32_e32 v38, 29, v36
	v_sub_u32_e32 v36, 30, v36
	v_and_b32_e32 v3, 0xff, v48
	v_bfe_u32 v3, v3, 2, 5
	v_lshlrev_b64 v[38:39], v38, v[48:49]
	v_cmp_eq_u32_e32 vcc, 0, v3
	v_and_b32_e32 v38, 3, v38
	v_cndmask_b32_e32 v3, v3, v36, vcc
	v_and_b32_sdwa v36, sext(v48), s82 dst_sel:DWORD dst_unused:UNUSED_PAD src0_sel:WORD_0 src1_sel:DWORD
	v_cndmask_b32_e32 v5, v5, v38, vcc
	v_lshl_add_u32 v3, v3, 23, v36
	v_lshl_or_b32 v3, v5, 21, v3
	v_add_u32_e32 v3, 0x38000000, v3
                                        ; implicit-def: $vgpr36
                                        ; implicit-def: $vgpr5
	buffer_store_dword v36, off, s[0:3], s33 offset:184 ; 4-byte Folded Spill
	s_nop 0
	buffer_store_dword v37, off, s[0:3], s33 offset:188 ; 4-byte Folded Spill
.LBB6_8623:                             ;   in Loop: Header=BB6_7611 Depth=3
	s_andn2_saveexec_b64 s[36:37], s[36:37]
	s_cbranch_execz .LBB6_8625
; %bb.8624:                             ;   in Loop: Header=BB6_7611 Depth=3
	buffer_load_dword v38, off, s[0:3], s33 offset:184 ; 4-byte Folded Reload
	buffer_load_dword v39, off, s[0:3], s33 offset:188 ; 4-byte Folded Reload
	v_mov_b32_e32 v3, 0xff800000
	v_mov_b32_e32 v36, 0x7f800000
	s_waitcnt vmcnt(1)
	v_cmp_lt_i16_e32 vcc, -1, v38
	v_cndmask_b32_e32 v3, v3, v36, vcc
	v_cmp_eq_u32_e32 vcc, 0, v5
	v_mov_b32_e32 v5, 0x7f800001
	v_cndmask_b32_e32 v3, v5, v3, vcc
.LBB6_8625:                             ;   in Loop: Header=BB6_7611 Depth=3
	s_or_b64 exec, exec, s[36:37]
.LBB6_8626:                             ;   in Loop: Header=BB6_7611 Depth=3
	s_or_b64 exec, exec, s[34:35]
.LBB6_8627:                             ;   in Loop: Header=BB6_7611 Depth=3
	s_or_b64 exec, exec, s[28:29]
	v_mul_f32_e32 v5, v4, v3
	v_and_b32_e32 v38, 0x7f800000, v5
	s_waitcnt vmcnt(0)
	v_mov_b32_e32 v39, v34
	v_cmp_ne_u64_e32 vcc, s[76:77], v[38:39]
	v_and_b32_e32 v3, 0x7fffff, v5
	v_mov_b32_e32 v4, v34
                                        ; implicit-def: $vgpr36
	s_and_saveexec_b64 s[28:29], vcc
	s_xor_b64 s[34:35], exec, s[28:29]
	s_cbranch_execz .LBB6_8645
; %bb.8628:                             ;   in Loop: Header=BB6_7611 Depth=3
	v_and_b32_e32 v38, 0x7fffffff, v5
	v_mov_b32_e32 v39, v34
	v_cmp_gt_u64_e32 vcc, s[78:79], v[38:39]
	v_and_b32_sdwa v38, v5, s44 dst_sel:DWORD dst_unused:UNUSED_PAD src0_sel:BYTE_3 src1_sel:DWORD
                                        ; implicit-def: $vgpr36
	s_and_saveexec_b64 s[28:29], vcc
	s_xor_b64 s[36:37], exec, s[28:29]
	s_cbranch_execz .LBB6_8642
; %bb.8629:                             ;   in Loop: Header=BB6_7611 Depth=3
	v_cmp_ne_u32_e32 vcc, 0, v5
	v_mov_b32_e32 v36, 0
	s_and_saveexec_b64 s[38:39], vcc
	s_cbranch_execz .LBB6_8641
; %bb.8630:                             ;   in Loop: Header=BB6_7611 Depth=3
	v_bfe_u32 v36, v5, 23, 8
	v_cmp_gt_u32_e64 s[28:29], s45, v36
	v_sub_u32_e32 v5, 0x71, v36
	v_cmp_eq_u32_e32 vcc, 0, v36
	v_cndmask_b32_e64 v5, 0, v5, s[28:29]
	v_mov_b32_e32 v39, 0x70
	v_cndmask_b32_e32 v39, v5, v39, vcc
	v_or_b32_e32 v48, 0x800000, v3
	v_add_u32_e32 v5, 21, v39
	v_cndmask_b32_e32 v3, v48, v3, vcc
	v_lshlrev_b64 v[48:49], v5, -1
	v_add_u32_e32 v5, 20, v39
	v_bfi_b32 v48, v48, 0, v3
	v_lshlrev_b64 v[50:51], v5, 1
	v_lshrrev_b64 v[3:4], v39, v[3:4]
	v_bfi_b32 v49, v49, 0, 0
	v_cmp_eq_u64_e64 s[28:29], v[48:49], v[50:51]
	v_mov_b32_e32 v5, v4
	v_mov_b32_e32 v4, v3
	s_and_saveexec_b64 s[48:49], s[28:29]
; %bb.8631:                             ;   in Loop: Header=BB6_7611 Depth=3
	v_bfe_u32 v4, v3, 21, 1
	v_add_co_u32_e64 v4, s[28:29], v3, v4
	v_add_co_u32_e64 v4, s[28:29], -1, v4
; %bb.8632:                             ;   in Loop: Header=BB6_7611 Depth=3
	s_or_b64 exec, exec, s[48:49]
	v_add_u32_e32 v5, 0xffffff81, v36
	v_mov_b32_e32 v36, 0xffffff82
	v_cndmask_b32_e32 v5, v5, v36, vcc
	v_lshrrev_b32_e32 v36, 23, v3
	v_add3_u32 v39, v39, v5, v36
	v_add_u32_e32 v36, 14, v39
	v_and_b32_e32 v4, 0x1fffff, v4
	v_add_u32_e32 v3, v4, v3
	v_mov_b32_e32 v4, v34
	v_cmp_ne_u32_e32 vcc, 0, v36
                                        ; implicit-def: $vgpr5
	s_and_saveexec_b64 s[28:29], vcc
	s_xor_b64 s[28:29], exec, s[28:29]
; %bb.8633:                             ;   in Loop: Header=BB6_7611 Depth=3
	v_cmp_lt_u64_e32 vcc, s[88:89], v[3:4]
	v_add_u32_e32 v5, 15, v39
	v_cndmask_b32_e32 v5, v36, v5, vcc
	v_cndmask_b32_e64 v36, 0, 1, vcc
	v_lshrrev_b64 v[3:4], v36, v[3:4]
; %bb.8634:                             ;   in Loop: Header=BB6_7611 Depth=3
	s_or_saveexec_b64 s[28:29], s[28:29]
	buffer_load_dword v50, off, s[0:3], s33 offset:400 ; 4-byte Folded Reload
	buffer_load_dword v51, off, s[0:3], s33 offset:404 ; 4-byte Folded Reload
	s_xor_b64 exec, exec, s[28:29]
; %bb.8635:                             ;   in Loop: Header=BB6_7611 Depth=3
	v_bfe_u32 v5, v3, 23, 1
; %bb.8636:                             ;   in Loop: Header=BB6_7611 Depth=3
	s_or_b64 exec, exec, s[28:29]
	v_lshrrev_b64 v[3:4], 21, v[3:4]
	v_cmp_gt_i32_e32 vcc, 32, v5
	v_cndmask_b32_e32 v4, 0, v4, vcc
	v_cndmask_b32_e32 v3, 3, v3, vcc
	v_cmp_ne_u64_e32 vcc, 0, v[3:4]
	v_cmp_ne_u32_e64 s[28:29], 0, v5
	s_or_b64 s[28:29], s[28:29], vcc
                                        ; implicit-def: $vgpr36
	s_and_saveexec_b64 vcc, s[28:29]
	s_xor_b64 s[28:29], exec, vcc
; %bb.8637:                             ;   in Loop: Header=BB6_7611 Depth=3
	v_min_i32_e32 v4, 31, v5
	v_lshl_or_b32 v4, v4, 2, v38
	v_and_or_b32 v36, v3, 3, v4
                                        ; implicit-def: $vgpr38
; %bb.8638:                             ;   in Loop: Header=BB6_7611 Depth=3
	s_andn2_saveexec_b64 s[28:29], s[28:29]
; %bb.8639:                             ;   in Loop: Header=BB6_7611 Depth=3
	v_mov_b32_e32 v36, v38
; %bb.8640:                             ;   in Loop: Header=BB6_7611 Depth=3
	s_or_b64 exec, exec, s[28:29]
.LBB6_8641:                             ;   in Loop: Header=BB6_7611 Depth=3
	s_or_b64 exec, exec, s[38:39]
                                        ; implicit-def: $vgpr38
.LBB6_8642:                             ;   in Loop: Header=BB6_7611 Depth=3
	s_andn2_saveexec_b64 s[28:29], s[36:37]
; %bb.8643:                             ;   in Loop: Header=BB6_7611 Depth=3
	v_or_b32_e32 v36, 0x7b, v38
; %bb.8644:                             ;   in Loop: Header=BB6_7611 Depth=3
	s_or_b64 exec, exec, s[28:29]
                                        ; implicit-def: $vgpr5
                                        ; implicit-def: $vgpr3_vgpr4
.LBB6_8645:                             ;   in Loop: Header=BB6_7611 Depth=3
	s_andn2_saveexec_b64 s[28:29], s[34:35]
	s_cbranch_execz .LBB6_8651
; %bb.8646:                             ;   in Loop: Header=BB6_7611 Depth=3
	v_cmp_ne_u64_e32 vcc, 0, v[3:4]
                                        ; implicit-def: $vgpr36
	s_and_saveexec_b64 s[34:35], vcc
	s_xor_b64 vcc, exec, s[34:35]
; %bb.8647:                             ;   in Loop: Header=BB6_7611 Depth=3
	v_or_b32_sdwa v36, v5, s83 dst_sel:DWORD dst_unused:UNUSED_PAD src0_sel:BYTE_3 src1_sel:DWORD
                                        ; implicit-def: $vgpr5
; %bb.8648:                             ;   in Loop: Header=BB6_7611 Depth=3
	s_andn2_saveexec_b64 s[34:35], vcc
; %bb.8649:                             ;   in Loop: Header=BB6_7611 Depth=3
	v_cmp_lt_i32_e32 vcc, -1, v5
	v_mov_b32_e32 v3, 0x7c
	v_cndmask_b32_e32 v36, -4, v3, vcc
; %bb.8650:                             ;   in Loop: Header=BB6_7611 Depth=3
	s_or_b64 exec, exec, s[34:35]
.LBB6_8651:                             ;   in Loop: Header=BB6_7611 Depth=3
	s_or_b64 exec, exec, s[28:29]
	buffer_load_dword v38, off, s[0:3], s33 offset:176 ; 4-byte Folded Reload
	buffer_load_dword v39, off, s[0:3], s33 offset:180 ; 4-byte Folded Reload
	v_mov_b32_e32 v3, 0
	v_mov_b32_e32 v4, 0
	s_waitcnt vmcnt(1)
	v_cmp_ne_u16_e32 vcc, 0, v38
	s_and_saveexec_b64 s[28:29], vcc
	s_cbranch_execz .LBB6_8659
; %bb.8652:                             ;   in Loop: Header=BB6_7611 Depth=3
	v_cmp_ne_u16_e32 vcc, s80, v38
	v_bfrev_b32_e32 v4, 1
	s_and_saveexec_b64 s[34:35], vcc
	s_cbranch_execz .LBB6_8658
; %bb.8653:                             ;   in Loop: Header=BB6_7611 Depth=3
	v_and_b32_e32 v4, 0x7c, v38
	v_and_b32_e32 v5, 3, v38
	v_cmp_ne_u32_e32 vcc, s81, v4
                                        ; implicit-def: $vgpr4
	s_and_saveexec_b64 s[36:37], vcc
	s_xor_b64 s[36:37], exec, s[36:37]
	s_cbranch_execz .LBB6_8655
; %bb.8654:                             ;   in Loop: Header=BB6_7611 Depth=3
	buffer_load_dword v51, off, s[0:3], s33 offset:176 ; 4-byte Folded Reload
	buffer_load_dword v52, off, s[0:3], s33 offset:180 ; 4-byte Folded Reload
	v_ffbh_u32_e32 v38, v5
	v_min_u32_e32 v48, 32, v38
	s_waitcnt vmcnt(0)
	v_mov_b32_e32 v52, v34
	v_subrev_u32_e32 v38, 29, v48
	v_and_b32_e32 v4, 0xff, v51
	v_lshlrev_b64 v[38:39], v38, v[51:52]
	v_bfe_u32 v4, v4, 2, 5
	v_sub_u32_e32 v39, 30, v48
	v_and_b32_e32 v38, 3, v38
	v_cmp_eq_u32_e32 vcc, 0, v4
	v_cndmask_b32_e32 v4, v4, v39, vcc
	v_cndmask_b32_e32 v5, v5, v38, vcc
	v_and_b32_sdwa v38, sext(v51), s82 dst_sel:DWORD dst_unused:UNUSED_PAD src0_sel:WORD_0 src1_sel:DWORD
	v_lshl_add_u32 v4, v4, 23, v38
	v_lshl_or_b32 v4, v5, 21, v4
	v_add_u32_e32 v4, 0x38000000, v4
                                        ; implicit-def: $vgpr38
                                        ; implicit-def: $vgpr5
	buffer_store_dword v38, off, s[0:3], s33 offset:176 ; 4-byte Folded Spill
	s_nop 0
	buffer_store_dword v39, off, s[0:3], s33 offset:180 ; 4-byte Folded Spill
.LBB6_8655:                             ;   in Loop: Header=BB6_7611 Depth=3
	s_andn2_saveexec_b64 s[36:37], s[36:37]
	s_cbranch_execz .LBB6_8657
; %bb.8656:                             ;   in Loop: Header=BB6_7611 Depth=3
	buffer_load_dword v38, off, s[0:3], s33 offset:176 ; 4-byte Folded Reload
	buffer_load_dword v39, off, s[0:3], s33 offset:180 ; 4-byte Folded Reload
	v_mov_b32_e32 v4, 0xff800000
	s_waitcnt vmcnt(1)
	v_cmp_lt_i16_e32 vcc, -1, v38
	v_mov_b32_e32 v38, 0x7f800000
	v_cndmask_b32_e32 v4, v4, v38, vcc
	v_cmp_eq_u32_e32 vcc, 0, v5
	v_mov_b32_e32 v5, 0x7f800001
	v_cndmask_b32_e32 v4, v5, v4, vcc
.LBB6_8657:                             ;   in Loop: Header=BB6_7611 Depth=3
	s_or_b64 exec, exec, s[36:37]
.LBB6_8658:                             ;   in Loop: Header=BB6_7611 Depth=3
	s_or_b64 exec, exec, s[34:35]
.LBB6_8659:                             ;   in Loop: Header=BB6_7611 Depth=3
	s_or_b64 exec, exec, s[28:29]
	buffer_load_dword v38, off, s[0:3], s33 offset:168 ; 4-byte Folded Reload
	buffer_load_dword v39, off, s[0:3], s33 offset:172 ; 4-byte Folded Reload
	s_waitcnt vmcnt(1)
	v_cmp_ne_u16_e32 vcc, 0, v38
	s_and_saveexec_b64 s[28:29], vcc
	s_cbranch_execz .LBB6_8667
; %bb.8660:                             ;   in Loop: Header=BB6_7611 Depth=3
	v_cmp_ne_u16_e32 vcc, s80, v38
	v_bfrev_b32_e32 v3, 1
	s_and_saveexec_b64 s[34:35], vcc
	s_cbranch_execz .LBB6_8666
; %bb.8661:                             ;   in Loop: Header=BB6_7611 Depth=3
	v_and_b32_e32 v3, 0x7c, v38
	v_and_b32_e32 v5, 3, v38
	v_cmp_ne_u32_e32 vcc, s81, v3
                                        ; implicit-def: $vgpr3
	s_and_saveexec_b64 s[36:37], vcc
	s_xor_b64 s[36:37], exec, s[36:37]
	s_cbranch_execz .LBB6_8663
; %bb.8662:                             ;   in Loop: Header=BB6_7611 Depth=3
	buffer_load_dword v51, off, s[0:3], s33 offset:168 ; 4-byte Folded Reload
	buffer_load_dword v52, off, s[0:3], s33 offset:172 ; 4-byte Folded Reload
	v_ffbh_u32_e32 v38, v5
	v_min_u32_e32 v48, 32, v38
	s_waitcnt vmcnt(0)
	v_mov_b32_e32 v52, v34
	v_subrev_u32_e32 v38, 29, v48
	v_and_b32_e32 v3, 0xff, v51
	v_lshlrev_b64 v[38:39], v38, v[51:52]
	v_bfe_u32 v3, v3, 2, 5
	v_sub_u32_e32 v39, 30, v48
	v_and_b32_e32 v38, 3, v38
	v_cmp_eq_u32_e32 vcc, 0, v3
	v_cndmask_b32_e32 v3, v3, v39, vcc
	v_cndmask_b32_e32 v5, v5, v38, vcc
	v_and_b32_sdwa v38, sext(v51), s82 dst_sel:DWORD dst_unused:UNUSED_PAD src0_sel:WORD_0 src1_sel:DWORD
	v_lshl_add_u32 v3, v3, 23, v38
	v_lshl_or_b32 v3, v5, 21, v3
	v_add_u32_e32 v3, 0x38000000, v3
                                        ; implicit-def: $vgpr38
                                        ; implicit-def: $vgpr5
	buffer_store_dword v38, off, s[0:3], s33 offset:168 ; 4-byte Folded Spill
	s_nop 0
	buffer_store_dword v39, off, s[0:3], s33 offset:172 ; 4-byte Folded Spill
.LBB6_8663:                             ;   in Loop: Header=BB6_7611 Depth=3
	s_andn2_saveexec_b64 s[36:37], s[36:37]
	s_cbranch_execz .LBB6_8665
; %bb.8664:                             ;   in Loop: Header=BB6_7611 Depth=3
	buffer_load_dword v38, off, s[0:3], s33 offset:168 ; 4-byte Folded Reload
	buffer_load_dword v39, off, s[0:3], s33 offset:172 ; 4-byte Folded Reload
	v_mov_b32_e32 v3, 0xff800000
	s_waitcnt vmcnt(1)
	v_cmp_lt_i16_e32 vcc, -1, v38
	v_mov_b32_e32 v38, 0x7f800000
	v_cndmask_b32_e32 v3, v3, v38, vcc
	v_cmp_eq_u32_e32 vcc, 0, v5
	v_mov_b32_e32 v5, 0x7f800001
	v_cndmask_b32_e32 v3, v5, v3, vcc
.LBB6_8665:                             ;   in Loop: Header=BB6_7611 Depth=3
	s_or_b64 exec, exec, s[36:37]
.LBB6_8666:                             ;   in Loop: Header=BB6_7611 Depth=3
	s_or_b64 exec, exec, s[34:35]
.LBB6_8667:                             ;   in Loop: Header=BB6_7611 Depth=3
	s_or_b64 exec, exec, s[28:29]
	v_mul_f32_e32 v5, v4, v3
	v_and_b32_e32 v38, 0x7f800000, v5
	s_waitcnt vmcnt(0)
	v_mov_b32_e32 v39, v34
	v_cmp_ne_u64_e32 vcc, s[76:77], v[38:39]
	v_and_b32_e32 v3, 0x7fffff, v5
	v_mov_b32_e32 v4, v34
                                        ; implicit-def: $vgpr38
	s_and_saveexec_b64 s[28:29], vcc
	s_xor_b64 s[34:35], exec, s[28:29]
	s_cbranch_execz .LBB6_8685
; %bb.8668:                             ;   in Loop: Header=BB6_7611 Depth=3
	v_and_b32_e32 v38, 0x7fffffff, v5
	v_mov_b32_e32 v39, v34
	v_cmp_gt_u64_e32 vcc, s[78:79], v[38:39]
	v_and_b32_sdwa v39, v5, s44 dst_sel:DWORD dst_unused:UNUSED_PAD src0_sel:BYTE_3 src1_sel:DWORD
                                        ; implicit-def: $vgpr38
	s_and_saveexec_b64 s[28:29], vcc
	s_xor_b64 s[36:37], exec, s[28:29]
	s_cbranch_execz .LBB6_8682
; %bb.8669:                             ;   in Loop: Header=BB6_7611 Depth=3
	v_cmp_ne_u32_e32 vcc, 0, v5
	v_mov_b32_e32 v38, 0
	s_and_saveexec_b64 s[38:39], vcc
	s_cbranch_execz .LBB6_8681
; %bb.8670:                             ;   in Loop: Header=BB6_7611 Depth=3
	v_bfe_u32 v38, v5, 23, 8
	v_cmp_gt_u32_e64 s[28:29], s45, v38
	v_sub_u32_e32 v5, 0x71, v38
	v_cmp_eq_u32_e32 vcc, 0, v38
	v_cndmask_b32_e64 v5, 0, v5, s[28:29]
	v_mov_b32_e32 v49, 0x70
	v_cndmask_b32_e32 v49, v5, v49, vcc
	v_add_u32_e32 v5, 21, v49
	v_or_b32_e32 v48, 0x800000, v3
	v_lshlrev_b64 v[50:51], v5, -1
	v_cndmask_b32_e32 v3, v48, v3, vcc
	v_add_u32_e32 v5, 20, v49
	v_bfi_b32 v50, v50, 0, v3
	v_lshlrev_b64 v[52:53], v5, 1
	v_lshrrev_b64 v[3:4], v49, v[3:4]
	v_bfi_b32 v51, v51, 0, 0
	v_cmp_eq_u64_e64 s[28:29], v[50:51], v[52:53]
	v_mov_b32_e32 v5, v4
	v_mov_b32_e32 v4, v3
	s_and_saveexec_b64 s[48:49], s[28:29]
; %bb.8671:                             ;   in Loop: Header=BB6_7611 Depth=3
	v_bfe_u32 v4, v3, 21, 1
	v_add_co_u32_e64 v4, s[28:29], v3, v4
	v_add_co_u32_e64 v4, s[28:29], -1, v4
; %bb.8672:                             ;   in Loop: Header=BB6_7611 Depth=3
	s_or_b64 exec, exec, s[48:49]
	v_add_u32_e32 v5, 0xffffff81, v38
	v_mov_b32_e32 v38, 0xffffff82
	v_cndmask_b32_e32 v5, v5, v38, vcc
	v_lshrrev_b32_e32 v38, 23, v3
	v_add3_u32 v49, v49, v5, v38
	v_add_u32_e32 v38, 14, v49
	v_and_b32_e32 v4, 0x1fffff, v4
	v_add_u32_e32 v3, v4, v3
	v_mov_b32_e32 v4, v34
	v_cmp_ne_u32_e32 vcc, 0, v38
                                        ; implicit-def: $vgpr5
	s_and_saveexec_b64 s[28:29], vcc
	s_xor_b64 s[28:29], exec, s[28:29]
; %bb.8673:                             ;   in Loop: Header=BB6_7611 Depth=3
	v_cmp_lt_u64_e32 vcc, s[88:89], v[3:4]
	v_add_u32_e32 v5, 15, v49
	v_cndmask_b32_e32 v5, v38, v5, vcc
	v_cndmask_b32_e64 v38, 0, 1, vcc
	v_lshrrev_b64 v[3:4], v38, v[3:4]
; %bb.8674:                             ;   in Loop: Header=BB6_7611 Depth=3
	s_or_saveexec_b64 s[28:29], s[28:29]
	buffer_load_dword v50, off, s[0:3], s33 offset:400 ; 4-byte Folded Reload
	buffer_load_dword v51, off, s[0:3], s33 offset:404 ; 4-byte Folded Reload
	s_xor_b64 exec, exec, s[28:29]
; %bb.8675:                             ;   in Loop: Header=BB6_7611 Depth=3
	v_bfe_u32 v5, v3, 23, 1
; %bb.8676:                             ;   in Loop: Header=BB6_7611 Depth=3
	s_or_b64 exec, exec, s[28:29]
	v_lshrrev_b64 v[3:4], 21, v[3:4]
	v_cmp_gt_i32_e32 vcc, 32, v5
	v_cndmask_b32_e32 v4, 0, v4, vcc
	v_cndmask_b32_e32 v3, 3, v3, vcc
	v_cmp_ne_u64_e32 vcc, 0, v[3:4]
	v_cmp_ne_u32_e64 s[28:29], 0, v5
	s_or_b64 s[28:29], s[28:29], vcc
                                        ; implicit-def: $vgpr38
	s_and_saveexec_b64 vcc, s[28:29]
	s_xor_b64 s[28:29], exec, vcc
; %bb.8677:                             ;   in Loop: Header=BB6_7611 Depth=3
	v_min_i32_e32 v4, 31, v5
	v_lshl_or_b32 v4, v4, 2, v39
	v_and_or_b32 v38, v3, 3, v4
                                        ; implicit-def: $vgpr39
; %bb.8678:                             ;   in Loop: Header=BB6_7611 Depth=3
	s_andn2_saveexec_b64 s[28:29], s[28:29]
; %bb.8679:                             ;   in Loop: Header=BB6_7611 Depth=3
	v_mov_b32_e32 v38, v39
; %bb.8680:                             ;   in Loop: Header=BB6_7611 Depth=3
	s_or_b64 exec, exec, s[28:29]
.LBB6_8681:                             ;   in Loop: Header=BB6_7611 Depth=3
	s_or_b64 exec, exec, s[38:39]
                                        ; implicit-def: $vgpr39
.LBB6_8682:                             ;   in Loop: Header=BB6_7611 Depth=3
	s_andn2_saveexec_b64 s[28:29], s[36:37]
; %bb.8683:                             ;   in Loop: Header=BB6_7611 Depth=3
	v_or_b32_e32 v38, 0x7b, v39
; %bb.8684:                             ;   in Loop: Header=BB6_7611 Depth=3
	s_or_b64 exec, exec, s[28:29]
                                        ; implicit-def: $vgpr5
                                        ; implicit-def: $vgpr3_vgpr4
.LBB6_8685:                             ;   in Loop: Header=BB6_7611 Depth=3
	s_andn2_saveexec_b64 s[28:29], s[34:35]
	s_cbranch_execz .LBB6_8691
; %bb.8686:                             ;   in Loop: Header=BB6_7611 Depth=3
	v_cmp_ne_u64_e32 vcc, 0, v[3:4]
                                        ; implicit-def: $vgpr38
	s_and_saveexec_b64 s[34:35], vcc
	s_xor_b64 vcc, exec, s[34:35]
; %bb.8687:                             ;   in Loop: Header=BB6_7611 Depth=3
	v_or_b32_sdwa v38, v5, s83 dst_sel:DWORD dst_unused:UNUSED_PAD src0_sel:BYTE_3 src1_sel:DWORD
                                        ; implicit-def: $vgpr5
; %bb.8688:                             ;   in Loop: Header=BB6_7611 Depth=3
	s_andn2_saveexec_b64 s[34:35], vcc
; %bb.8689:                             ;   in Loop: Header=BB6_7611 Depth=3
	v_cmp_lt_i32_e32 vcc, -1, v5
	v_mov_b32_e32 v3, 0x7c
	v_cndmask_b32_e32 v38, -4, v3, vcc
; %bb.8690:                             ;   in Loop: Header=BB6_7611 Depth=3
	s_or_b64 exec, exec, s[34:35]
.LBB6_8691:                             ;   in Loop: Header=BB6_7611 Depth=3
	s_or_b64 exec, exec, s[28:29]
	buffer_load_dword v48, off, s[0:3], s33 offset:160 ; 4-byte Folded Reload
	buffer_load_dword v49, off, s[0:3], s33 offset:164 ; 4-byte Folded Reload
	v_mov_b32_e32 v3, 0
	v_mov_b32_e32 v4, 0
	s_waitcnt vmcnt(1)
	v_cmp_ne_u16_e32 vcc, 0, v48
	s_and_saveexec_b64 s[28:29], vcc
	s_cbranch_execz .LBB6_8699
; %bb.8692:                             ;   in Loop: Header=BB6_7611 Depth=3
	v_cmp_ne_u16_e32 vcc, s80, v48
	v_bfrev_b32_e32 v4, 1
	s_and_saveexec_b64 s[34:35], vcc
	s_cbranch_execz .LBB6_8698
; %bb.8693:                             ;   in Loop: Header=BB6_7611 Depth=3
	v_and_b32_e32 v4, 0x7c, v48
	v_and_b32_e32 v5, 3, v48
	v_cmp_ne_u32_e32 vcc, s81, v4
                                        ; implicit-def: $vgpr4
	s_and_saveexec_b64 s[36:37], vcc
	s_xor_b64 s[36:37], exec, s[36:37]
	s_cbranch_execz .LBB6_8695
; %bb.8694:                             ;   in Loop: Header=BB6_7611 Depth=3
	buffer_load_dword v51, off, s[0:3], s33 offset:160 ; 4-byte Folded Reload
	buffer_load_dword v52, off, s[0:3], s33 offset:164 ; 4-byte Folded Reload
	v_ffbh_u32_e32 v39, v5
	v_min_u32_e32 v39, 32, v39
	s_waitcnt vmcnt(0)
	v_mov_b32_e32 v52, v34
	v_subrev_u32_e32 v48, 29, v39
	v_sub_u32_e32 v39, 30, v39
	v_and_b32_e32 v4, 0xff, v51
	v_bfe_u32 v4, v4, 2, 5
	v_lshlrev_b64 v[48:49], v48, v[51:52]
	v_cmp_eq_u32_e32 vcc, 0, v4
	v_and_b32_e32 v48, 3, v48
	v_cndmask_b32_e32 v4, v4, v39, vcc
	v_and_b32_sdwa v39, sext(v51), s82 dst_sel:DWORD dst_unused:UNUSED_PAD src0_sel:WORD_0 src1_sel:DWORD
	v_cndmask_b32_e32 v5, v5, v48, vcc
	v_lshl_add_u32 v4, v4, 23, v39
	v_lshl_or_b32 v4, v5, 21, v4
	v_add_u32_e32 v4, 0x38000000, v4
                                        ; implicit-def: $vgpr48
                                        ; implicit-def: $vgpr5
	buffer_store_dword v48, off, s[0:3], s33 offset:160 ; 4-byte Folded Spill
	s_nop 0
	buffer_store_dword v49, off, s[0:3], s33 offset:164 ; 4-byte Folded Spill
.LBB6_8695:                             ;   in Loop: Header=BB6_7611 Depth=3
	s_andn2_saveexec_b64 s[36:37], s[36:37]
	s_cbranch_execz .LBB6_8697
; %bb.8696:                             ;   in Loop: Header=BB6_7611 Depth=3
	buffer_load_dword v48, off, s[0:3], s33 offset:160 ; 4-byte Folded Reload
	buffer_load_dword v49, off, s[0:3], s33 offset:164 ; 4-byte Folded Reload
	v_mov_b32_e32 v4, 0xff800000
	v_mov_b32_e32 v39, 0x7f800000
	s_waitcnt vmcnt(1)
	v_cmp_lt_i16_e32 vcc, -1, v48
	v_cndmask_b32_e32 v4, v4, v39, vcc
	v_cmp_eq_u32_e32 vcc, 0, v5
	v_mov_b32_e32 v5, 0x7f800001
	v_cndmask_b32_e32 v4, v5, v4, vcc
.LBB6_8697:                             ;   in Loop: Header=BB6_7611 Depth=3
	s_or_b64 exec, exec, s[36:37]
.LBB6_8698:                             ;   in Loop: Header=BB6_7611 Depth=3
	s_or_b64 exec, exec, s[34:35]
.LBB6_8699:                             ;   in Loop: Header=BB6_7611 Depth=3
	s_or_b64 exec, exec, s[28:29]
	v_cmp_ne_u16_e32 vcc, 0, v50
	s_and_saveexec_b64 s[28:29], vcc
	s_cbranch_execz .LBB6_8707
; %bb.8700:                             ;   in Loop: Header=BB6_7611 Depth=3
	v_cmp_ne_u16_e32 vcc, s80, v50
	v_bfrev_b32_e32 v3, 1
	s_and_saveexec_b64 s[34:35], vcc
	s_cbranch_execz .LBB6_8706
; %bb.8701:                             ;   in Loop: Header=BB6_7611 Depth=3
	v_and_b32_e32 v3, 0x7c, v50
	v_and_b32_e32 v5, 3, v50
	v_cmp_ne_u32_e32 vcc, s81, v3
                                        ; implicit-def: $vgpr3
	s_and_saveexec_b64 s[36:37], vcc
	s_xor_b64 s[36:37], exec, s[36:37]
	s_cbranch_execz .LBB6_8703
; %bb.8702:                             ;   in Loop: Header=BB6_7611 Depth=3
	v_ffbh_u32_e32 v39, v5
	v_min_u32_e32 v39, 32, v39
	v_and_b32_e32 v3, 0xff, v50
	v_mov_b32_e32 v51, v34
	v_subrev_u32_e32 v48, 29, v39
	v_bfe_u32 v3, v3, 2, 5
	s_waitcnt vmcnt(0)
	v_lshlrev_b64 v[48:49], v48, v[50:51]
	v_sub_u32_e32 v39, 30, v39
	v_cmp_eq_u32_e32 vcc, 0, v3
	v_and_b32_e32 v48, 3, v48
	v_cndmask_b32_e32 v3, v3, v39, vcc
	v_and_b32_sdwa v39, sext(v50), s82 dst_sel:DWORD dst_unused:UNUSED_PAD src0_sel:WORD_0 src1_sel:DWORD
	v_cndmask_b32_e32 v5, v5, v48, vcc
	v_lshl_add_u32 v3, v3, 23, v39
	v_lshl_or_b32 v3, v5, 21, v3
	v_add_u32_e32 v3, 0x38000000, v3
                                        ; implicit-def: $vgpr5
                                        ; implicit-def: $vgpr50
.LBB6_8703:                             ;   in Loop: Header=BB6_7611 Depth=3
	s_andn2_saveexec_b64 s[36:37], s[36:37]
; %bb.8704:                             ;   in Loop: Header=BB6_7611 Depth=3
	v_cmp_lt_i16_e32 vcc, -1, v50
	v_mov_b32_e32 v3, 0xff800000
	v_mov_b32_e32 v39, 0x7f800000
	v_cndmask_b32_e32 v3, v3, v39, vcc
	v_cmp_eq_u32_e32 vcc, 0, v5
	v_mov_b32_e32 v5, 0x7f800001
	v_cndmask_b32_e32 v3, v5, v3, vcc
; %bb.8705:                             ;   in Loop: Header=BB6_7611 Depth=3
	s_or_b64 exec, exec, s[36:37]
.LBB6_8706:                             ;   in Loop: Header=BB6_7611 Depth=3
	s_or_b64 exec, exec, s[34:35]
.LBB6_8707:                             ;   in Loop: Header=BB6_7611 Depth=3
	s_or_b64 exec, exec, s[28:29]
	v_mul_f32_e32 v5, v4, v3
	v_and_b32_e32 v48, 0x7f800000, v5
	s_waitcnt vmcnt(0)
	v_mov_b32_e32 v49, v34
	v_cmp_ne_u64_e32 vcc, s[76:77], v[48:49]
	v_and_b32_e32 v3, 0x7fffff, v5
	v_mov_b32_e32 v4, v34
                                        ; implicit-def: $vgpr39
	s_and_saveexec_b64 s[28:29], vcc
	s_xor_b64 s[34:35], exec, s[28:29]
	s_cbranch_execz .LBB6_8725
; %bb.8708:                             ;   in Loop: Header=BB6_7611 Depth=3
	v_and_b32_e32 v48, 0x7fffffff, v5
	v_mov_b32_e32 v49, v34
	v_cmp_gt_u64_e32 vcc, s[78:79], v[48:49]
	v_and_b32_sdwa v49, v5, s44 dst_sel:DWORD dst_unused:UNUSED_PAD src0_sel:BYTE_3 src1_sel:DWORD
                                        ; implicit-def: $vgpr39
	s_and_saveexec_b64 s[28:29], vcc
	s_xor_b64 s[36:37], exec, s[28:29]
	s_cbranch_execz .LBB6_8722
; %bb.8709:                             ;   in Loop: Header=BB6_7611 Depth=3
	v_cmp_ne_u32_e32 vcc, 0, v5
	v_mov_b32_e32 v39, 0
	s_and_saveexec_b64 s[38:39], vcc
	s_cbranch_execz .LBB6_8721
; %bb.8710:                             ;   in Loop: Header=BB6_7611 Depth=3
	v_bfe_u32 v39, v5, 23, 8
	v_cmp_gt_u32_e64 s[28:29], s45, v39
	v_sub_u32_e32 v5, 0x71, v39
	v_cmp_eq_u32_e32 vcc, 0, v39
	v_cndmask_b32_e64 v5, 0, v5, s[28:29]
	v_mov_b32_e32 v50, 0x70
	v_cndmask_b32_e32 v50, v5, v50, vcc
	v_add_u32_e32 v5, 21, v50
	v_or_b32_e32 v48, 0x800000, v3
	v_lshlrev_b64 v[51:52], v5, -1
	v_cndmask_b32_e32 v3, v48, v3, vcc
	v_add_u32_e32 v5, 20, v50
	v_bfi_b32 v51, v51, 0, v3
	v_lshlrev_b64 v[53:54], v5, 1
	v_lshrrev_b64 v[3:4], v50, v[3:4]
	v_bfi_b32 v52, v52, 0, 0
	v_cmp_eq_u64_e64 s[28:29], v[51:52], v[53:54]
	v_mov_b32_e32 v5, v4
	v_mov_b32_e32 v4, v3
	s_and_saveexec_b64 s[48:49], s[28:29]
; %bb.8711:                             ;   in Loop: Header=BB6_7611 Depth=3
	v_bfe_u32 v4, v3, 21, 1
	v_add_co_u32_e64 v4, s[28:29], v3, v4
	v_add_co_u32_e64 v4, s[28:29], -1, v4
; %bb.8712:                             ;   in Loop: Header=BB6_7611 Depth=3
	s_or_b64 exec, exec, s[48:49]
	v_add_u32_e32 v5, 0xffffff81, v39
	v_mov_b32_e32 v39, 0xffffff82
	v_cndmask_b32_e32 v5, v5, v39, vcc
	v_lshrrev_b32_e32 v39, 23, v3
	v_add3_u32 v50, v50, v5, v39
	v_add_u32_e32 v39, 14, v50
	v_and_b32_e32 v4, 0x1fffff, v4
	v_add_u32_e32 v3, v4, v3
	v_mov_b32_e32 v4, v34
	v_cmp_ne_u32_e32 vcc, 0, v39
                                        ; implicit-def: $vgpr5
	s_and_saveexec_b64 s[28:29], vcc
	s_xor_b64 s[28:29], exec, s[28:29]
; %bb.8713:                             ;   in Loop: Header=BB6_7611 Depth=3
	v_cmp_lt_u64_e32 vcc, s[88:89], v[3:4]
	v_add_u32_e32 v5, 15, v50
	v_cndmask_b32_e32 v5, v39, v5, vcc
	v_cndmask_b32_e64 v39, 0, 1, vcc
	v_lshrrev_b64 v[3:4], v39, v[3:4]
; %bb.8714:                             ;   in Loop: Header=BB6_7611 Depth=3
	s_andn2_saveexec_b64 s[28:29], s[28:29]
; %bb.8715:                             ;   in Loop: Header=BB6_7611 Depth=3
	v_bfe_u32 v5, v3, 23, 1
; %bb.8716:                             ;   in Loop: Header=BB6_7611 Depth=3
	s_or_b64 exec, exec, s[28:29]
	v_lshrrev_b64 v[3:4], 21, v[3:4]
	v_cmp_gt_i32_e32 vcc, 32, v5
	v_cndmask_b32_e32 v4, 0, v4, vcc
	v_cndmask_b32_e32 v3, 3, v3, vcc
	v_cmp_ne_u64_e32 vcc, 0, v[3:4]
	v_cmp_ne_u32_e64 s[28:29], 0, v5
	s_or_b64 s[28:29], s[28:29], vcc
                                        ; implicit-def: $vgpr39
	s_and_saveexec_b64 vcc, s[28:29]
	s_xor_b64 s[28:29], exec, vcc
; %bb.8717:                             ;   in Loop: Header=BB6_7611 Depth=3
	v_min_i32_e32 v4, 31, v5
	v_lshl_or_b32 v4, v4, 2, v49
	v_and_or_b32 v39, v3, 3, v4
                                        ; implicit-def: $vgpr49
; %bb.8718:                             ;   in Loop: Header=BB6_7611 Depth=3
	s_andn2_saveexec_b64 s[28:29], s[28:29]
; %bb.8719:                             ;   in Loop: Header=BB6_7611 Depth=3
	v_mov_b32_e32 v39, v49
; %bb.8720:                             ;   in Loop: Header=BB6_7611 Depth=3
	s_or_b64 exec, exec, s[28:29]
.LBB6_8721:                             ;   in Loop: Header=BB6_7611 Depth=3
	s_or_b64 exec, exec, s[38:39]
                                        ; implicit-def: $vgpr49
.LBB6_8722:                             ;   in Loop: Header=BB6_7611 Depth=3
	s_andn2_saveexec_b64 s[28:29], s[36:37]
; %bb.8723:                             ;   in Loop: Header=BB6_7611 Depth=3
	v_or_b32_e32 v39, 0x7b, v49
; %bb.8724:                             ;   in Loop: Header=BB6_7611 Depth=3
	s_or_b64 exec, exec, s[28:29]
                                        ; implicit-def: $vgpr5
                                        ; implicit-def: $vgpr3_vgpr4
.LBB6_8725:                             ;   in Loop: Header=BB6_7611 Depth=3
	s_andn2_saveexec_b64 s[28:29], s[34:35]
	s_cbranch_execz .LBB6_8731
; %bb.8726:                             ;   in Loop: Header=BB6_7611 Depth=3
	v_cmp_ne_u64_e32 vcc, 0, v[3:4]
                                        ; implicit-def: $vgpr39
	s_and_saveexec_b64 s[34:35], vcc
	s_xor_b64 vcc, exec, s[34:35]
; %bb.8727:                             ;   in Loop: Header=BB6_7611 Depth=3
	v_or_b32_sdwa v39, v5, s83 dst_sel:DWORD dst_unused:UNUSED_PAD src0_sel:BYTE_3 src1_sel:DWORD
                                        ; implicit-def: $vgpr5
; %bb.8728:                             ;   in Loop: Header=BB6_7611 Depth=3
	s_andn2_saveexec_b64 s[34:35], vcc
; %bb.8729:                             ;   in Loop: Header=BB6_7611 Depth=3
	v_cmp_lt_i32_e32 vcc, -1, v5
	v_mov_b32_e32 v3, 0x7c
	v_cndmask_b32_e32 v39, -4, v3, vcc
; %bb.8730:                             ;   in Loop: Header=BB6_7611 Depth=3
	s_or_b64 exec, exec, s[34:35]
.LBB6_8731:                             ;   in Loop: Header=BB6_7611 Depth=3
	s_or_b64 exec, exec, s[28:29]
	buffer_load_dword v48, off, s[0:3], s33 offset:152 ; 4-byte Folded Reload
	buffer_load_dword v49, off, s[0:3], s33 offset:156 ; 4-byte Folded Reload
	v_mov_b32_e32 v3, 0
	v_mov_b32_e32 v4, 0
	s_waitcnt vmcnt(1)
	v_cmp_ne_u16_e32 vcc, 0, v48
	s_and_saveexec_b64 s[28:29], vcc
	s_cbranch_execz .LBB6_8739
; %bb.8732:                             ;   in Loop: Header=BB6_7611 Depth=3
	v_cmp_ne_u16_e32 vcc, s80, v48
	v_bfrev_b32_e32 v4, 1
	s_and_saveexec_b64 s[34:35], vcc
	s_cbranch_execz .LBB6_8738
; %bb.8733:                             ;   in Loop: Header=BB6_7611 Depth=3
	v_and_b32_e32 v4, 0x7c, v48
	v_and_b32_e32 v5, 3, v48
	v_cmp_ne_u32_e32 vcc, s81, v4
                                        ; implicit-def: $vgpr4
	s_and_saveexec_b64 s[36:37], vcc
	s_xor_b64 s[36:37], exec, s[36:37]
	s_cbranch_execz .LBB6_8735
; %bb.8734:                             ;   in Loop: Header=BB6_7611 Depth=3
	buffer_load_dword v51, off, s[0:3], s33 offset:152 ; 4-byte Folded Reload
	buffer_load_dword v52, off, s[0:3], s33 offset:156 ; 4-byte Folded Reload
	v_ffbh_u32_e32 v48, v5
	v_min_u32_e32 v50, 32, v48
	s_waitcnt vmcnt(0)
	v_mov_b32_e32 v52, v34
	v_subrev_u32_e32 v48, 29, v50
	v_and_b32_e32 v4, 0xff, v51
	v_lshlrev_b64 v[48:49], v48, v[51:52]
	v_bfe_u32 v4, v4, 2, 5
	v_sub_u32_e32 v49, 30, v50
	v_and_b32_e32 v48, 3, v48
	v_cmp_eq_u32_e32 vcc, 0, v4
	v_cndmask_b32_e32 v4, v4, v49, vcc
	v_cndmask_b32_e32 v5, v5, v48, vcc
	v_and_b32_sdwa v48, sext(v51), s82 dst_sel:DWORD dst_unused:UNUSED_PAD src0_sel:WORD_0 src1_sel:DWORD
	v_lshl_add_u32 v4, v4, 23, v48
	v_lshl_or_b32 v4, v5, 21, v4
	v_add_u32_e32 v4, 0x38000000, v4
                                        ; implicit-def: $vgpr48
                                        ; implicit-def: $vgpr5
	buffer_store_dword v48, off, s[0:3], s33 offset:152 ; 4-byte Folded Spill
	s_nop 0
	buffer_store_dword v49, off, s[0:3], s33 offset:156 ; 4-byte Folded Spill
.LBB6_8735:                             ;   in Loop: Header=BB6_7611 Depth=3
	s_andn2_saveexec_b64 s[36:37], s[36:37]
	s_cbranch_execz .LBB6_8737
; %bb.8736:                             ;   in Loop: Header=BB6_7611 Depth=3
	buffer_load_dword v48, off, s[0:3], s33 offset:152 ; 4-byte Folded Reload
	buffer_load_dword v49, off, s[0:3], s33 offset:156 ; 4-byte Folded Reload
	v_mov_b32_e32 v4, 0xff800000
	s_waitcnt vmcnt(1)
	v_cmp_lt_i16_e32 vcc, -1, v48
	v_mov_b32_e32 v48, 0x7f800000
	v_cndmask_b32_e32 v4, v4, v48, vcc
	v_cmp_eq_u32_e32 vcc, 0, v5
	v_mov_b32_e32 v5, 0x7f800001
	v_cndmask_b32_e32 v4, v5, v4, vcc
.LBB6_8737:                             ;   in Loop: Header=BB6_7611 Depth=3
	s_or_b64 exec, exec, s[36:37]
.LBB6_8738:                             ;   in Loop: Header=BB6_7611 Depth=3
	s_or_b64 exec, exec, s[34:35]
.LBB6_8739:                             ;   in Loop: Header=BB6_7611 Depth=3
	s_or_b64 exec, exec, s[28:29]
	buffer_load_dword v48, off, s[0:3], s33 offset:144 ; 4-byte Folded Reload
	buffer_load_dword v49, off, s[0:3], s33 offset:148 ; 4-byte Folded Reload
	s_waitcnt vmcnt(1)
	v_cmp_ne_u16_e32 vcc, 0, v48
	s_and_saveexec_b64 s[28:29], vcc
	s_cbranch_execz .LBB6_8747
; %bb.8740:                             ;   in Loop: Header=BB6_7611 Depth=3
	v_cmp_ne_u16_e32 vcc, s80, v48
	v_bfrev_b32_e32 v3, 1
	s_and_saveexec_b64 s[34:35], vcc
	s_cbranch_execz .LBB6_8746
; %bb.8741:                             ;   in Loop: Header=BB6_7611 Depth=3
	v_and_b32_e32 v3, 0x7c, v48
	v_and_b32_e32 v5, 3, v48
	v_cmp_ne_u32_e32 vcc, s81, v3
                                        ; implicit-def: $vgpr3
	s_and_saveexec_b64 s[36:37], vcc
	s_xor_b64 s[36:37], exec, s[36:37]
	s_cbranch_execz .LBB6_8743
; %bb.8742:                             ;   in Loop: Header=BB6_7611 Depth=3
	buffer_load_dword v51, off, s[0:3], s33 offset:144 ; 4-byte Folded Reload
	buffer_load_dword v52, off, s[0:3], s33 offset:148 ; 4-byte Folded Reload
	v_ffbh_u32_e32 v48, v5
	v_min_u32_e32 v50, 32, v48
	s_waitcnt vmcnt(0)
	v_mov_b32_e32 v52, v34
	v_subrev_u32_e32 v48, 29, v50
	v_and_b32_e32 v3, 0xff, v51
	v_lshlrev_b64 v[48:49], v48, v[51:52]
	v_bfe_u32 v3, v3, 2, 5
	v_sub_u32_e32 v49, 30, v50
	v_and_b32_e32 v48, 3, v48
	v_cmp_eq_u32_e32 vcc, 0, v3
	v_cndmask_b32_e32 v3, v3, v49, vcc
	v_cndmask_b32_e32 v5, v5, v48, vcc
	v_and_b32_sdwa v48, sext(v51), s82 dst_sel:DWORD dst_unused:UNUSED_PAD src0_sel:WORD_0 src1_sel:DWORD
	v_lshl_add_u32 v3, v3, 23, v48
	v_lshl_or_b32 v3, v5, 21, v3
	v_add_u32_e32 v3, 0x38000000, v3
                                        ; implicit-def: $vgpr48
                                        ; implicit-def: $vgpr5
	buffer_store_dword v48, off, s[0:3], s33 offset:144 ; 4-byte Folded Spill
	s_nop 0
	buffer_store_dword v49, off, s[0:3], s33 offset:148 ; 4-byte Folded Spill
.LBB6_8743:                             ;   in Loop: Header=BB6_7611 Depth=3
	s_andn2_saveexec_b64 s[36:37], s[36:37]
	s_cbranch_execz .LBB6_8745
; %bb.8744:                             ;   in Loop: Header=BB6_7611 Depth=3
	buffer_load_dword v48, off, s[0:3], s33 offset:144 ; 4-byte Folded Reload
	buffer_load_dword v49, off, s[0:3], s33 offset:148 ; 4-byte Folded Reload
	v_mov_b32_e32 v3, 0xff800000
	s_waitcnt vmcnt(1)
	v_cmp_lt_i16_e32 vcc, -1, v48
	v_mov_b32_e32 v48, 0x7f800000
	v_cndmask_b32_e32 v3, v3, v48, vcc
	v_cmp_eq_u32_e32 vcc, 0, v5
	v_mov_b32_e32 v5, 0x7f800001
	v_cndmask_b32_e32 v3, v5, v3, vcc
.LBB6_8745:                             ;   in Loop: Header=BB6_7611 Depth=3
	s_or_b64 exec, exec, s[36:37]
.LBB6_8746:                             ;   in Loop: Header=BB6_7611 Depth=3
	s_or_b64 exec, exec, s[34:35]
.LBB6_8747:                             ;   in Loop: Header=BB6_7611 Depth=3
	s_or_b64 exec, exec, s[28:29]
	v_mul_f32_e32 v5, v4, v3
	v_and_b32_e32 v48, 0x7f800000, v5
	s_waitcnt vmcnt(0)
	v_mov_b32_e32 v49, v34
	v_cmp_ne_u64_e32 vcc, s[76:77], v[48:49]
	v_and_b32_e32 v3, 0x7fffff, v5
	v_mov_b32_e32 v4, v34
                                        ; implicit-def: $vgpr49
	s_and_saveexec_b64 s[28:29], vcc
	s_xor_b64 s[34:35], exec, s[28:29]
	s_cbranch_execz .LBB6_8765
; %bb.8748:                             ;   in Loop: Header=BB6_7611 Depth=3
	v_and_b32_e32 v48, 0x7fffffff, v5
	v_mov_b32_e32 v49, v34
	v_cmp_gt_u64_e32 vcc, s[78:79], v[48:49]
	v_and_b32_sdwa v50, v5, s44 dst_sel:DWORD dst_unused:UNUSED_PAD src0_sel:BYTE_3 src1_sel:DWORD
                                        ; implicit-def: $vgpr49
	s_and_saveexec_b64 s[28:29], vcc
	s_xor_b64 s[36:37], exec, s[28:29]
	s_cbranch_execz .LBB6_8762
; %bb.8749:                             ;   in Loop: Header=BB6_7611 Depth=3
	v_cmp_ne_u32_e32 vcc, 0, v5
	v_mov_b32_e32 v49, 0
	s_and_saveexec_b64 s[38:39], vcc
	s_cbranch_execz .LBB6_8761
; %bb.8750:                             ;   in Loop: Header=BB6_7611 Depth=3
	v_bfe_u32 v49, v5, 23, 8
	v_cmp_gt_u32_e64 s[28:29], s45, v49
	v_sub_u32_e32 v5, 0x71, v49
	v_cmp_eq_u32_e32 vcc, 0, v49
	v_cndmask_b32_e64 v5, 0, v5, s[28:29]
	v_mov_b32_e32 v51, 0x70
	v_cndmask_b32_e32 v51, v5, v51, vcc
	v_add_u32_e32 v5, 21, v51
	v_or_b32_e32 v48, 0x800000, v3
	v_lshlrev_b64 v[52:53], v5, -1
	v_cndmask_b32_e32 v3, v48, v3, vcc
	v_add_u32_e32 v5, 20, v51
	v_bfi_b32 v52, v52, 0, v3
	v_lshlrev_b64 v[54:55], v5, 1
	v_lshrrev_b64 v[3:4], v51, v[3:4]
	v_bfi_b32 v53, v53, 0, 0
	v_cmp_eq_u64_e64 s[28:29], v[52:53], v[54:55]
	v_mov_b32_e32 v5, v4
	v_mov_b32_e32 v4, v3
	s_and_saveexec_b64 s[48:49], s[28:29]
; %bb.8751:                             ;   in Loop: Header=BB6_7611 Depth=3
	v_bfe_u32 v4, v3, 21, 1
	v_add_co_u32_e64 v4, s[28:29], v3, v4
	v_add_co_u32_e64 v4, s[28:29], -1, v4
; %bb.8752:                             ;   in Loop: Header=BB6_7611 Depth=3
	s_or_b64 exec, exec, s[48:49]
	v_add_u32_e32 v5, 0xffffff81, v49
	v_mov_b32_e32 v48, 0xffffff82
	v_cndmask_b32_e32 v5, v5, v48, vcc
	v_lshrrev_b32_e32 v48, 23, v3
	v_add3_u32 v51, v51, v5, v48
	v_add_u32_e32 v49, 14, v51
	v_and_b32_e32 v4, 0x1fffff, v4
	v_add_u32_e32 v3, v4, v3
	v_mov_b32_e32 v4, v34
	v_cmp_ne_u32_e32 vcc, 0, v49
                                        ; implicit-def: $vgpr5
	s_and_saveexec_b64 s[28:29], vcc
	s_xor_b64 s[28:29], exec, s[28:29]
; %bb.8753:                             ;   in Loop: Header=BB6_7611 Depth=3
	v_cmp_lt_u64_e32 vcc, s[88:89], v[3:4]
	v_add_u32_e32 v5, 15, v51
	v_cndmask_b32_e64 v48, 0, 1, vcc
	v_lshrrev_b64 v[3:4], v48, v[3:4]
	v_cndmask_b32_e32 v5, v49, v5, vcc
; %bb.8754:                             ;   in Loop: Header=BB6_7611 Depth=3
	s_andn2_saveexec_b64 s[28:29], s[28:29]
; %bb.8755:                             ;   in Loop: Header=BB6_7611 Depth=3
	v_bfe_u32 v5, v3, 23, 1
; %bb.8756:                             ;   in Loop: Header=BB6_7611 Depth=3
	s_or_b64 exec, exec, s[28:29]
	v_lshrrev_b64 v[3:4], 21, v[3:4]
	v_cmp_gt_i32_e32 vcc, 32, v5
	v_cndmask_b32_e32 v4, 0, v4, vcc
	v_cndmask_b32_e32 v3, 3, v3, vcc
	v_cmp_ne_u64_e32 vcc, 0, v[3:4]
	v_cmp_ne_u32_e64 s[28:29], 0, v5
	s_or_b64 s[28:29], s[28:29], vcc
                                        ; implicit-def: $vgpr49
	s_and_saveexec_b64 vcc, s[28:29]
	s_xor_b64 s[28:29], exec, vcc
; %bb.8757:                             ;   in Loop: Header=BB6_7611 Depth=3
	v_min_i32_e32 v4, 31, v5
	v_lshl_or_b32 v4, v4, 2, v50
	v_and_or_b32 v49, v3, 3, v4
                                        ; implicit-def: $vgpr50
; %bb.8758:                             ;   in Loop: Header=BB6_7611 Depth=3
	s_andn2_saveexec_b64 s[28:29], s[28:29]
; %bb.8759:                             ;   in Loop: Header=BB6_7611 Depth=3
	v_mov_b32_e32 v49, v50
; %bb.8760:                             ;   in Loop: Header=BB6_7611 Depth=3
	s_or_b64 exec, exec, s[28:29]
.LBB6_8761:                             ;   in Loop: Header=BB6_7611 Depth=3
	s_or_b64 exec, exec, s[38:39]
                                        ; implicit-def: $vgpr50
.LBB6_8762:                             ;   in Loop: Header=BB6_7611 Depth=3
	s_andn2_saveexec_b64 s[28:29], s[36:37]
; %bb.8763:                             ;   in Loop: Header=BB6_7611 Depth=3
	v_or_b32_e32 v49, 0x7b, v50
; %bb.8764:                             ;   in Loop: Header=BB6_7611 Depth=3
	s_or_b64 exec, exec, s[28:29]
                                        ; implicit-def: $vgpr5
                                        ; implicit-def: $vgpr3_vgpr4
.LBB6_8765:                             ;   in Loop: Header=BB6_7611 Depth=3
	s_andn2_saveexec_b64 s[28:29], s[34:35]
	s_cbranch_execz .LBB6_8771
; %bb.8766:                             ;   in Loop: Header=BB6_7611 Depth=3
	v_cmp_ne_u64_e32 vcc, 0, v[3:4]
                                        ; implicit-def: $vgpr49
	s_and_saveexec_b64 s[34:35], vcc
	s_xor_b64 vcc, exec, s[34:35]
; %bb.8767:                             ;   in Loop: Header=BB6_7611 Depth=3
	v_or_b32_sdwa v49, v5, s83 dst_sel:DWORD dst_unused:UNUSED_PAD src0_sel:BYTE_3 src1_sel:DWORD
                                        ; implicit-def: $vgpr5
; %bb.8768:                             ;   in Loop: Header=BB6_7611 Depth=3
	s_andn2_saveexec_b64 s[34:35], vcc
; %bb.8769:                             ;   in Loop: Header=BB6_7611 Depth=3
	v_cmp_lt_i32_e32 vcc, -1, v5
	v_mov_b32_e32 v3, 0x7c
	v_cndmask_b32_e32 v49, -4, v3, vcc
; %bb.8770:                             ;   in Loop: Header=BB6_7611 Depth=3
	s_or_b64 exec, exec, s[34:35]
.LBB6_8771:                             ;   in Loop: Header=BB6_7611 Depth=3
	s_or_b64 exec, exec, s[28:29]
	buffer_load_dword v3, off, s[0:3], s33 offset:136 ; 4-byte Folded Reload
	buffer_load_dword v4, off, s[0:3], s33 offset:140 ; 4-byte Folded Reload
	s_waitcnt vmcnt(0)
	v_mov_b32_e32 v4, 0
	v_mov_b32_e32 v48, v3
	v_cmp_ne_u16_e32 vcc, 0, v48
	v_mov_b32_e32 v3, 0
	s_and_saveexec_b64 s[28:29], vcc
	s_cbranch_execz .LBB6_8779
; %bb.8772:                             ;   in Loop: Header=BB6_7611 Depth=3
	v_cmp_ne_u16_e32 vcc, s80, v48
	v_bfrev_b32_e32 v4, 1
	s_and_saveexec_b64 s[34:35], vcc
	s_cbranch_execz .LBB6_8778
; %bb.8773:                             ;   in Loop: Header=BB6_7611 Depth=3
	v_and_b32_e32 v4, 0x7c, v48
	v_and_b32_e32 v5, 3, v48
	v_cmp_ne_u32_e32 vcc, s81, v4
                                        ; implicit-def: $vgpr4
	s_and_saveexec_b64 s[36:37], vcc
	s_xor_b64 s[36:37], exec, s[36:37]
	s_cbranch_execz .LBB6_8775
; %bb.8774:                             ;   in Loop: Header=BB6_7611 Depth=3
	buffer_load_dword v52, off, s[0:3], s33 offset:136 ; 4-byte Folded Reload
	buffer_load_dword v53, off, s[0:3], s33 offset:140 ; 4-byte Folded Reload
	v_ffbh_u32_e32 v48, v5
	v_min_u32_e32 v48, 32, v48
	s_waitcnt vmcnt(0)
	v_mov_b32_e32 v53, v34
	v_subrev_u32_e32 v50, 29, v48
	v_sub_u32_e32 v48, 30, v48
	v_and_b32_e32 v4, 0xff, v52
	v_bfe_u32 v4, v4, 2, 5
	v_lshlrev_b64 v[50:51], v50, v[52:53]
	v_cmp_eq_u32_e32 vcc, 0, v4
	v_and_b32_e32 v50, 3, v50
	v_cndmask_b32_e32 v4, v4, v48, vcc
	v_and_b32_sdwa v48, sext(v52), s82 dst_sel:DWORD dst_unused:UNUSED_PAD src0_sel:WORD_0 src1_sel:DWORD
	v_cndmask_b32_e32 v5, v5, v50, vcc
	v_lshl_add_u32 v4, v4, 23, v48
	v_lshl_or_b32 v4, v5, 21, v4
	v_add_u32_e32 v4, 0x38000000, v4
                                        ; implicit-def: $vgpr48
                                        ; implicit-def: $vgpr5
	buffer_store_dword v48, off, s[0:3], s33 offset:136 ; 4-byte Folded Spill
	s_nop 0
	buffer_store_dword v49, off, s[0:3], s33 offset:140 ; 4-byte Folded Spill
.LBB6_8775:                             ;   in Loop: Header=BB6_7611 Depth=3
	s_andn2_saveexec_b64 s[36:37], s[36:37]
	s_cbranch_execz .LBB6_8777
; %bb.8776:                             ;   in Loop: Header=BB6_7611 Depth=3
	buffer_load_dword v50, off, s[0:3], s33 offset:136 ; 4-byte Folded Reload
	buffer_load_dword v51, off, s[0:3], s33 offset:140 ; 4-byte Folded Reload
	v_mov_b32_e32 v4, 0xff800000
	v_mov_b32_e32 v48, 0x7f800000
	s_waitcnt vmcnt(1)
	v_cmp_lt_i16_e32 vcc, -1, v50
	v_cndmask_b32_e32 v4, v4, v48, vcc
	v_cmp_eq_u32_e32 vcc, 0, v5
	v_mov_b32_e32 v5, 0x7f800001
	v_cndmask_b32_e32 v4, v5, v4, vcc
.LBB6_8777:                             ;   in Loop: Header=BB6_7611 Depth=3
	s_or_b64 exec, exec, s[36:37]
.LBB6_8778:                             ;   in Loop: Header=BB6_7611 Depth=3
	s_or_b64 exec, exec, s[34:35]
.LBB6_8779:                             ;   in Loop: Header=BB6_7611 Depth=3
	s_or_b64 exec, exec, s[28:29]
	buffer_load_dword v50, off, s[0:3], s33 offset:128 ; 4-byte Folded Reload
	buffer_load_dword v51, off, s[0:3], s33 offset:132 ; 4-byte Folded Reload
	s_waitcnt vmcnt(1)
	v_mov_b32_e32 v48, v50
	v_cmp_ne_u16_e32 vcc, 0, v48
	s_and_saveexec_b64 s[28:29], vcc
	s_cbranch_execz .LBB6_8787
; %bb.8780:                             ;   in Loop: Header=BB6_7611 Depth=3
	v_cmp_ne_u16_e32 vcc, s80, v48
	v_bfrev_b32_e32 v3, 1
	s_and_saveexec_b64 s[34:35], vcc
	s_cbranch_execz .LBB6_8786
; %bb.8781:                             ;   in Loop: Header=BB6_7611 Depth=3
	v_and_b32_e32 v3, 0x7c, v48
	v_and_b32_e32 v5, 3, v48
	v_cmp_ne_u32_e32 vcc, s81, v3
                                        ; implicit-def: $vgpr3
	s_and_saveexec_b64 s[36:37], vcc
	s_xor_b64 s[36:37], exec, s[36:37]
	s_cbranch_execz .LBB6_8783
; %bb.8782:                             ;   in Loop: Header=BB6_7611 Depth=3
	buffer_load_dword v52, off, s[0:3], s33 offset:128 ; 4-byte Folded Reload
	buffer_load_dword v53, off, s[0:3], s33 offset:132 ; 4-byte Folded Reload
	v_ffbh_u32_e32 v48, v5
	v_min_u32_e32 v48, 32, v48
	s_waitcnt vmcnt(0)
	v_mov_b32_e32 v53, v34
	v_subrev_u32_e32 v50, 29, v48
	v_sub_u32_e32 v48, 30, v48
	v_and_b32_e32 v3, 0xff, v52
	v_bfe_u32 v3, v3, 2, 5
	v_lshlrev_b64 v[50:51], v50, v[52:53]
	v_cmp_eq_u32_e32 vcc, 0, v3
	v_and_b32_e32 v50, 3, v50
	v_cndmask_b32_e32 v3, v3, v48, vcc
	v_and_b32_sdwa v48, sext(v52), s82 dst_sel:DWORD dst_unused:UNUSED_PAD src0_sel:WORD_0 src1_sel:DWORD
	v_cndmask_b32_e32 v5, v5, v50, vcc
	v_lshl_add_u32 v3, v3, 23, v48
	v_lshl_or_b32 v3, v5, 21, v3
	v_add_u32_e32 v3, 0x38000000, v3
                                        ; implicit-def: $vgpr48
                                        ; implicit-def: $vgpr5
	buffer_store_dword v48, off, s[0:3], s33 offset:128 ; 4-byte Folded Spill
	s_nop 0
	buffer_store_dword v49, off, s[0:3], s33 offset:132 ; 4-byte Folded Spill
.LBB6_8783:                             ;   in Loop: Header=BB6_7611 Depth=3
	s_andn2_saveexec_b64 s[36:37], s[36:37]
	s_cbranch_execz .LBB6_8785
; %bb.8784:                             ;   in Loop: Header=BB6_7611 Depth=3
	buffer_load_dword v50, off, s[0:3], s33 offset:128 ; 4-byte Folded Reload
	buffer_load_dword v51, off, s[0:3], s33 offset:132 ; 4-byte Folded Reload
	v_mov_b32_e32 v3, 0xff800000
	v_mov_b32_e32 v48, 0x7f800000
	s_waitcnt vmcnt(1)
	v_cmp_lt_i16_e32 vcc, -1, v50
	v_cndmask_b32_e32 v3, v3, v48, vcc
	v_cmp_eq_u32_e32 vcc, 0, v5
	v_mov_b32_e32 v5, 0x7f800001
	v_cndmask_b32_e32 v3, v5, v3, vcc
.LBB6_8785:                             ;   in Loop: Header=BB6_7611 Depth=3
	s_or_b64 exec, exec, s[36:37]
.LBB6_8786:                             ;   in Loop: Header=BB6_7611 Depth=3
	s_or_b64 exec, exec, s[34:35]
.LBB6_8787:                             ;   in Loop: Header=BB6_7611 Depth=3
	s_or_b64 exec, exec, s[28:29]
	v_mul_f32_e32 v5, v4, v3
	v_and_b32_e32 v50, 0x7f800000, v5
	s_waitcnt vmcnt(0)
	v_mov_b32_e32 v51, v34
	v_cmp_ne_u64_e32 vcc, s[76:77], v[50:51]
	v_and_b32_e32 v3, 0x7fffff, v5
	v_mov_b32_e32 v4, v34
                                        ; implicit-def: $vgpr50
	s_and_saveexec_b64 s[28:29], vcc
	s_xor_b64 s[34:35], exec, s[28:29]
	s_cbranch_execz .LBB6_8805
; %bb.8788:                             ;   in Loop: Header=BB6_7611 Depth=3
	v_and_b32_e32 v50, 0x7fffffff, v5
	v_mov_b32_e32 v51, v34
	v_cmp_gt_u64_e32 vcc, s[78:79], v[50:51]
	v_and_b32_sdwa v51, v5, s44 dst_sel:DWORD dst_unused:UNUSED_PAD src0_sel:BYTE_3 src1_sel:DWORD
                                        ; implicit-def: $vgpr50
	s_and_saveexec_b64 s[28:29], vcc
	s_xor_b64 s[36:37], exec, s[28:29]
	s_cbranch_execz .LBB6_8802
; %bb.8789:                             ;   in Loop: Header=BB6_7611 Depth=3
	v_cmp_ne_u32_e32 vcc, 0, v5
	v_mov_b32_e32 v50, 0
	s_and_saveexec_b64 s[38:39], vcc
	s_cbranch_execz .LBB6_8801
; %bb.8790:                             ;   in Loop: Header=BB6_7611 Depth=3
	v_bfe_u32 v50, v5, 23, 8
	v_cmp_gt_u32_e64 s[28:29], s45, v50
	v_sub_u32_e32 v5, 0x71, v50
	v_cmp_eq_u32_e32 vcc, 0, v50
	v_cndmask_b32_e64 v5, 0, v5, s[28:29]
	v_mov_b32_e32 v52, 0x70
	v_cndmask_b32_e32 v52, v5, v52, vcc
	v_add_u32_e32 v5, 21, v52
	v_or_b32_e32 v48, 0x800000, v3
	v_lshlrev_b64 v[53:54], v5, -1
	v_cndmask_b32_e32 v3, v48, v3, vcc
	v_add_u32_e32 v5, 20, v52
	v_bfi_b32 v53, v53, 0, v3
	v_lshlrev_b64 v[40:41], v5, 1
	v_lshrrev_b64 v[3:4], v52, v[3:4]
	v_bfi_b32 v54, v54, 0, 0
	v_cmp_eq_u64_e64 s[28:29], v[53:54], v[40:41]
	v_mov_b32_e32 v5, v4
	v_mov_b32_e32 v4, v3
	s_and_saveexec_b64 s[48:49], s[28:29]
; %bb.8791:                             ;   in Loop: Header=BB6_7611 Depth=3
	v_bfe_u32 v4, v3, 21, 1
	v_add_co_u32_e64 v4, s[28:29], v3, v4
	v_add_co_u32_e64 v4, s[28:29], -1, v4
; %bb.8792:                             ;   in Loop: Header=BB6_7611 Depth=3
	s_or_b64 exec, exec, s[48:49]
	v_add_u32_e32 v5, 0xffffff81, v50
	v_mov_b32_e32 v48, 0xffffff82
	v_cndmask_b32_e32 v5, v5, v48, vcc
	v_lshrrev_b32_e32 v48, 23, v3
	v_add3_u32 v52, v52, v5, v48
	v_add_u32_e32 v50, 14, v52
	v_and_b32_e32 v4, 0x1fffff, v4
	v_add_u32_e32 v3, v4, v3
	v_mov_b32_e32 v4, v34
	v_cmp_ne_u32_e32 vcc, 0, v50
                                        ; implicit-def: $vgpr5
	s_and_saveexec_b64 s[28:29], vcc
	s_xor_b64 s[28:29], exec, s[28:29]
; %bb.8793:                             ;   in Loop: Header=BB6_7611 Depth=3
	v_cmp_lt_u64_e32 vcc, s[88:89], v[3:4]
	v_add_u32_e32 v5, 15, v52
	v_cndmask_b32_e64 v48, 0, 1, vcc
	v_lshrrev_b64 v[3:4], v48, v[3:4]
	v_cndmask_b32_e32 v5, v50, v5, vcc
; %bb.8794:                             ;   in Loop: Header=BB6_7611 Depth=3
	s_andn2_saveexec_b64 s[28:29], s[28:29]
; %bb.8795:                             ;   in Loop: Header=BB6_7611 Depth=3
	v_bfe_u32 v5, v3, 23, 1
; %bb.8796:                             ;   in Loop: Header=BB6_7611 Depth=3
	s_or_b64 exec, exec, s[28:29]
	v_lshrrev_b64 v[3:4], 21, v[3:4]
	v_cmp_gt_i32_e32 vcc, 32, v5
	v_cndmask_b32_e32 v4, 0, v4, vcc
	v_cndmask_b32_e32 v3, 3, v3, vcc
	v_cmp_ne_u64_e32 vcc, 0, v[3:4]
	v_cmp_ne_u32_e64 s[28:29], 0, v5
	s_or_b64 s[28:29], s[28:29], vcc
                                        ; implicit-def: $vgpr50
	s_and_saveexec_b64 vcc, s[28:29]
	s_xor_b64 s[28:29], exec, vcc
; %bb.8797:                             ;   in Loop: Header=BB6_7611 Depth=3
	v_min_i32_e32 v4, 31, v5
	v_lshl_or_b32 v4, v4, 2, v51
	v_and_or_b32 v50, v3, 3, v4
                                        ; implicit-def: $vgpr51
; %bb.8798:                             ;   in Loop: Header=BB6_7611 Depth=3
	s_andn2_saveexec_b64 s[28:29], s[28:29]
; %bb.8799:                             ;   in Loop: Header=BB6_7611 Depth=3
	v_mov_b32_e32 v50, v51
; %bb.8800:                             ;   in Loop: Header=BB6_7611 Depth=3
	s_or_b64 exec, exec, s[28:29]
.LBB6_8801:                             ;   in Loop: Header=BB6_7611 Depth=3
	s_or_b64 exec, exec, s[38:39]
                                        ; implicit-def: $vgpr51
.LBB6_8802:                             ;   in Loop: Header=BB6_7611 Depth=3
	s_andn2_saveexec_b64 s[28:29], s[36:37]
; %bb.8803:                             ;   in Loop: Header=BB6_7611 Depth=3
	v_or_b32_e32 v50, 0x7b, v51
; %bb.8804:                             ;   in Loop: Header=BB6_7611 Depth=3
	s_or_b64 exec, exec, s[28:29]
                                        ; implicit-def: $vgpr5
                                        ; implicit-def: $vgpr3_vgpr4
.LBB6_8805:                             ;   in Loop: Header=BB6_7611 Depth=3
	s_andn2_saveexec_b64 s[28:29], s[34:35]
	s_cbranch_execz .LBB6_8811
; %bb.8806:                             ;   in Loop: Header=BB6_7611 Depth=3
	v_cmp_ne_u64_e32 vcc, 0, v[3:4]
                                        ; implicit-def: $vgpr50
	s_and_saveexec_b64 s[34:35], vcc
	s_xor_b64 vcc, exec, s[34:35]
; %bb.8807:                             ;   in Loop: Header=BB6_7611 Depth=3
	v_or_b32_sdwa v50, v5, s83 dst_sel:DWORD dst_unused:UNUSED_PAD src0_sel:BYTE_3 src1_sel:DWORD
                                        ; implicit-def: $vgpr5
; %bb.8808:                             ;   in Loop: Header=BB6_7611 Depth=3
	s_andn2_saveexec_b64 s[34:35], vcc
; %bb.8809:                             ;   in Loop: Header=BB6_7611 Depth=3
	v_cmp_lt_i32_e32 vcc, -1, v5
	v_mov_b32_e32 v3, 0x7c
	v_cndmask_b32_e32 v50, -4, v3, vcc
; %bb.8810:                             ;   in Loop: Header=BB6_7611 Depth=3
	s_or_b64 exec, exec, s[34:35]
.LBB6_8811:                             ;   in Loop: Header=BB6_7611 Depth=3
	s_or_b64 exec, exec, s[28:29]
	buffer_load_dword v3, off, s[0:3], s33 offset:120 ; 4-byte Folded Reload
	buffer_load_dword v4, off, s[0:3], s33 offset:124 ; 4-byte Folded Reload
	s_waitcnt vmcnt(0)
	v_mov_b32_e32 v4, 0
	v_mov_b32_e32 v48, v3
	v_cmp_ne_u16_e32 vcc, 0, v48
	v_mov_b32_e32 v3, 0
	s_and_saveexec_b64 s[28:29], vcc
	s_cbranch_execz .LBB6_8819
; %bb.8812:                             ;   in Loop: Header=BB6_7611 Depth=3
	v_cmp_ne_u16_e32 vcc, s80, v48
	v_bfrev_b32_e32 v4, 1
	s_and_saveexec_b64 s[34:35], vcc
	s_cbranch_execz .LBB6_8818
; %bb.8813:                             ;   in Loop: Header=BB6_7611 Depth=3
	v_and_b32_e32 v4, 0x7c, v48
	v_and_b32_e32 v5, 3, v48
	v_cmp_ne_u32_e32 vcc, s81, v4
                                        ; implicit-def: $vgpr4
	s_and_saveexec_b64 s[36:37], vcc
	s_xor_b64 s[36:37], exec, s[36:37]
	s_cbranch_execz .LBB6_8815
; %bb.8814:                             ;   in Loop: Header=BB6_7611 Depth=3
	buffer_load_dword v53, off, s[0:3], s33 offset:120 ; 4-byte Folded Reload
	buffer_load_dword v54, off, s[0:3], s33 offset:124 ; 4-byte Folded Reload
	v_ffbh_u32_e32 v48, v5
	v_min_u32_e32 v48, 32, v48
	s_waitcnt vmcnt(0)
	v_mov_b32_e32 v54, v34
	v_subrev_u32_e32 v51, 29, v48
	v_sub_u32_e32 v48, 30, v48
	v_and_b32_e32 v4, 0xff, v53
	v_bfe_u32 v4, v4, 2, 5
	v_lshlrev_b64 v[51:52], v51, v[53:54]
	v_cmp_eq_u32_e32 vcc, 0, v4
	v_and_b32_e32 v51, 3, v51
	v_cndmask_b32_e32 v4, v4, v48, vcc
	v_and_b32_sdwa v48, sext(v53), s82 dst_sel:DWORD dst_unused:UNUSED_PAD src0_sel:WORD_0 src1_sel:DWORD
	v_cndmask_b32_e32 v5, v5, v51, vcc
	v_lshl_add_u32 v4, v4, 23, v48
	v_lshl_or_b32 v4, v5, 21, v4
	v_add_u32_e32 v4, 0x38000000, v4
                                        ; implicit-def: $vgpr48
                                        ; implicit-def: $vgpr5
	buffer_store_dword v48, off, s[0:3], s33 offset:120 ; 4-byte Folded Spill
	s_nop 0
	buffer_store_dword v49, off, s[0:3], s33 offset:124 ; 4-byte Folded Spill
.LBB6_8815:                             ;   in Loop: Header=BB6_7611 Depth=3
	s_andn2_saveexec_b64 s[36:37], s[36:37]
	s_cbranch_execz .LBB6_8817
; %bb.8816:                             ;   in Loop: Header=BB6_7611 Depth=3
	buffer_load_dword v51, off, s[0:3], s33 offset:120 ; 4-byte Folded Reload
	buffer_load_dword v52, off, s[0:3], s33 offset:124 ; 4-byte Folded Reload
	v_mov_b32_e32 v4, 0xff800000
	v_mov_b32_e32 v48, 0x7f800000
	s_waitcnt vmcnt(1)
	v_cmp_lt_i16_e32 vcc, -1, v51
	v_cndmask_b32_e32 v4, v4, v48, vcc
	v_cmp_eq_u32_e32 vcc, 0, v5
	v_mov_b32_e32 v5, 0x7f800001
	v_cndmask_b32_e32 v4, v5, v4, vcc
.LBB6_8817:                             ;   in Loop: Header=BB6_7611 Depth=3
	s_or_b64 exec, exec, s[36:37]
.LBB6_8818:                             ;   in Loop: Header=BB6_7611 Depth=3
	s_or_b64 exec, exec, s[34:35]
.LBB6_8819:                             ;   in Loop: Header=BB6_7611 Depth=3
	s_or_b64 exec, exec, s[28:29]
	buffer_load_dword v51, off, s[0:3], s33 offset:112 ; 4-byte Folded Reload
	buffer_load_dword v52, off, s[0:3], s33 offset:116 ; 4-byte Folded Reload
	s_waitcnt vmcnt(1)
	v_mov_b32_e32 v48, v51
	v_cmp_ne_u16_e32 vcc, 0, v48
	s_and_saveexec_b64 s[28:29], vcc
	s_cbranch_execz .LBB6_8827
; %bb.8820:                             ;   in Loop: Header=BB6_7611 Depth=3
	v_cmp_ne_u16_e32 vcc, s80, v48
	v_bfrev_b32_e32 v3, 1
	s_and_saveexec_b64 s[34:35], vcc
	s_cbranch_execz .LBB6_8826
; %bb.8821:                             ;   in Loop: Header=BB6_7611 Depth=3
	v_and_b32_e32 v3, 0x7c, v48
	v_and_b32_e32 v5, 3, v48
	v_cmp_ne_u32_e32 vcc, s81, v3
                                        ; implicit-def: $vgpr3
	s_and_saveexec_b64 s[36:37], vcc
	s_xor_b64 s[36:37], exec, s[36:37]
	s_cbranch_execz .LBB6_8823
; %bb.8822:                             ;   in Loop: Header=BB6_7611 Depth=3
	buffer_load_dword v53, off, s[0:3], s33 offset:112 ; 4-byte Folded Reload
	buffer_load_dword v54, off, s[0:3], s33 offset:116 ; 4-byte Folded Reload
	v_ffbh_u32_e32 v48, v5
	v_min_u32_e32 v48, 32, v48
	s_waitcnt vmcnt(0)
	v_mov_b32_e32 v54, v34
	v_subrev_u32_e32 v51, 29, v48
	v_sub_u32_e32 v48, 30, v48
	v_and_b32_e32 v3, 0xff, v53
	v_bfe_u32 v3, v3, 2, 5
	v_lshlrev_b64 v[51:52], v51, v[53:54]
	v_cmp_eq_u32_e32 vcc, 0, v3
	v_and_b32_e32 v51, 3, v51
	v_cndmask_b32_e32 v3, v3, v48, vcc
	v_and_b32_sdwa v48, sext(v53), s82 dst_sel:DWORD dst_unused:UNUSED_PAD src0_sel:WORD_0 src1_sel:DWORD
	v_cndmask_b32_e32 v5, v5, v51, vcc
	v_lshl_add_u32 v3, v3, 23, v48
	v_lshl_or_b32 v3, v5, 21, v3
	v_add_u32_e32 v3, 0x38000000, v3
                                        ; implicit-def: $vgpr48
                                        ; implicit-def: $vgpr5
	buffer_store_dword v48, off, s[0:3], s33 offset:112 ; 4-byte Folded Spill
	s_nop 0
	buffer_store_dword v49, off, s[0:3], s33 offset:116 ; 4-byte Folded Spill
.LBB6_8823:                             ;   in Loop: Header=BB6_7611 Depth=3
	s_andn2_saveexec_b64 s[36:37], s[36:37]
	s_cbranch_execz .LBB6_8825
; %bb.8824:                             ;   in Loop: Header=BB6_7611 Depth=3
	buffer_load_dword v51, off, s[0:3], s33 offset:112 ; 4-byte Folded Reload
	buffer_load_dword v52, off, s[0:3], s33 offset:116 ; 4-byte Folded Reload
	v_mov_b32_e32 v3, 0xff800000
	v_mov_b32_e32 v48, 0x7f800000
	s_waitcnt vmcnt(1)
	v_cmp_lt_i16_e32 vcc, -1, v51
	v_cndmask_b32_e32 v3, v3, v48, vcc
	v_cmp_eq_u32_e32 vcc, 0, v5
	v_mov_b32_e32 v5, 0x7f800001
	v_cndmask_b32_e32 v3, v5, v3, vcc
.LBB6_8825:                             ;   in Loop: Header=BB6_7611 Depth=3
	s_or_b64 exec, exec, s[36:37]
.LBB6_8826:                             ;   in Loop: Header=BB6_7611 Depth=3
	s_or_b64 exec, exec, s[34:35]
.LBB6_8827:                             ;   in Loop: Header=BB6_7611 Depth=3
	s_or_b64 exec, exec, s[28:29]
	v_mul_f32_e32 v5, v4, v3
	v_and_b32_e32 v51, 0x7f800000, v5
	s_waitcnt vmcnt(0)
	v_mov_b32_e32 v52, v34
	v_cmp_ne_u64_e32 vcc, s[76:77], v[51:52]
	v_and_b32_e32 v3, 0x7fffff, v5
	v_mov_b32_e32 v4, v34
                                        ; implicit-def: $vgpr51
	s_and_saveexec_b64 s[28:29], vcc
	s_xor_b64 s[34:35], exec, s[28:29]
	s_cbranch_execz .LBB6_8845
; %bb.8828:                             ;   in Loop: Header=BB6_7611 Depth=3
	v_and_b32_e32 v51, 0x7fffffff, v5
	v_mov_b32_e32 v52, v34
	v_cmp_gt_u64_e32 vcc, s[78:79], v[51:52]
	v_and_b32_sdwa v52, v5, s44 dst_sel:DWORD dst_unused:UNUSED_PAD src0_sel:BYTE_3 src1_sel:DWORD
                                        ; implicit-def: $vgpr51
	s_and_saveexec_b64 s[28:29], vcc
	s_xor_b64 s[36:37], exec, s[28:29]
	s_cbranch_execz .LBB6_8842
; %bb.8829:                             ;   in Loop: Header=BB6_7611 Depth=3
	v_cmp_ne_u32_e32 vcc, 0, v5
	v_mov_b32_e32 v51, 0
	s_and_saveexec_b64 s[38:39], vcc
	s_cbranch_execz .LBB6_8841
; %bb.8830:                             ;   in Loop: Header=BB6_7611 Depth=3
	v_bfe_u32 v51, v5, 23, 8
	v_cmp_gt_u32_e64 s[28:29], s45, v51
	v_sub_u32_e32 v5, 0x71, v51
	v_cmp_eq_u32_e32 vcc, 0, v51
	v_cndmask_b32_e64 v5, 0, v5, s[28:29]
	v_mov_b32_e32 v53, 0x70
	v_cndmask_b32_e32 v53, v5, v53, vcc
	v_add_u32_e32 v5, 21, v53
	v_or_b32_e32 v48, 0x800000, v3
	v_lshlrev_b64 v[54:55], v5, -1
	v_cndmask_b32_e32 v3, v48, v3, vcc
	v_add_u32_e32 v5, 20, v53
	v_bfi_b32 v54, v54, 0, v3
	v_lshlrev_b64 v[40:41], v5, 1
	v_lshrrev_b64 v[3:4], v53, v[3:4]
	v_bfi_b32 v55, v55, 0, 0
	v_cmp_eq_u64_e64 s[28:29], v[54:55], v[40:41]
	v_mov_b32_e32 v5, v4
	v_mov_b32_e32 v4, v3
	s_and_saveexec_b64 s[48:49], s[28:29]
; %bb.8831:                             ;   in Loop: Header=BB6_7611 Depth=3
	v_bfe_u32 v4, v3, 21, 1
	v_add_co_u32_e64 v4, s[28:29], v3, v4
	v_add_co_u32_e64 v4, s[28:29], -1, v4
; %bb.8832:                             ;   in Loop: Header=BB6_7611 Depth=3
	s_or_b64 exec, exec, s[48:49]
	v_add_u32_e32 v5, 0xffffff81, v51
	v_mov_b32_e32 v48, 0xffffff82
	v_cndmask_b32_e32 v5, v5, v48, vcc
	v_lshrrev_b32_e32 v48, 23, v3
	v_add3_u32 v53, v53, v5, v48
	v_add_u32_e32 v51, 14, v53
	v_and_b32_e32 v4, 0x1fffff, v4
	v_add_u32_e32 v3, v4, v3
	v_mov_b32_e32 v4, v34
	v_cmp_ne_u32_e32 vcc, 0, v51
                                        ; implicit-def: $vgpr5
	s_and_saveexec_b64 s[28:29], vcc
	s_xor_b64 s[28:29], exec, s[28:29]
; %bb.8833:                             ;   in Loop: Header=BB6_7611 Depth=3
	v_cmp_lt_u64_e32 vcc, s[88:89], v[3:4]
	v_add_u32_e32 v5, 15, v53
	v_cndmask_b32_e64 v48, 0, 1, vcc
	v_lshrrev_b64 v[3:4], v48, v[3:4]
	v_cndmask_b32_e32 v5, v51, v5, vcc
; %bb.8834:                             ;   in Loop: Header=BB6_7611 Depth=3
	s_andn2_saveexec_b64 s[28:29], s[28:29]
; %bb.8835:                             ;   in Loop: Header=BB6_7611 Depth=3
	v_bfe_u32 v5, v3, 23, 1
; %bb.8836:                             ;   in Loop: Header=BB6_7611 Depth=3
	s_or_b64 exec, exec, s[28:29]
	v_lshrrev_b64 v[3:4], 21, v[3:4]
	v_cmp_gt_i32_e32 vcc, 32, v5
	v_cndmask_b32_e32 v4, 0, v4, vcc
	v_cndmask_b32_e32 v3, 3, v3, vcc
	v_cmp_ne_u64_e32 vcc, 0, v[3:4]
	v_cmp_ne_u32_e64 s[28:29], 0, v5
	s_or_b64 s[28:29], s[28:29], vcc
                                        ; implicit-def: $vgpr51
	s_and_saveexec_b64 vcc, s[28:29]
	s_xor_b64 s[28:29], exec, vcc
; %bb.8837:                             ;   in Loop: Header=BB6_7611 Depth=3
	v_min_i32_e32 v4, 31, v5
	v_lshl_or_b32 v4, v4, 2, v52
	v_and_or_b32 v51, v3, 3, v4
                                        ; implicit-def: $vgpr52
; %bb.8838:                             ;   in Loop: Header=BB6_7611 Depth=3
	s_andn2_saveexec_b64 s[28:29], s[28:29]
; %bb.8839:                             ;   in Loop: Header=BB6_7611 Depth=3
	v_mov_b32_e32 v51, v52
; %bb.8840:                             ;   in Loop: Header=BB6_7611 Depth=3
	s_or_b64 exec, exec, s[28:29]
.LBB6_8841:                             ;   in Loop: Header=BB6_7611 Depth=3
	s_or_b64 exec, exec, s[38:39]
                                        ; implicit-def: $vgpr52
.LBB6_8842:                             ;   in Loop: Header=BB6_7611 Depth=3
	s_andn2_saveexec_b64 s[28:29], s[36:37]
; %bb.8843:                             ;   in Loop: Header=BB6_7611 Depth=3
	v_or_b32_e32 v51, 0x7b, v52
; %bb.8844:                             ;   in Loop: Header=BB6_7611 Depth=3
	s_or_b64 exec, exec, s[28:29]
                                        ; implicit-def: $vgpr5
                                        ; implicit-def: $vgpr3_vgpr4
.LBB6_8845:                             ;   in Loop: Header=BB6_7611 Depth=3
	s_andn2_saveexec_b64 s[28:29], s[34:35]
	s_cbranch_execz .LBB6_8851
; %bb.8846:                             ;   in Loop: Header=BB6_7611 Depth=3
	v_cmp_ne_u64_e32 vcc, 0, v[3:4]
                                        ; implicit-def: $vgpr51
	s_and_saveexec_b64 s[34:35], vcc
	s_xor_b64 vcc, exec, s[34:35]
; %bb.8847:                             ;   in Loop: Header=BB6_7611 Depth=3
	v_or_b32_sdwa v51, v5, s83 dst_sel:DWORD dst_unused:UNUSED_PAD src0_sel:BYTE_3 src1_sel:DWORD
                                        ; implicit-def: $vgpr5
; %bb.8848:                             ;   in Loop: Header=BB6_7611 Depth=3
	s_andn2_saveexec_b64 s[34:35], vcc
; %bb.8849:                             ;   in Loop: Header=BB6_7611 Depth=3
	v_cmp_lt_i32_e32 vcc, -1, v5
	v_mov_b32_e32 v3, 0x7c
	v_cndmask_b32_e32 v51, -4, v3, vcc
; %bb.8850:                             ;   in Loop: Header=BB6_7611 Depth=3
	s_or_b64 exec, exec, s[34:35]
.LBB6_8851:                             ;   in Loop: Header=BB6_7611 Depth=3
	s_or_b64 exec, exec, s[28:29]
	buffer_load_dword v3, off, s[0:3], s33 offset:104 ; 4-byte Folded Reload
	buffer_load_dword v4, off, s[0:3], s33 offset:108 ; 4-byte Folded Reload
	s_waitcnt vmcnt(0)
	v_mov_b32_e32 v4, 0
	v_mov_b32_e32 v48, v3
	v_cmp_ne_u16_e32 vcc, 0, v48
	v_mov_b32_e32 v3, 0
	s_and_saveexec_b64 s[28:29], vcc
	s_cbranch_execz .LBB6_8859
; %bb.8852:                             ;   in Loop: Header=BB6_7611 Depth=3
	v_cmp_ne_u16_e32 vcc, s80, v48
	v_bfrev_b32_e32 v4, 1
	s_and_saveexec_b64 s[34:35], vcc
	s_cbranch_execz .LBB6_8858
; %bb.8853:                             ;   in Loop: Header=BB6_7611 Depth=3
	v_and_b32_e32 v4, 0x7c, v48
	v_and_b32_e32 v5, 3, v48
	v_cmp_ne_u32_e32 vcc, s81, v4
                                        ; implicit-def: $vgpr4
	s_and_saveexec_b64 s[36:37], vcc
	s_xor_b64 s[36:37], exec, s[36:37]
	s_cbranch_execz .LBB6_8855
; %bb.8854:                             ;   in Loop: Header=BB6_7611 Depth=3
	buffer_load_dword v54, off, s[0:3], s33 offset:104 ; 4-byte Folded Reload
	buffer_load_dword v55, off, s[0:3], s33 offset:108 ; 4-byte Folded Reload
	v_ffbh_u32_e32 v48, v5
	v_min_u32_e32 v48, 32, v48
	s_waitcnt vmcnt(0)
	v_mov_b32_e32 v55, v34
	v_subrev_u32_e32 v52, 29, v48
	v_sub_u32_e32 v48, 30, v48
	v_and_b32_e32 v4, 0xff, v54
	v_bfe_u32 v4, v4, 2, 5
	v_lshlrev_b64 v[52:53], v52, v[54:55]
	v_cmp_eq_u32_e32 vcc, 0, v4
	v_and_b32_e32 v52, 3, v52
	v_cndmask_b32_e32 v4, v4, v48, vcc
	v_and_b32_sdwa v48, sext(v54), s82 dst_sel:DWORD dst_unused:UNUSED_PAD src0_sel:WORD_0 src1_sel:DWORD
	v_cndmask_b32_e32 v5, v5, v52, vcc
	v_lshl_add_u32 v4, v4, 23, v48
	v_lshl_or_b32 v4, v5, 21, v4
	v_add_u32_e32 v4, 0x38000000, v4
                                        ; implicit-def: $vgpr48
                                        ; implicit-def: $vgpr5
	buffer_store_dword v48, off, s[0:3], s33 offset:104 ; 4-byte Folded Spill
	s_nop 0
	buffer_store_dword v49, off, s[0:3], s33 offset:108 ; 4-byte Folded Spill
.LBB6_8855:                             ;   in Loop: Header=BB6_7611 Depth=3
	s_andn2_saveexec_b64 s[36:37], s[36:37]
	s_cbranch_execz .LBB6_8857
; %bb.8856:                             ;   in Loop: Header=BB6_7611 Depth=3
	buffer_load_dword v52, off, s[0:3], s33 offset:104 ; 4-byte Folded Reload
	buffer_load_dword v53, off, s[0:3], s33 offset:108 ; 4-byte Folded Reload
	v_mov_b32_e32 v4, 0xff800000
	v_mov_b32_e32 v48, 0x7f800000
	s_waitcnt vmcnt(1)
	v_cmp_lt_i16_e32 vcc, -1, v52
	v_cndmask_b32_e32 v4, v4, v48, vcc
	v_cmp_eq_u32_e32 vcc, 0, v5
	v_mov_b32_e32 v5, 0x7f800001
	v_cndmask_b32_e32 v4, v5, v4, vcc
.LBB6_8857:                             ;   in Loop: Header=BB6_7611 Depth=3
	s_or_b64 exec, exec, s[36:37]
.LBB6_8858:                             ;   in Loop: Header=BB6_7611 Depth=3
	s_or_b64 exec, exec, s[34:35]
.LBB6_8859:                             ;   in Loop: Header=BB6_7611 Depth=3
	s_or_b64 exec, exec, s[28:29]
	buffer_load_dword v52, off, s[0:3], s33 offset:92 ; 4-byte Folded Reload
	buffer_load_dword v53, off, s[0:3], s33 offset:96 ; 4-byte Folded Reload
	s_waitcnt vmcnt(1)
	v_mov_b32_e32 v48, v52
	v_cmp_ne_u16_e32 vcc, 0, v48
	s_and_saveexec_b64 s[28:29], vcc
	s_cbranch_execz .LBB6_8867
; %bb.8860:                             ;   in Loop: Header=BB6_7611 Depth=3
	v_cmp_ne_u16_e32 vcc, s80, v48
	v_bfrev_b32_e32 v3, 1
	s_and_saveexec_b64 s[34:35], vcc
	s_cbranch_execz .LBB6_8866
; %bb.8861:                             ;   in Loop: Header=BB6_7611 Depth=3
	v_and_b32_e32 v3, 0x7c, v48
	v_and_b32_e32 v5, 3, v48
	v_cmp_ne_u32_e32 vcc, s81, v3
                                        ; implicit-def: $vgpr3
	s_and_saveexec_b64 s[36:37], vcc
	s_xor_b64 s[36:37], exec, s[36:37]
	s_cbranch_execz .LBB6_8863
; %bb.8862:                             ;   in Loop: Header=BB6_7611 Depth=3
	buffer_load_dword v54, off, s[0:3], s33 offset:92 ; 4-byte Folded Reload
	buffer_load_dword v55, off, s[0:3], s33 offset:96 ; 4-byte Folded Reload
	v_ffbh_u32_e32 v48, v5
	v_min_u32_e32 v48, 32, v48
	s_waitcnt vmcnt(0)
	v_mov_b32_e32 v55, v34
	v_subrev_u32_e32 v52, 29, v48
	v_sub_u32_e32 v48, 30, v48
	v_and_b32_e32 v3, 0xff, v54
	v_bfe_u32 v3, v3, 2, 5
	v_lshlrev_b64 v[52:53], v52, v[54:55]
	v_cmp_eq_u32_e32 vcc, 0, v3
	v_and_b32_e32 v52, 3, v52
	v_cndmask_b32_e32 v3, v3, v48, vcc
	v_and_b32_sdwa v48, sext(v54), s82 dst_sel:DWORD dst_unused:UNUSED_PAD src0_sel:WORD_0 src1_sel:DWORD
	v_cndmask_b32_e32 v5, v5, v52, vcc
	v_lshl_add_u32 v3, v3, 23, v48
	v_lshl_or_b32 v3, v5, 21, v3
	v_add_u32_e32 v3, 0x38000000, v3
                                        ; implicit-def: $vgpr48
                                        ; implicit-def: $vgpr5
	buffer_store_dword v48, off, s[0:3], s33 offset:92 ; 4-byte Folded Spill
	s_nop 0
	buffer_store_dword v49, off, s[0:3], s33 offset:96 ; 4-byte Folded Spill
.LBB6_8863:                             ;   in Loop: Header=BB6_7611 Depth=3
	s_andn2_saveexec_b64 s[36:37], s[36:37]
	s_cbranch_execz .LBB6_8865
; %bb.8864:                             ;   in Loop: Header=BB6_7611 Depth=3
	buffer_load_dword v52, off, s[0:3], s33 offset:92 ; 4-byte Folded Reload
	buffer_load_dword v53, off, s[0:3], s33 offset:96 ; 4-byte Folded Reload
	v_mov_b32_e32 v3, 0xff800000
	v_mov_b32_e32 v48, 0x7f800000
	s_waitcnt vmcnt(1)
	v_cmp_lt_i16_e32 vcc, -1, v52
	v_cndmask_b32_e32 v3, v3, v48, vcc
	v_cmp_eq_u32_e32 vcc, 0, v5
	v_mov_b32_e32 v5, 0x7f800001
	v_cndmask_b32_e32 v3, v5, v3, vcc
.LBB6_8865:                             ;   in Loop: Header=BB6_7611 Depth=3
	s_or_b64 exec, exec, s[36:37]
.LBB6_8866:                             ;   in Loop: Header=BB6_7611 Depth=3
	s_or_b64 exec, exec, s[34:35]
.LBB6_8867:                             ;   in Loop: Header=BB6_7611 Depth=3
	s_or_b64 exec, exec, s[28:29]
	s_waitcnt vmcnt(0)
	v_mul_f32_e32 v53, v4, v3
	v_and_b32_e32 v4, 0x7f800000, v53
	v_mov_b32_e32 v5, v34
	v_cmp_ne_u64_e32 vcc, s[76:77], v[4:5]
	v_and_b32_e32 v3, 0x7fffff, v53
	v_mov_b32_e32 v4, v34
                                        ; implicit-def: $vgpr5
	s_and_saveexec_b64 s[28:29], vcc
	s_xor_b64 s[34:35], exec, s[28:29]
	s_cbranch_execz .LBB6_8885
; %bb.8868:                             ;   in Loop: Header=BB6_7611 Depth=3
	v_and_b32_e32 v54, 0x7fffffff, v53
	v_mov_b32_e32 v55, v34
	v_cmp_gt_u64_e32 vcc, s[78:79], v[54:55]
	v_and_b32_sdwa v52, v53, s44 dst_sel:DWORD dst_unused:UNUSED_PAD src0_sel:BYTE_3 src1_sel:DWORD
                                        ; implicit-def: $vgpr5
	s_and_saveexec_b64 s[28:29], vcc
	s_xor_b64 s[36:37], exec, s[28:29]
	s_cbranch_execz .LBB6_8882
; %bb.8869:                             ;   in Loop: Header=BB6_7611 Depth=3
	v_cmp_ne_u32_e32 vcc, 0, v53
	v_mov_b32_e32 v5, 0
	s_and_saveexec_b64 s[38:39], vcc
	s_cbranch_execz .LBB6_8881
; %bb.8870:                             ;   in Loop: Header=BB6_7611 Depth=3
	v_bfe_u32 v53, v53, 23, 8
	v_cmp_gt_u32_e64 s[28:29], s45, v53
	v_sub_u32_e32 v5, 0x71, v53
	v_cmp_eq_u32_e32 vcc, 0, v53
	v_cndmask_b32_e64 v5, 0, v5, s[28:29]
	v_mov_b32_e32 v54, 0x70
	v_cndmask_b32_e32 v54, v5, v54, vcc
	v_add_u32_e32 v5, 21, v54
	v_or_b32_e32 v48, 0x800000, v3
	v_lshlrev_b64 v[40:41], v5, -1
	v_cndmask_b32_e32 v3, v48, v3, vcc
	v_add_u32_e32 v5, 20, v54
	v_bfi_b32 v40, v40, 0, v3
	v_lshlrev_b64 v[42:43], v5, 1
	v_lshrrev_b64 v[3:4], v54, v[3:4]
	v_bfi_b32 v41, v41, 0, 0
	v_cmp_eq_u64_e64 s[28:29], v[40:41], v[42:43]
	v_mov_b32_e32 v5, v4
	v_mov_b32_e32 v4, v3
	s_and_saveexec_b64 s[48:49], s[28:29]
; %bb.8871:                             ;   in Loop: Header=BB6_7611 Depth=3
	v_bfe_u32 v4, v3, 21, 1
	v_add_co_u32_e64 v4, s[28:29], v3, v4
	v_add_co_u32_e64 v4, s[28:29], -1, v4
; %bb.8872:                             ;   in Loop: Header=BB6_7611 Depth=3
	s_or_b64 exec, exec, s[48:49]
	v_add_u32_e32 v5, 0xffffff81, v53
	v_mov_b32_e32 v48, 0xffffff82
	v_cndmask_b32_e32 v5, v5, v48, vcc
	v_lshrrev_b32_e32 v48, 23, v3
	v_add3_u32 v54, v54, v5, v48
	v_add_u32_e32 v5, 14, v54
	v_and_b32_e32 v4, 0x1fffff, v4
	v_add_u32_e32 v3, v4, v3
	v_mov_b32_e32 v4, v34
	v_cmp_ne_u32_e32 vcc, 0, v5
                                        ; implicit-def: $vgpr53
	s_and_saveexec_b64 s[28:29], vcc
	s_xor_b64 s[28:29], exec, s[28:29]
; %bb.8873:                             ;   in Loop: Header=BB6_7611 Depth=3
	v_cmp_lt_u64_e32 vcc, s[88:89], v[3:4]
	v_add_u32_e32 v48, 15, v54
	v_cndmask_b32_e32 v53, v5, v48, vcc
	v_cndmask_b32_e64 v5, 0, 1, vcc
	v_lshrrev_b64 v[3:4], v5, v[3:4]
; %bb.8874:                             ;   in Loop: Header=BB6_7611 Depth=3
	s_andn2_saveexec_b64 s[28:29], s[28:29]
; %bb.8875:                             ;   in Loop: Header=BB6_7611 Depth=3
	v_bfe_u32 v53, v3, 23, 1
; %bb.8876:                             ;   in Loop: Header=BB6_7611 Depth=3
	s_or_b64 exec, exec, s[28:29]
	v_lshrrev_b64 v[3:4], 21, v[3:4]
	v_cmp_gt_i32_e32 vcc, 32, v53
	v_cndmask_b32_e32 v4, 0, v4, vcc
	v_cndmask_b32_e32 v3, 3, v3, vcc
	v_cmp_ne_u64_e32 vcc, 0, v[3:4]
	v_cmp_ne_u32_e64 s[28:29], 0, v53
	s_or_b64 s[28:29], s[28:29], vcc
                                        ; implicit-def: $vgpr5
	s_and_saveexec_b64 vcc, s[28:29]
	s_xor_b64 s[28:29], exec, vcc
; %bb.8877:                             ;   in Loop: Header=BB6_7611 Depth=3
	v_min_i32_e32 v4, 31, v53
	v_lshl_or_b32 v4, v4, 2, v52
	v_and_or_b32 v5, v3, 3, v4
                                        ; implicit-def: $vgpr52
; %bb.8878:                             ;   in Loop: Header=BB6_7611 Depth=3
	s_andn2_saveexec_b64 s[28:29], s[28:29]
; %bb.8879:                             ;   in Loop: Header=BB6_7611 Depth=3
	v_mov_b32_e32 v5, v52
; %bb.8880:                             ;   in Loop: Header=BB6_7611 Depth=3
	s_or_b64 exec, exec, s[28:29]
.LBB6_8881:                             ;   in Loop: Header=BB6_7611 Depth=3
	s_or_b64 exec, exec, s[38:39]
                                        ; implicit-def: $vgpr52
.LBB6_8882:                             ;   in Loop: Header=BB6_7611 Depth=3
	s_andn2_saveexec_b64 s[28:29], s[36:37]
; %bb.8883:                             ;   in Loop: Header=BB6_7611 Depth=3
	v_or_b32_e32 v5, 0x7b, v52
; %bb.8884:                             ;   in Loop: Header=BB6_7611 Depth=3
	s_or_b64 exec, exec, s[28:29]
                                        ; implicit-def: $vgpr53
                                        ; implicit-def: $vgpr3_vgpr4
.LBB6_8885:                             ;   in Loop: Header=BB6_7611 Depth=3
	s_andn2_saveexec_b64 s[28:29], s[34:35]
	s_cbranch_execz .LBB6_7610
; %bb.8886:                             ;   in Loop: Header=BB6_7611 Depth=3
	v_cmp_ne_u64_e32 vcc, 0, v[3:4]
                                        ; implicit-def: $vgpr5
	s_and_saveexec_b64 s[34:35], vcc
	s_xor_b64 vcc, exec, s[34:35]
; %bb.8887:                             ;   in Loop: Header=BB6_7611 Depth=3
	v_or_b32_sdwa v5, v53, s83 dst_sel:DWORD dst_unused:UNUSED_PAD src0_sel:BYTE_3 src1_sel:DWORD
                                        ; implicit-def: $vgpr53
; %bb.8888:                             ;   in Loop: Header=BB6_7611 Depth=3
	s_andn2_saveexec_b64 s[34:35], vcc
	s_cbranch_execz .LBB6_7609
; %bb.8889:                             ;   in Loop: Header=BB6_7611 Depth=3
	v_cmp_lt_i32_e32 vcc, -1, v53
	v_mov_b32_e32 v3, 0x7c
	v_cndmask_b32_e32 v5, -4, v3, vcc
	s_branch .LBB6_7609
.LBB6_8890:                             ;   in Loop: Header=BB6_4663 Depth=2
	s_or_b64 exec, exec, s[30:31]
	buffer_load_dword v58, off, s[0:3], s33 offset:440 ; 4-byte Folded Reload
	buffer_load_dword v5, off, s[0:3], s33 offset:508 ; 4-byte Folded Reload
	;; [unrolled: 1-line block ×6, first 2 shown]
.LBB6_8891:                             ;   in Loop: Header=BB6_4663 Depth=2
	s_or_b64 exec, exec, s[40:41]
	s_waitcnt vmcnt(0)
	v_lshlrev_b32_e32 v1, 11, v3
	v_cmp_ne_u32_e32 vcc, v6, v1
	s_and_b64 exec, exec, vcc
	s_cbranch_execz .LBB6_8937
; %bb.8892:                             ;   in Loop: Header=BB6_4663 Depth=2
	v_add_u32_e32 v2, v8, v2
	v_and_b32_e32 v2, 0xffffffc0, v2
	v_sub_u32_e32 v2, v8, v2
	v_lshlrev_b32_e32 v0, 6, v0
	v_sub_u32_e32 v0, v2, v0
	v_add_u32_e32 v0, v1, v0
	v_sub_u32_e32 v11, v6, v0
	v_cmp_lt_i32_e32 vcc, 0, v11
	s_and_b64 exec, exec, vcc
	s_cbranch_execz .LBB6_8937
; %bb.8893:                             ;   in Loop: Header=BB6_4663 Depth=2
	s_trap 2
	ds_read_b128 v[1:4], v0
	v_add_u32_e32 v5, v0, v5
	v_ashrrev_i32_e32 v6, 31, v5
	s_mov_b64 s[30:31], 0
	s_waitcnt lgkmcnt(0)
	v_add_co_u32_e32 v0, vcc, v1, v5
	v_addc_co_u32_e32 v1, vcc, v2, v6, vcc
	v_add_co_u32_e32 v2, vcc, v3, v5
	v_addc_co_u32_e32 v3, vcc, v4, v6, vcc
	v_mov_b32_e32 v5, v1
	v_mov_b32_e32 v7, v3
	;; [unrolled: 1-line block ×4, first 2 shown]
.LBB6_8894:                             ;   Parent Loop BB6_47 Depth=1
                                        ;     Parent Loop BB6_4663 Depth=2
                                        ; =>    This Loop Header: Depth=3
                                        ;         Child Loop BB6_8935 Depth 4
	flat_load_sbyte v9, v[4:5] glc slc
	flat_load_sbyte v8, v[6:7] glc slc
	v_mov_b32_e32 v12, 0
	v_mov_b32_e32 v10, 0
	s_waitcnt vmcnt(0) lgkmcnt(0)
	v_cmp_ne_u16_e32 vcc, 0, v9
	s_and_saveexec_b64 s[28:29], vcc
	s_cbranch_execz .LBB6_8902
; %bb.8895:                             ;   in Loop: Header=BB6_8894 Depth=3
	v_cmp_ne_u16_e32 vcc, s80, v9
	v_bfrev_b32_e32 v10, 1
	s_and_saveexec_b64 s[40:41], vcc
	s_cbranch_execz .LBB6_8901
; %bb.8896:                             ;   in Loop: Header=BB6_8894 Depth=3
	v_and_b32_e32 v10, 0x7c, v9
	v_and_b32_e32 v13, 3, v9
	v_cmp_ne_u32_e32 vcc, s81, v10
                                        ; implicit-def: $vgpr10
	s_and_saveexec_b64 s[34:35], vcc
	s_xor_b64 s[34:35], exec, s[34:35]
	s_cbranch_execz .LBB6_8898
; %bb.8897:                             ;   in Loop: Header=BB6_8894 Depth=3
	v_and_b32_e32 v14, 0xff, v9
	v_bfe_u32 v16, v14, 2, 5
	v_ffbh_u32_e32 v14, v13
	v_min_u32_e32 v17, 32, v14
	v_mov_b32_e32 v10, v34
	v_subrev_u32_e32 v14, 29, v17
	v_lshlrev_b64 v[14:15], v14, v[9:10]
	v_sub_u32_e32 v10, 30, v17
	v_cmp_eq_u32_e32 vcc, 0, v16
	v_and_b32_e32 v14, 3, v14
	v_cndmask_b32_e32 v10, v16, v10, vcc
	v_and_b32_sdwa v9, sext(v9), s82 dst_sel:DWORD dst_unused:UNUSED_PAD src0_sel:WORD_0 src1_sel:DWORD
	v_cndmask_b32_e32 v13, v13, v14, vcc
	v_lshl_add_u32 v9, v10, 23, v9
	v_lshl_or_b32 v9, v13, 21, v9
	v_add_u32_e32 v10, 0x38000000, v9
                                        ; implicit-def: $vgpr13
                                        ; implicit-def: $vgpr9
.LBB6_8898:                             ;   in Loop: Header=BB6_8894 Depth=3
	s_andn2_saveexec_b64 s[34:35], s[34:35]
; %bb.8899:                             ;   in Loop: Header=BB6_8894 Depth=3
	v_cmp_lt_i16_e32 vcc, -1, v9
	v_mov_b32_e32 v9, 0xff800000
	v_mov_b32_e32 v10, 0x7f800000
	v_cndmask_b32_e32 v9, v9, v10, vcc
	v_cmp_eq_u32_e32 vcc, 0, v13
	v_mov_b32_e32 v10, 0x7f800001
	v_cndmask_b32_e32 v10, v10, v9, vcc
; %bb.8900:                             ;   in Loop: Header=BB6_8894 Depth=3
	s_or_b64 exec, exec, s[34:35]
.LBB6_8901:                             ;   in Loop: Header=BB6_8894 Depth=3
	s_or_b64 exec, exec, s[40:41]
.LBB6_8902:                             ;   in Loop: Header=BB6_8894 Depth=3
	s_or_b64 exec, exec, s[28:29]
	v_cmp_ne_u16_e32 vcc, 0, v8
	s_and_saveexec_b64 s[28:29], vcc
	s_cbranch_execz .LBB6_8910
; %bb.8903:                             ;   in Loop: Header=BB6_8894 Depth=3
	v_cmp_ne_u16_e32 vcc, s80, v8
	v_bfrev_b32_e32 v12, 1
	s_and_saveexec_b64 s[40:41], vcc
	s_cbranch_execz .LBB6_8909
; %bb.8904:                             ;   in Loop: Header=BB6_8894 Depth=3
	v_and_b32_e32 v9, 0x7c, v8
	v_and_b32_e32 v13, 3, v8
	v_cmp_ne_u32_e32 vcc, s81, v9
                                        ; implicit-def: $vgpr12
	s_and_saveexec_b64 s[34:35], vcc
	s_xor_b64 s[34:35], exec, s[34:35]
	s_cbranch_execz .LBB6_8906
; %bb.8905:                             ;   in Loop: Header=BB6_8894 Depth=3
	v_ffbh_u32_e32 v15, v13
	v_and_b32_e32 v9, 0xff, v8
	v_min_u32_e32 v15, 32, v15
	v_bfe_u32 v12, v9, 2, 5
	v_mov_b32_e32 v9, v34
	v_subrev_u32_e32 v16, 29, v15
	v_and_b32_sdwa v14, sext(v8), s82 dst_sel:DWORD dst_unused:UNUSED_PAD src0_sel:WORD_0 src1_sel:DWORD
	v_lshlrev_b64 v[8:9], v16, v[8:9]
	v_sub_u32_e32 v9, 30, v15
	v_cmp_eq_u32_e32 vcc, 0, v12
	v_and_b32_e32 v8, 3, v8
	v_cndmask_b32_e32 v9, v12, v9, vcc
	v_cndmask_b32_e32 v8, v13, v8, vcc
	v_lshl_add_u32 v9, v9, 23, v14
	v_lshl_or_b32 v8, v8, 21, v9
	v_add_u32_e32 v12, 0x38000000, v8
                                        ; implicit-def: $vgpr8
                                        ; implicit-def: $vgpr13
.LBB6_8906:                             ;   in Loop: Header=BB6_8894 Depth=3
	s_andn2_saveexec_b64 s[34:35], s[34:35]
; %bb.8907:                             ;   in Loop: Header=BB6_8894 Depth=3
	v_cmp_lt_i16_e32 vcc, -1, v8
	v_mov_b32_e32 v8, 0xff800000
	v_mov_b32_e32 v9, 0x7f800000
	v_cndmask_b32_e32 v8, v8, v9, vcc
	v_cmp_eq_u32_e32 vcc, 0, v13
	v_mov_b32_e32 v9, 0x7f800001
	v_cndmask_b32_e32 v12, v9, v8, vcc
; %bb.8908:                             ;   in Loop: Header=BB6_8894 Depth=3
	s_or_b64 exec, exec, s[34:35]
.LBB6_8909:                             ;   in Loop: Header=BB6_8894 Depth=3
	s_or_b64 exec, exec, s[40:41]
.LBB6_8910:                             ;   in Loop: Header=BB6_8894 Depth=3
	s_or_b64 exec, exec, s[28:29]
	v_mul_f32_e32 v13, v10, v12
	v_and_b32_e32 v9, 0x7f800000, v13
	v_mov_b32_e32 v10, v34
	v_cmp_ne_u64_e32 vcc, s[76:77], v[9:10]
	v_and_b32_e32 v8, 0x7fffff, v13
	v_mov_b32_e32 v9, v34
                                        ; implicit-def: $vgpr10
	s_and_saveexec_b64 s[28:29], vcc
	s_xor_b64 s[40:41], exec, s[28:29]
	s_cbranch_execz .LBB6_8928
; %bb.8911:                             ;   in Loop: Header=BB6_8894 Depth=3
	v_and_b32_e32 v14, 0x7fffffff, v13
	v_mov_b32_e32 v15, v34
	v_cmp_gt_u64_e32 vcc, s[78:79], v[14:15]
	v_and_b32_sdwa v12, v13, s44 dst_sel:DWORD dst_unused:UNUSED_PAD src0_sel:BYTE_3 src1_sel:DWORD
                                        ; implicit-def: $vgpr10
	s_and_saveexec_b64 s[28:29], vcc
	s_xor_b64 s[34:35], exec, s[28:29]
	s_cbranch_execz .LBB6_8925
; %bb.8912:                             ;   in Loop: Header=BB6_8894 Depth=3
	v_cmp_ne_u32_e32 vcc, 0, v13
	v_mov_b32_e32 v10, 0
	s_and_saveexec_b64 s[36:37], vcc
	s_cbranch_execz .LBB6_8924
; %bb.8913:                             ;   in Loop: Header=BB6_8894 Depth=3
	v_bfe_u32 v13, v13, 23, 8
	v_cmp_gt_u32_e64 s[28:29], s45, v13
	v_sub_u32_e32 v10, 0x71, v13
	v_cmp_eq_u32_e32 vcc, 0, v13
	v_cndmask_b32_e64 v10, 0, v10, s[28:29]
	v_mov_b32_e32 v14, 0x70
	v_cndmask_b32_e32 v14, v10, v14, vcc
	v_or_b32_e32 v15, 0x800000, v8
	v_add_u32_e32 v10, 21, v14
	v_cndmask_b32_e32 v8, v15, v8, vcc
	v_lshlrev_b64 v[15:16], v10, -1
	v_add_u32_e32 v10, 20, v14
	v_bfi_b32 v15, v15, 0, v8
	v_lshlrev_b64 v[17:18], v10, 1
	v_lshrrev_b64 v[8:9], v14, v[8:9]
	v_bfi_b32 v16, v16, 0, 0
	v_cmp_eq_u64_e64 s[28:29], v[15:16], v[17:18]
	v_mov_b32_e32 v10, v9
	v_mov_b32_e32 v9, v8
	s_and_saveexec_b64 s[38:39], s[28:29]
; %bb.8914:                             ;   in Loop: Header=BB6_8894 Depth=3
	v_bfe_u32 v9, v8, 21, 1
	v_add_co_u32_e64 v9, s[28:29], v8, v9
	v_add_co_u32_e64 v9, s[28:29], -1, v9
; %bb.8915:                             ;   in Loop: Header=BB6_8894 Depth=3
	s_or_b64 exec, exec, s[38:39]
	v_add_u32_e32 v10, 0xffffff81, v13
	v_mov_b32_e32 v13, 0xffffff82
	v_cndmask_b32_e32 v10, v10, v13, vcc
	v_lshrrev_b32_e32 v13, 23, v8
	v_add3_u32 v14, v14, v10, v13
	v_add_u32_e32 v10, 14, v14
	v_and_b32_e32 v9, 0x1fffff, v9
	v_add_u32_e32 v8, v9, v8
	v_mov_b32_e32 v9, v34
	v_cmp_ne_u32_e32 vcc, 0, v10
                                        ; implicit-def: $vgpr13
	s_and_saveexec_b64 s[28:29], vcc
	s_xor_b64 s[28:29], exec, s[28:29]
; %bb.8916:                             ;   in Loop: Header=BB6_8894 Depth=3
	v_cmp_lt_u64_e32 vcc, s[88:89], v[8:9]
	v_add_u32_e32 v13, 15, v14
	v_cndmask_b32_e32 v13, v10, v13, vcc
	v_cndmask_b32_e64 v10, 0, 1, vcc
	v_lshrrev_b64 v[8:9], v10, v[8:9]
; %bb.8917:                             ;   in Loop: Header=BB6_8894 Depth=3
	s_andn2_saveexec_b64 s[28:29], s[28:29]
; %bb.8918:                             ;   in Loop: Header=BB6_8894 Depth=3
	v_bfe_u32 v13, v8, 23, 1
; %bb.8919:                             ;   in Loop: Header=BB6_8894 Depth=3
	s_or_b64 exec, exec, s[28:29]
	v_lshrrev_b64 v[8:9], 21, v[8:9]
	v_cmp_gt_i32_e32 vcc, 32, v13
	v_cndmask_b32_e32 v9, 0, v9, vcc
	v_cndmask_b32_e32 v8, 3, v8, vcc
	v_cmp_ne_u64_e32 vcc, 0, v[8:9]
	v_cmp_ne_u32_e64 s[28:29], 0, v13
	s_or_b64 s[28:29], s[28:29], vcc
                                        ; implicit-def: $vgpr10
	s_and_saveexec_b64 vcc, s[28:29]
	s_xor_b64 s[28:29], exec, vcc
; %bb.8920:                             ;   in Loop: Header=BB6_8894 Depth=3
	v_min_i32_e32 v9, 31, v13
	v_lshl_or_b32 v9, v9, 2, v12
	v_and_or_b32 v10, v8, 3, v9
                                        ; implicit-def: $vgpr12
; %bb.8921:                             ;   in Loop: Header=BB6_8894 Depth=3
	s_andn2_saveexec_b64 s[28:29], s[28:29]
; %bb.8922:                             ;   in Loop: Header=BB6_8894 Depth=3
	v_mov_b32_e32 v10, v12
; %bb.8923:                             ;   in Loop: Header=BB6_8894 Depth=3
	s_or_b64 exec, exec, s[28:29]
.LBB6_8924:                             ;   in Loop: Header=BB6_8894 Depth=3
	s_or_b64 exec, exec, s[36:37]
                                        ; implicit-def: $vgpr12
.LBB6_8925:                             ;   in Loop: Header=BB6_8894 Depth=3
	s_andn2_saveexec_b64 s[28:29], s[34:35]
; %bb.8926:                             ;   in Loop: Header=BB6_8894 Depth=3
	v_or_b32_e32 v10, 0x7b, v12
; %bb.8927:                             ;   in Loop: Header=BB6_8894 Depth=3
	s_or_b64 exec, exec, s[28:29]
                                        ; implicit-def: $vgpr13
                                        ; implicit-def: $vgpr8_vgpr9
.LBB6_8928:                             ;   in Loop: Header=BB6_8894 Depth=3
	s_andn2_saveexec_b64 s[28:29], s[40:41]
	s_cbranch_execz .LBB6_8934
; %bb.8929:                             ;   in Loop: Header=BB6_8894 Depth=3
	v_cmp_ne_u64_e32 vcc, 0, v[8:9]
                                        ; implicit-def: $vgpr10
	s_and_saveexec_b64 s[40:41], vcc
	s_xor_b64 s[40:41], exec, s[40:41]
; %bb.8930:                             ;   in Loop: Header=BB6_8894 Depth=3
	v_or_b32_sdwa v10, v13, s83 dst_sel:DWORD dst_unused:UNUSED_PAD src0_sel:BYTE_3 src1_sel:DWORD
                                        ; implicit-def: $vgpr13
; %bb.8931:                             ;   in Loop: Header=BB6_8894 Depth=3
	s_andn2_saveexec_b64 s[40:41], s[40:41]
; %bb.8932:                             ;   in Loop: Header=BB6_8894 Depth=3
	v_cmp_lt_i32_e32 vcc, -1, v13
	v_mov_b32_e32 v8, 0x7c
	v_cndmask_b32_e32 v10, -4, v8, vcc
; %bb.8933:                             ;   in Loop: Header=BB6_8894 Depth=3
	s_or_b64 exec, exec, s[40:41]
.LBB6_8934:                             ;   in Loop: Header=BB6_8894 Depth=3
	s_or_b64 exec, exec, s[28:29]
	s_mov_b64 s[36:37], 0
	s_mov_b64 s[34:35], -1
.LBB6_8935:                             ;   Parent Loop BB6_47 Depth=1
                                        ;     Parent Loop BB6_4663 Depth=2
                                        ;       Parent Loop BB6_8894 Depth=3
                                        ; =>      This Inner Loop Header: Depth=4
	s_cmp_eq_u32 s36, 1
	s_cselect_b64 vcc, -1, 0
	v_cndmask_b32_e32 v9, v1, v3, vcc
	v_cndmask_b32_e32 v8, v0, v2, vcc
	flat_store_byte v[8:9], v10 glc slc
	v_add_co_u32_e64 v8, s[28:29], 64, v8
	s_cmp_eq_u32 s36, 0
	v_addc_co_u32_e64 v9, s[28:29], 0, v9, s[28:29]
	s_cselect_b64 s[28:29], -1, 0
	s_and_b64 s[40:41], exec, s[34:35]
	s_mov_b64 s[36:37], 1
	s_mov_b64 s[34:35], 0
	v_cndmask_b32_e32 v3, v3, v9, vcc
	v_cndmask_b32_e32 v2, v2, v8, vcc
	v_cndmask_b32_e64 v1, v1, v9, s[28:29]
	v_cndmask_b32_e64 v0, v0, v8, s[28:29]
	s_mov_b64 vcc, s[40:41]
	s_cbranch_vccnz .LBB6_8935
; %bb.8936:                             ;   in Loop: Header=BB6_8894 Depth=3
	buffer_load_dword v8, off, s[0:3], s33 offset:336 ; 4-byte Folded Reload
	buffer_load_dword v9, off, s[0:3], s33 offset:340 ; 4-byte Folded Reload
	;; [unrolled: 1-line block ×3, first 2 shown]
	s_waitcnt vmcnt(0)
	v_add_co_u32_e32 v4, vcc, v4, v8
	v_addc_co_u32_e32 v5, vcc, v5, v9, vcc
	v_add_co_u32_e32 v6, vcc, v6, v8
	v_addc_co_u32_e32 v7, vcc, v7, v9, vcc
	buffer_load_dword v9, off, s[0:3], s33 offset:328 ; 4-byte Folded Reload
	buffer_load_dword v8, off, s[0:3], s33 offset:276 ; 4-byte Folded Reload
	s_waitcnt vmcnt(0)
	v_add_co_u32_e32 v0, vcc, v0, v9
	v_addc_co_u32_e32 v1, vcc, v1, v10, vcc
	v_sub_u32_e32 v11, v11, v8
	v_cmp_gt_i32_e32 vcc, 1, v11
	s_or_b64 s[30:31], vcc, s[30:31]
	v_add_co_u32_e32 v2, vcc, v2, v9
	v_addc_co_u32_e32 v3, vcc, v3, v10, vcc
	s_andn2_b64 exec, exec, s[30:31]
	s_cbranch_execnz .LBB6_8894
.LBB6_8937:                             ;   in Loop: Header=BB6_4663 Depth=2
	s_or_b64 exec, exec, s[42:43]
	s_branch .LBB6_13134
.LBB6_8938:                             ;   in Loop: Header=BB6_4663 Depth=2
	s_mov_b64 s[40:41], -1
	s_and_saveexec_b64 s[28:29], s[22:23]
	s_cbranch_execz .LBB6_8940
; %bb.8939:                             ;   in Loop: Header=BB6_4663 Depth=2
	ds_read_b32 v0, v0 offset:720
	s_waitcnt lgkmcnt(0)
	v_and_b32_e32 v0, 15, v0
	v_cmp_eq_u32_e32 vcc, 0, v0
	s_orn2_b64 s[40:41], vcc, exec
.LBB6_8940:                             ;   in Loop: Header=BB6_4663 Depth=2
	s_or_b64 exec, exec, s[28:29]
	s_and_saveexec_b64 s[28:29], s[18:19]
	s_cbranch_execz .LBB6_8942
; %bb.8941:                             ;   in Loop: Header=BB6_4663 Depth=2
	ds_read_b32 v0, v0 offset:784
	s_waitcnt lgkmcnt(0)
	v_and_b32_e32 v0, 15, v0
	v_cmp_eq_u32_e32 vcc, 0, v0
	s_and_b64 s[42:43], s[40:41], vcc
	s_andn2_b64 s[40:41], s[40:41], exec
	s_and_b64 s[42:43], s[42:43], exec
	s_or_b64 s[40:41], s[40:41], s[42:43]
.LBB6_8942:                             ;   in Loop: Header=BB6_4663 Depth=2
	s_or_b64 exec, exec, s[28:29]
	buffer_load_dword v3, off, s[0:3], s33 offset:432 ; 4-byte Folded Reload
	buffer_load_dword v5, off, s[0:3], s33 offset:348 ; 4-byte Folded Reload
	;; [unrolled: 1-line block ×3, first 2 shown]
	s_xor_b64 s[40:41], s[40:41], -1
	v_cndmask_b32_e64 v0, 0, 1, s[40:41]
	s_mov_b64 s[28:29], -1
	v_mov_b32_e32 v4, 0
	v_cmp_ne_u32_e32 vcc, 0, v0
	s_cbranch_vccz .LBB6_8944
; %bb.8943:                             ;   in Loop: Header=BB6_4663 Depth=2
	s_and_saveexec_b64 s[40:41], s[28:29]
	s_cbranch_execnz .LBB6_11805
	s_branch .LBB6_13133
.LBB6_8944:                             ;   in Loop: Header=BB6_4663 Depth=2
	buffer_load_dword v1, off, s[0:3], s33 offset:432 ; 4-byte Folded Reload
	s_waitcnt vmcnt(0)
	v_ashrrev_i32_e32 v0, 31, v1
	v_lshrrev_b32_e32 v0, 20, v0
	v_add_u32_e32 v0, v1, v0
	v_ashrrev_i32_e32 v1, 12, v0
	buffer_load_dword v0, off, s[0:3], s33 offset:320 ; 4-byte Folded Reload
	s_waitcnt vmcnt(0)
	v_sub_u32_e32 v7, v1, v0
	v_cmp_lt_i32_e32 vcc, 0, v7
	s_and_saveexec_b64 s[40:41], vcc
	s_cbranch_execz .LBB6_11252
; %bb.8945:                             ;   in Loop: Header=BB6_4663 Depth=2
	buffer_store_dword v1, off, s[0:3], s33 offset:384 ; 4-byte Folded Spill
	s_trap 2
	ds_read_b64 v[3:4], v0
	buffer_load_dword v0, off, s[0:3], s33 offset:424 ; 4-byte Folded Reload
	buffer_load_dword v1, off, s[0:3], s33 offset:452 ; 4-byte Folded Reload
	;; [unrolled: 1-line block ×4, first 2 shown]
	s_mov_b64 s[42:43], 0
	s_waitcnt vmcnt(0)
	v_add_co_u32_e32 v1, vcc, v1, v0
	v_addc_co_u32_e32 v2, vcc, v2, v5, vcc
	s_waitcnt lgkmcnt(0)
	v_add_co_u32_e32 v24, vcc, v3, v0
	v_addc_co_u32_e32 v25, vcc, v4, v5, vcc
	buffer_load_dword v3, off, s[0:3], s33 offset:444 ; 4-byte Folded Reload
	buffer_load_dword v4, off, s[0:3], s33 offset:448 ; 4-byte Folded Reload
	s_waitcnt vmcnt(1)
	v_add_co_u32_e32 v52, vcc, v3, v0
	s_waitcnt vmcnt(0)
	v_addc_co_u32_e32 v53, vcc, v4, v5, vcc
	s_branch .LBB6_8948
.LBB6_8946:                             ;   in Loop: Header=BB6_8948 Depth=3
	s_or_b64 exec, exec, s[30:31]
.LBB6_8947:                             ;   in Loop: Header=BB6_8948 Depth=3
	s_or_b64 exec, exec, s[28:29]
	v_lshl_or_b32 v3, v42, 8, v41
	v_lshl_or_b32 v4, v29, 8, v28
	v_lshlrev_b32_e32 v5, 16, v43
	v_lshlrev_b32_e32 v10, 24, v16
	;; [unrolled: 1-line block ×4, first 2 shown]
	v_or3_b32 v15, v3, v5, v10
	v_or3_b32 v14, v4, v11, v14
	v_lshl_or_b32 v3, v20, 8, v17
	v_lshlrev_b32_e32 v4, 16, v21
	v_lshlrev_b32_e32 v5, 24, v44
	v_or3_b32 v16, v3, v4, v5
	v_lshl_or_b32 v3, v37, 8, v36
	v_lshlrev_b32_e32 v4, 24, v18
	v_lshlrev_b32_e32 v5, 16, v48
	v_or3_b32 v17, v3, v5, v4
	buffer_load_dword v3, off, s[0:3], s33 offset:248 ; 4-byte Folded Reload
	buffer_load_dword v4, off, s[0:3], s33 offset:256 ; 4-byte Folded Reload
	v_lshlrev_b32_e32 v0, 24, v0
	v_lshl_or_b32 v6, v38, 8, v6
	buffer_load_dword v5, off, s[0:3], s33 offset:376 ; 4-byte Folded Reload
	s_waitcnt vmcnt(1)
	v_lshl_or_b32 v3, v4, 8, v3
	buffer_load_dword v4, off, s[0:3], s33 offset:264 ; 4-byte Folded Reload
	buffer_load_dword v10, off, s[0:3], s33 offset:216 ; 4-byte Folded Reload
	buffer_load_dword v11, off, s[0:3], s33 offset:224 ; 4-byte Folded Reload
	s_waitcnt vmcnt(3)
	v_lshlrev_b32_e32 v5, 24, v5
	s_waitcnt vmcnt(2)
	v_lshlrev_b32_e32 v4, 16, v4
	v_or3_b32 v41, v3, v4, v5
	buffer_load_dword v3, off, s[0:3], s33 offset:232 ; 4-byte Folded Reload
	buffer_load_dword v4, off, s[0:3], s33 offset:240 ; 4-byte Folded Reload
	s_waitcnt vmcnt(2)
	v_lshl_or_b32 v10, v11, 8, v10
	v_lshlrev_b32_e32 v5, 24, v54
	s_waitcnt vmcnt(1)
	v_lshlrev_b32_e32 v3, 16, v3
	s_waitcnt vmcnt(0)
	v_lshlrev_b32_e32 v4, 24, v4
	v_or3_b32 v40, v10, v3, v4
	v_lshl_or_b32 v3, v61, 8, v60
	v_lshlrev_b32_e32 v4, 16, v35
	v_or3_b32 v42, v3, v4, v5
	v_lshlrev_b32_e32 v3, 24, v27
	v_lshlrev_b32_e32 v4, 16, v26
	v_lshl_or_b32 v5, v31, 8, v30
	v_or3_b32 v43, v5, v4, v3
	buffer_load_dword v3, off, s[0:3], s33 offset:120 ; 4-byte Folded Reload
	buffer_load_dword v4, off, s[0:3], s33 offset:128 ; 4-byte Folded Reload
	;; [unrolled: 1-line block ×3, first 2 shown]
	s_waitcnt vmcnt(1)
	v_lshl_or_b32 v3, v4, 8, v3
	buffer_load_dword v4, off, s[0:3], s33 offset:136 ; 4-byte Folded Reload
	s_waitcnt vmcnt(1)
	v_lshlrev_b32_e32 v5, 24, v5
	s_waitcnt vmcnt(0)
	v_lshlrev_b32_e32 v4, 16, v4
	v_or3_b32 v27, v3, v4, v5
	buffer_load_dword v3, off, s[0:3], s33 offset:92 ; 4-byte Folded Reload
	buffer_load_dword v4, off, s[0:3], s33 offset:104 ; 4-byte Folded Reload
	;; [unrolled: 1-line block ×3, first 2 shown]
	s_waitcnt vmcnt(2)
	v_lshl_or_b32 v3, v3, 8, v59
	s_waitcnt vmcnt(1)
	v_lshlrev_b32_e32 v4, 16, v4
	s_waitcnt vmcnt(0)
	v_lshlrev_b32_e32 v5, 24, v5
	v_or3_b32 v26, v3, v4, v5
	buffer_load_dword v3, off, s[0:3], s33 offset:152 ; 4-byte Folded Reload
	buffer_load_dword v4, off, s[0:3], s33 offset:160 ; 4-byte Folded Reload
	;; [unrolled: 1-line block ×3, first 2 shown]
	s_waitcnt vmcnt(1)
	v_lshl_or_b32 v3, v4, 8, v3
	buffer_load_dword v4, off, s[0:3], s33 offset:168 ; 4-byte Folded Reload
	s_waitcnt vmcnt(1)
	v_lshlrev_b32_e32 v5, 24, v5
	s_waitcnt vmcnt(0)
	v_lshlrev_b32_e32 v4, 16, v4
	v_or3_b32 v28, v3, v4, v5
	buffer_load_dword v3, off, s[0:3], s33 offset:208 ; 4-byte Folded Reload
	buffer_load_dword v4, off, s[0:3], s33 offset:200 ; 4-byte Folded Reload
	;; [unrolled: 1-line block ×4, first 2 shown]
	s_waitcnt vmcnt(3)
	v_lshlrev_b32_e32 v3, 24, v3
	s_waitcnt vmcnt(2)
	v_lshlrev_b32_e32 v4, 16, v4
	s_waitcnt vmcnt(0)
	v_lshl_or_b32 v5, v10, 8, v5
	v_or3_b32 v29, v5, v4, v3
	v_lshl_or_b32 v3, v46, 8, v45
	v_lshlrev_b32_e32 v4, 16, v47
	v_lshlrev_b32_e32 v5, 24, v8
	v_or3_b32 v4, v3, v4, v5
	v_lshl_or_b32 v3, v22, 8, v19
	v_lshlrev_b32_e32 v5, 16, v23
	v_lshlrev_b32_e32 v8, 24, v49
	;; [unrolled: 4-line block ×3, first 2 shown]
	v_or3_b32 v5, v5, v8, v9
	v_lshlrev_b32_e32 v8, 16, v39
	v_or3_b32 v6, v6, v8, v0
	global_store_dwordx4 v[52:53], v[26:29], off glc slc
	global_store_dwordx4 v[52:53], v[40:43], off offset:1024 glc slc
	global_store_dwordx4 v[52:53], v[14:17], off offset:2048 glc slc
	;; [unrolled: 1-line block ×3, first 2 shown]
	buffer_load_dword v0, off, s[0:3], s33 offset:280 ; 4-byte Folded Reload
	buffer_load_dword v39, off, s[0:3], s33 offset:100 ; 4-byte Folded Reload
	s_waitcnt vmcnt(1)
	v_add_co_u32_e32 v1, vcc, v1, v0
	v_addc_co_u32_e32 v2, vcc, 0, v2, vcc
	v_add_co_u32_e32 v24, vcc, v24, v0
	v_addc_co_u32_e32 v25, vcc, 0, v25, vcc
	s_waitcnt vmcnt(0)
	v_sub_u32_e32 v7, v7, v39
	v_cmp_gt_i32_e32 vcc, 1, v7
	s_or_b64 s[42:43], vcc, s[42:43]
	v_add_co_u32_e32 v52, vcc, v52, v0
	v_addc_co_u32_e32 v53, vcc, 0, v53, vcc
	s_andn2_b64 exec, exec, s[42:43]
	s_cbranch_execz .LBB6_11251
.LBB6_8948:                             ;   Parent Loop BB6_47 Depth=1
                                        ;     Parent Loop BB6_4663 Depth=2
                                        ; =>    This Inner Loop Header: Depth=3
	global_load_dwordx4 v[48:51], v[1:2], off glc slc
	global_load_dwordx4 v[26:29], v[1:2], off offset:1024 glc slc
	global_load_dwordx4 v[20:23], v[1:2], off offset:2048 glc slc
	;; [unrolled: 1-line block ×3, first 2 shown]
	global_load_dwordx4 v[36:39], v[24:25], off glc slc
	global_load_dwordx4 v[3:6], v[24:25], off offset:1024 glc slc
	global_load_dwordx4 v[16:19], v[24:25], off offset:2048 glc slc
	;; [unrolled: 1-line block ×3, first 2 shown]
	v_mov_b32_e32 v0, 0
	v_mov_b32_e32 v30, 0
	s_waitcnt vmcnt(7)
	v_cmp_ne_u16_sdwa vcc, v48, v34 src0_sel:BYTE_0 src1_sel:DWORD
	s_and_saveexec_b64 s[28:29], vcc
	s_cbranch_execz .LBB6_8956
; %bb.8949:                             ;   in Loop: Header=BB6_8948 Depth=3
	v_cmp_ne_u16_sdwa vcc, sext(v48), s80 src0_sel:BYTE_0 src1_sel:DWORD
	v_bfrev_b32_e32 v30, 1
	s_and_saveexec_b64 s[30:31], vcc
	s_cbranch_execz .LBB6_8955
; %bb.8950:                             ;   in Loop: Header=BB6_8948 Depth=3
	v_and_b32_e32 v30, 0x7c, v48
	v_and_b32_e32 v31, 3, v48
	v_cmp_ne_u32_e32 vcc, s81, v30
                                        ; implicit-def: $vgpr30
	s_and_saveexec_b64 s[34:35], vcc
	s_xor_b64 s[34:35], exec, s[34:35]
	s_cbranch_execz .LBB6_8952
; %bb.8951:                             ;   in Loop: Header=BB6_8948 Depth=3
	v_ffbh_u32_e32 v32, v31
	v_min_u32_e32 v35, 32, v32
	v_subrev_u32_e32 v32, 29, v35
	v_lshlrev_b64 v[32:33], v32, v[48:49]
	v_bfe_u32 v30, v48, 2, 5
	v_and_b32_e32 v32, 3, v32
	v_cmp_eq_u32_e32 vcc, 0, v30
	v_sub_u32_e32 v33, 30, v35
	v_cndmask_b32_e32 v31, v31, v32, vcc
	v_lshlrev_b32_e32 v32, 24, v48
	v_cndmask_b32_e32 v30, v30, v33, vcc
	v_and_b32_e32 v32, 0x80000000, v32
	v_lshl_add_u32 v30, v30, 23, v32
	v_lshl_or_b32 v30, v31, 21, v30
	v_add_u32_e32 v30, 0x38000000, v30
                                        ; implicit-def: $vgpr31
.LBB6_8952:                             ;   in Loop: Header=BB6_8948 Depth=3
	s_andn2_saveexec_b64 s[34:35], s[34:35]
; %bb.8953:                             ;   in Loop: Header=BB6_8948 Depth=3
	v_mov_b32_e32 v30, -1
	v_cmp_gt_i16_sdwa vcc, sext(v48), v30 src0_sel:BYTE_0 src1_sel:DWORD
	v_mov_b32_e32 v30, 0xff800000
	v_mov_b32_e32 v32, 0x7f800000
	v_cndmask_b32_e32 v30, v30, v32, vcc
	v_cmp_eq_u32_e32 vcc, 0, v31
	v_mov_b32_e32 v31, 0x7f800001
	v_cndmask_b32_e32 v30, v31, v30, vcc
; %bb.8954:                             ;   in Loop: Header=BB6_8948 Depth=3
	s_or_b64 exec, exec, s[34:35]
.LBB6_8955:                             ;   in Loop: Header=BB6_8948 Depth=3
	s_or_b64 exec, exec, s[30:31]
.LBB6_8956:                             ;   in Loop: Header=BB6_8948 Depth=3
	s_or_b64 exec, exec, s[28:29]
	s_waitcnt vmcnt(3)
	v_cmp_ne_u16_sdwa vcc, v36, v34 src0_sel:BYTE_0 src1_sel:DWORD
	s_and_saveexec_b64 s[28:29], vcc
	s_cbranch_execz .LBB6_8964
; %bb.8957:                             ;   in Loop: Header=BB6_8948 Depth=3
	v_cmp_ne_u16_sdwa vcc, sext(v36), s80 src0_sel:BYTE_0 src1_sel:DWORD
	v_bfrev_b32_e32 v0, 1
	s_and_saveexec_b64 s[30:31], vcc
	s_cbranch_execz .LBB6_8963
; %bb.8958:                             ;   in Loop: Header=BB6_8948 Depth=3
	v_and_b32_e32 v0, 0x7c, v36
	v_and_b32_e32 v31, 3, v36
	v_cmp_ne_u32_e32 vcc, s81, v0
                                        ; implicit-def: $vgpr0
	s_and_saveexec_b64 s[34:35], vcc
	s_xor_b64 s[34:35], exec, s[34:35]
	s_cbranch_execz .LBB6_8960
; %bb.8959:                             ;   in Loop: Header=BB6_8948 Depth=3
	v_ffbh_u32_e32 v32, v31
	v_min_u32_e32 v35, 32, v32
	v_subrev_u32_e32 v32, 29, v35
	v_lshlrev_b64 v[32:33], v32, v[36:37]
	v_bfe_u32 v0, v36, 2, 5
	v_and_b32_e32 v32, 3, v32
	v_cmp_eq_u32_e32 vcc, 0, v0
	v_sub_u32_e32 v33, 30, v35
	v_cndmask_b32_e32 v31, v31, v32, vcc
	v_lshlrev_b32_e32 v32, 24, v36
	v_cndmask_b32_e32 v0, v0, v33, vcc
	v_and_b32_e32 v32, 0x80000000, v32
	v_lshl_add_u32 v0, v0, 23, v32
	v_lshl_or_b32 v0, v31, 21, v0
	v_add_u32_e32 v0, 0x38000000, v0
                                        ; implicit-def: $vgpr31
.LBB6_8960:                             ;   in Loop: Header=BB6_8948 Depth=3
	s_andn2_saveexec_b64 s[34:35], s[34:35]
; %bb.8961:                             ;   in Loop: Header=BB6_8948 Depth=3
	v_mov_b32_e32 v0, -1
	v_cmp_gt_i16_sdwa vcc, sext(v36), v0 src0_sel:BYTE_0 src1_sel:DWORD
	v_mov_b32_e32 v0, 0xff800000
	v_mov_b32_e32 v32, 0x7f800000
	v_cndmask_b32_e32 v0, v0, v32, vcc
	v_cmp_eq_u32_e32 vcc, 0, v31
	v_mov_b32_e32 v31, 0x7f800001
	v_cndmask_b32_e32 v0, v31, v0, vcc
; %bb.8962:                             ;   in Loop: Header=BB6_8948 Depth=3
	s_or_b64 exec, exec, s[34:35]
.LBB6_8963:                             ;   in Loop: Header=BB6_8948 Depth=3
	s_or_b64 exec, exec, s[30:31]
.LBB6_8964:                             ;   in Loop: Header=BB6_8948 Depth=3
	s_or_b64 exec, exec, s[28:29]
	v_mul_f32_e32 v32, v30, v0
	v_and_b32_e32 v54, 0x7f800000, v32
	v_mov_b32_e32 v55, v34
	v_cmp_ne_u64_e32 vcc, s[76:77], v[54:55]
	v_and_b32_e32 v30, 0x7fffff, v32
	v_mov_b32_e32 v31, v34
                                        ; implicit-def: $vgpr59
	s_and_saveexec_b64 s[28:29], vcc
	s_xor_b64 s[30:31], exec, s[28:29]
	s_cbranch_execz .LBB6_8978
; %bb.8965:                             ;   in Loop: Header=BB6_8948 Depth=3
	v_and_b32_e32 v54, 0x7fffffff, v32
	v_mov_b32_e32 v55, v34
	v_cmp_gt_u64_e32 vcc, s[78:79], v[54:55]
	v_and_b32_sdwa v0, v32, s44 dst_sel:DWORD dst_unused:UNUSED_PAD src0_sel:BYTE_3 src1_sel:DWORD
                                        ; implicit-def: $vgpr59
	s_and_saveexec_b64 s[28:29], vcc
	s_xor_b64 s[34:35], exec, s[28:29]
	s_cbranch_execz .LBB6_8975
; %bb.8966:                             ;   in Loop: Header=BB6_8948 Depth=3
	v_mov_b32_e32 v59, 0
	v_cmp_ne_u32_e32 vcc, 0, v32
	s_and_saveexec_b64 s[36:37], vcc
	s_cbranch_execz .LBB6_8974
; %bb.8967:                             ;   in Loop: Header=BB6_8948 Depth=3
	v_bfe_u32 v33, v32, 23, 8
	v_cmp_gt_u32_e64 s[28:29], s45, v33
	v_sub_u32_e32 v32, 0x71, v33
	v_cmp_eq_u32_e32 vcc, 0, v33
	v_cndmask_b32_e64 v32, 0, v32, s[28:29]
	v_mov_b32_e32 v35, 0x70
	v_cndmask_b32_e32 v35, v32, v35, vcc
	v_or_b32_e32 v54, 0x800000, v30
	v_add_u32_e32 v32, 21, v35
	v_cndmask_b32_e32 v30, v54, v30, vcc
	v_lshlrev_b64 v[54:55], v32, -1
	v_add_u32_e32 v32, 20, v35
	v_bfi_b32 v54, v54, 0, v30
	v_lshlrev_b64 v[40:41], v32, 1
	v_lshrrev_b64 v[30:31], v35, v[30:31]
	v_bfi_b32 v55, v55, 0, 0
	v_cmp_eq_u64_e64 s[28:29], v[54:55], v[40:41]
	v_mov_b32_e32 v32, v31
	v_mov_b32_e32 v31, v30
	s_and_saveexec_b64 s[38:39], s[28:29]
; %bb.8968:                             ;   in Loop: Header=BB6_8948 Depth=3
	v_bfe_u32 v31, v30, 21, 1
	v_add_co_u32_e64 v31, s[28:29], v30, v31
	v_add_co_u32_e64 v31, s[28:29], -1, v31
; %bb.8969:                             ;   in Loop: Header=BB6_8948 Depth=3
	s_or_b64 exec, exec, s[38:39]
	v_add_u32_e32 v32, 0xffffff81, v33
	v_mov_b32_e32 v33, 0xffffff82
	v_cndmask_b32_e32 v32, v32, v33, vcc
	v_lshrrev_b32_e32 v33, 23, v30
	v_add3_u32 v35, v35, v32, v33
	v_add_u32_e32 v33, 14, v35
	v_and_b32_e32 v31, 0x1fffff, v31
	v_add_u32_e32 v30, v31, v30
	v_mov_b32_e32 v31, v34
	v_cmp_ne_u32_e32 vcc, 0, v33
                                        ; implicit-def: $vgpr32
	s_and_saveexec_b64 s[28:29], vcc
	s_xor_b64 s[28:29], exec, s[28:29]
; %bb.8970:                             ;   in Loop: Header=BB6_8948 Depth=3
	v_cmp_lt_u64_e32 vcc, s[88:89], v[30:31]
	v_add_u32_e32 v32, 15, v35
	v_cndmask_b32_e32 v32, v33, v32, vcc
	v_cndmask_b32_e64 v33, 0, 1, vcc
	v_lshrrev_b64 v[30:31], v33, v[30:31]
; %bb.8971:                             ;   in Loop: Header=BB6_8948 Depth=3
	s_andn2_saveexec_b64 s[28:29], s[28:29]
; %bb.8972:                             ;   in Loop: Header=BB6_8948 Depth=3
	v_bfe_u32 v32, v30, 23, 1
; %bb.8973:                             ;   in Loop: Header=BB6_8948 Depth=3
	s_or_b64 exec, exec, s[28:29]
	v_lshrrev_b64 v[30:31], 21, v[30:31]
	v_cmp_gt_i32_e32 vcc, 32, v32
	v_cndmask_b32_e32 v31, 0, v31, vcc
	v_cndmask_b32_e32 v30, 3, v30, vcc
	v_cmp_eq_u64_e64 s[28:29], 0, v[30:31]
	v_min_i32_e32 v31, 31, v32
	v_lshlrev_b32_e32 v31, 2, v31
	v_cmp_eq_u32_e32 vcc, 0, v32
	v_and_b32_e32 v31, 0xfc, v31
	v_and_or_b32 v30, v30, 3, v31
	s_and_b64 s[28:29], vcc, s[28:29]
	v_cndmask_b32_e64 v30, v30, 0, s[28:29]
	v_or_b32_e32 v59, v30, v0
.LBB6_8974:                             ;   in Loop: Header=BB6_8948 Depth=3
	s_or_b64 exec, exec, s[36:37]
                                        ; implicit-def: $vgpr0
.LBB6_8975:                             ;   in Loop: Header=BB6_8948 Depth=3
	s_andn2_saveexec_b64 s[28:29], s[34:35]
; %bb.8976:                             ;   in Loop: Header=BB6_8948 Depth=3
	v_or_b32_e32 v59, 0x7b, v0
; %bb.8977:                             ;   in Loop: Header=BB6_8948 Depth=3
	s_or_b64 exec, exec, s[28:29]
                                        ; implicit-def: $vgpr32
                                        ; implicit-def: $vgpr30_vgpr31
.LBB6_8978:                             ;   in Loop: Header=BB6_8948 Depth=3
	s_andn2_saveexec_b64 s[28:29], s[30:31]
	s_cbranch_execz .LBB6_8984
; %bb.8979:                             ;   in Loop: Header=BB6_8948 Depth=3
	v_cmp_ne_u64_e32 vcc, 0, v[30:31]
                                        ; implicit-def: $vgpr59
	s_and_saveexec_b64 s[30:31], vcc
	s_xor_b64 vcc, exec, s[30:31]
; %bb.8980:                             ;   in Loop: Header=BB6_8948 Depth=3
	v_or_b32_sdwa v59, v32, s83 dst_sel:DWORD dst_unused:UNUSED_PAD src0_sel:BYTE_3 src1_sel:DWORD
                                        ; implicit-def: $vgpr32
; %bb.8981:                             ;   in Loop: Header=BB6_8948 Depth=3
	s_andn2_saveexec_b64 s[30:31], vcc
; %bb.8982:                             ;   in Loop: Header=BB6_8948 Depth=3
	v_cmp_lt_i32_e32 vcc, -1, v32
	v_bfrev_b32_e32 v0, 0.5
	v_mov_b32_e32 v30, 0x7c
	v_cndmask_b32_e32 v59, v0, v30, vcc
; %bb.8983:                             ;   in Loop: Header=BB6_8948 Depth=3
	s_or_b64 exec, exec, s[30:31]
.LBB6_8984:                             ;   in Loop: Header=BB6_8948 Depth=3
	s_or_b64 exec, exec, s[28:29]
	v_lshrrev_b16_e32 v30, 8, v48
	v_cmp_ne_u16_e32 vcc, 0, v30
	v_mov_b32_e32 v0, 0
	v_mov_b32_e32 v32, 0
	s_and_saveexec_b64 s[28:29], vcc
	s_cbranch_execz .LBB6_8992
; %bb.8985:                             ;   in Loop: Header=BB6_8948 Depth=3
	v_cmp_ne_u16_e32 vcc, s44, v30
	v_bfrev_b32_e32 v32, 1
	s_and_saveexec_b64 s[30:31], vcc
	s_cbranch_execz .LBB6_8991
; %bb.8986:                             ;   in Loop: Header=BB6_8948 Depth=3
	v_and_b32_e32 v31, 0x7c, v30
	v_and_b32_e32 v33, 3, v30
	v_cmp_ne_u32_e32 vcc, s81, v31
                                        ; implicit-def: $vgpr32
	s_and_saveexec_b64 s[34:35], vcc
	s_xor_b64 s[34:35], exec, s[34:35]
	s_cbranch_execz .LBB6_8988
; %bb.8987:                             ;   in Loop: Header=BB6_8948 Depth=3
	v_ffbh_u32_e32 v35, v33
	v_min_u32_e32 v35, 32, v35
	v_mov_b32_e32 v31, v34
	v_subrev_u32_e32 v54, 29, v35
	v_bfe_u32 v32, v30, 2, 5
	v_lshlrev_b64 v[30:31], v54, v[30:31]
	v_sub_u32_e32 v31, 30, v35
	v_cmp_eq_u32_e32 vcc, 0, v32
	v_cndmask_b32_e32 v31, v32, v31, vcc
	v_lshlrev_b32_e32 v32, 16, v48
	v_and_b32_e32 v30, 3, v30
	v_and_b32_e32 v32, 0x80000000, v32
	v_cndmask_b32_e32 v30, v33, v30, vcc
	v_lshl_add_u32 v31, v31, 23, v32
	v_lshl_or_b32 v30, v30, 21, v31
	v_add_u32_e32 v32, 0x38000000, v30
                                        ; implicit-def: $vgpr33
.LBB6_8988:                             ;   in Loop: Header=BB6_8948 Depth=3
	s_andn2_saveexec_b64 s[34:35], s[34:35]
; %bb.8989:                             ;   in Loop: Header=BB6_8948 Depth=3
	v_cmp_lt_i16_e32 vcc, -1, v48
	v_mov_b32_e32 v30, 0xff800000
	v_mov_b32_e32 v31, 0x7f800000
	v_cndmask_b32_e32 v30, v30, v31, vcc
	v_cmp_eq_u32_e32 vcc, 0, v33
	v_mov_b32_e32 v31, 0x7f800001
	v_cndmask_b32_e32 v32, v31, v30, vcc
; %bb.8990:                             ;   in Loop: Header=BB6_8948 Depth=3
	s_or_b64 exec, exec, s[34:35]
.LBB6_8991:                             ;   in Loop: Header=BB6_8948 Depth=3
	s_or_b64 exec, exec, s[30:31]
.LBB6_8992:                             ;   in Loop: Header=BB6_8948 Depth=3
	s_or_b64 exec, exec, s[28:29]
	v_lshrrev_b16_e32 v30, 8, v36
	v_cmp_ne_u16_e32 vcc, 0, v30
	s_and_saveexec_b64 s[28:29], vcc
	s_cbranch_execz .LBB6_9000
; %bb.8993:                             ;   in Loop: Header=BB6_8948 Depth=3
	v_cmp_ne_u16_e32 vcc, s44, v30
	v_bfrev_b32_e32 v0, 1
	s_and_saveexec_b64 s[30:31], vcc
	s_cbranch_execz .LBB6_8999
; %bb.8994:                             ;   in Loop: Header=BB6_8948 Depth=3
	v_and_b32_e32 v0, 0x7c, v30
	v_and_b32_e32 v33, 3, v30
	v_cmp_ne_u32_e32 vcc, s81, v0
                                        ; implicit-def: $vgpr0
	s_and_saveexec_b64 s[34:35], vcc
	s_xor_b64 s[34:35], exec, s[34:35]
	s_cbranch_execz .LBB6_8996
; %bb.8995:                             ;   in Loop: Header=BB6_8948 Depth=3
	v_ffbh_u32_e32 v35, v33
	v_min_u32_e32 v35, 32, v35
	v_mov_b32_e32 v31, v34
	v_subrev_u32_e32 v54, 29, v35
	v_bfe_u32 v0, v30, 2, 5
	v_lshlrev_b64 v[30:31], v54, v[30:31]
	v_sub_u32_e32 v31, 30, v35
	v_cmp_eq_u32_e32 vcc, 0, v0
	v_cndmask_b32_e32 v0, v0, v31, vcc
	v_lshlrev_b32_e32 v31, 16, v36
	v_and_b32_e32 v30, 3, v30
	v_and_b32_e32 v31, 0x80000000, v31
	v_cndmask_b32_e32 v30, v33, v30, vcc
	v_lshl_add_u32 v0, v0, 23, v31
	v_lshl_or_b32 v0, v30, 21, v0
	v_add_u32_e32 v0, 0x38000000, v0
                                        ; implicit-def: $vgpr33
.LBB6_8996:                             ;   in Loop: Header=BB6_8948 Depth=3
	s_andn2_saveexec_b64 s[34:35], s[34:35]
; %bb.8997:                             ;   in Loop: Header=BB6_8948 Depth=3
	v_cmp_lt_i16_e32 vcc, -1, v36
	v_mov_b32_e32 v0, 0xff800000
	v_mov_b32_e32 v30, 0x7f800000
	v_cndmask_b32_e32 v0, v0, v30, vcc
	v_cmp_eq_u32_e32 vcc, 0, v33
	v_mov_b32_e32 v30, 0x7f800001
	v_cndmask_b32_e32 v0, v30, v0, vcc
; %bb.8998:                             ;   in Loop: Header=BB6_8948 Depth=3
	s_or_b64 exec, exec, s[34:35]
.LBB6_8999:                             ;   in Loop: Header=BB6_8948 Depth=3
	s_or_b64 exec, exec, s[30:31]
.LBB6_9000:                             ;   in Loop: Header=BB6_8948 Depth=3
	s_or_b64 exec, exec, s[28:29]
	v_mul_f32_e32 v32, v32, v0
	v_and_b32_e32 v54, 0x7f800000, v32
	v_mov_b32_e32 v55, v34
	v_cmp_ne_u64_e32 vcc, s[76:77], v[54:55]
	v_and_b32_e32 v30, 0x7fffff, v32
	v_mov_b32_e32 v31, v34
                                        ; implicit-def: $vgpr0
                                        ; kill: killed $vgpr0
	s_and_saveexec_b64 s[28:29], vcc
	s_xor_b64 s[30:31], exec, s[28:29]
	s_cbranch_execz .LBB6_9014
; %bb.9001:                             ;   in Loop: Header=BB6_8948 Depth=3
	v_and_b32_e32 v54, 0x7fffffff, v32
	v_mov_b32_e32 v55, v34
	v_cmp_gt_u64_e32 vcc, s[78:79], v[54:55]
	v_and_b32_sdwa v0, v32, s44 dst_sel:DWORD dst_unused:UNUSED_PAD src0_sel:BYTE_3 src1_sel:DWORD
                                        ; implicit-def: $vgpr33
                                        ; kill: killed $vgpr33
	s_and_saveexec_b64 s[28:29], vcc
	s_xor_b64 s[34:35], exec, s[28:29]
	s_cbranch_execz .LBB6_9011
; %bb.9002:                             ;   in Loop: Header=BB6_8948 Depth=3
	v_mov_b32_e32 v33, 0
	v_cmp_ne_u32_e32 vcc, 0, v32
	buffer_store_dword v33, off, s[0:3], s33 offset:92 ; 4-byte Folded Spill
	s_and_saveexec_b64 s[36:37], vcc
	s_cbranch_execz .LBB6_9010
; %bb.9003:                             ;   in Loop: Header=BB6_8948 Depth=3
	v_bfe_u32 v33, v32, 23, 8
	v_cmp_gt_u32_e64 s[28:29], s45, v33
	v_sub_u32_e32 v32, 0x71, v33
	v_cmp_eq_u32_e32 vcc, 0, v33
	v_cndmask_b32_e64 v32, 0, v32, s[28:29]
	v_mov_b32_e32 v35, 0x70
	v_cndmask_b32_e32 v35, v32, v35, vcc
	v_or_b32_e32 v54, 0x800000, v30
	v_add_u32_e32 v32, 21, v35
	v_cndmask_b32_e32 v30, v54, v30, vcc
	v_lshlrev_b64 v[54:55], v32, -1
	v_add_u32_e32 v32, 20, v35
	v_bfi_b32 v54, v54, 0, v30
	v_lshlrev_b64 v[40:41], v32, 1
	v_lshrrev_b64 v[30:31], v35, v[30:31]
	v_bfi_b32 v55, v55, 0, 0
	v_cmp_eq_u64_e64 s[28:29], v[54:55], v[40:41]
	v_mov_b32_e32 v32, v31
	v_mov_b32_e32 v31, v30
	s_and_saveexec_b64 s[38:39], s[28:29]
; %bb.9004:                             ;   in Loop: Header=BB6_8948 Depth=3
	v_bfe_u32 v31, v30, 21, 1
	v_add_co_u32_e64 v31, s[28:29], v30, v31
	v_add_co_u32_e64 v31, s[28:29], -1, v31
; %bb.9005:                             ;   in Loop: Header=BB6_8948 Depth=3
	s_or_b64 exec, exec, s[38:39]
	v_add_u32_e32 v32, 0xffffff81, v33
	v_mov_b32_e32 v33, 0xffffff82
	v_cndmask_b32_e32 v32, v32, v33, vcc
	v_lshrrev_b32_e32 v33, 23, v30
	v_add3_u32 v35, v35, v32, v33
	v_add_u32_e32 v33, 14, v35
	v_and_b32_e32 v31, 0x1fffff, v31
	v_add_u32_e32 v30, v31, v30
	v_mov_b32_e32 v31, v34
	v_cmp_ne_u32_e32 vcc, 0, v33
                                        ; implicit-def: $vgpr32
	s_and_saveexec_b64 s[28:29], vcc
	s_xor_b64 s[28:29], exec, s[28:29]
; %bb.9006:                             ;   in Loop: Header=BB6_8948 Depth=3
	v_cmp_lt_u64_e32 vcc, s[88:89], v[30:31]
	v_add_u32_e32 v32, 15, v35
	v_cndmask_b32_e32 v32, v33, v32, vcc
	v_cndmask_b32_e64 v33, 0, 1, vcc
	v_lshrrev_b64 v[30:31], v33, v[30:31]
; %bb.9007:                             ;   in Loop: Header=BB6_8948 Depth=3
	s_andn2_saveexec_b64 s[28:29], s[28:29]
; %bb.9008:                             ;   in Loop: Header=BB6_8948 Depth=3
	v_bfe_u32 v32, v30, 23, 1
; %bb.9009:                             ;   in Loop: Header=BB6_8948 Depth=3
	s_or_b64 exec, exec, s[28:29]
	v_lshrrev_b64 v[30:31], 21, v[30:31]
	v_cmp_gt_i32_e32 vcc, 32, v32
	v_cndmask_b32_e32 v31, 0, v31, vcc
	v_cndmask_b32_e32 v30, 3, v30, vcc
	v_cmp_eq_u64_e64 s[28:29], 0, v[30:31]
	v_min_i32_e32 v31, 31, v32
	v_lshlrev_b32_e32 v31, 2, v31
	v_cmp_eq_u32_e32 vcc, 0, v32
	v_and_b32_e32 v31, 0xfc, v31
	v_and_or_b32 v30, v30, 3, v31
	s_and_b64 s[28:29], vcc, s[28:29]
	v_cndmask_b32_e64 v30, v30, 0, s[28:29]
	v_or_b32_e32 v0, v30, v0
	buffer_store_dword v0, off, s[0:3], s33 offset:92 ; 4-byte Folded Spill
.LBB6_9010:                             ;   in Loop: Header=BB6_8948 Depth=3
	s_or_b64 exec, exec, s[36:37]
                                        ; implicit-def: $vgpr0
.LBB6_9011:                             ;   in Loop: Header=BB6_8948 Depth=3
	s_andn2_saveexec_b64 s[28:29], s[34:35]
	s_cbranch_execz .LBB6_9013
; %bb.9012:                             ;   in Loop: Header=BB6_8948 Depth=3
	v_or_b32_e32 v0, 0x7b, v0
	buffer_store_dword v0, off, s[0:3], s33 offset:92 ; 4-byte Folded Spill
.LBB6_9013:                             ;   in Loop: Header=BB6_8948 Depth=3
	s_or_b64 exec, exec, s[28:29]
                                        ; implicit-def: $vgpr32
                                        ; implicit-def: $vgpr30_vgpr31
.LBB6_9014:                             ;   in Loop: Header=BB6_8948 Depth=3
	s_andn2_saveexec_b64 s[28:29], s[30:31]
	s_cbranch_execz .LBB6_9020
; %bb.9015:                             ;   in Loop: Header=BB6_8948 Depth=3
	v_cmp_ne_u64_e32 vcc, 0, v[30:31]
                                        ; implicit-def: $vgpr0
                                        ; kill: killed $vgpr0
	s_and_saveexec_b64 s[30:31], vcc
	s_xor_b64 vcc, exec, s[30:31]
	s_cbranch_execz .LBB6_9017
; %bb.9016:                             ;   in Loop: Header=BB6_8948 Depth=3
	v_or_b32_sdwa v0, v32, s83 dst_sel:DWORD dst_unused:UNUSED_PAD src0_sel:BYTE_3 src1_sel:DWORD
	buffer_store_dword v0, off, s[0:3], s33 offset:92 ; 4-byte Folded Spill
                                        ; implicit-def: $vgpr32
.LBB6_9017:                             ;   in Loop: Header=BB6_8948 Depth=3
	s_andn2_saveexec_b64 s[30:31], vcc
	s_cbranch_execz .LBB6_9019
; %bb.9018:                             ;   in Loop: Header=BB6_8948 Depth=3
	v_cmp_lt_i32_e32 vcc, -1, v32
	v_bfrev_b32_e32 v0, 0.5
	v_mov_b32_e32 v30, 0x7c
	v_cndmask_b32_e32 v0, v0, v30, vcc
	buffer_store_dword v0, off, s[0:3], s33 offset:92 ; 4-byte Folded Spill
.LBB6_9019:                             ;   in Loop: Header=BB6_8948 Depth=3
	s_or_b64 exec, exec, s[30:31]
.LBB6_9020:                             ;   in Loop: Header=BB6_8948 Depth=3
	s_or_b64 exec, exec, s[28:29]
	v_lshrrev_b32_e32 v0, 16, v48
	v_cmp_ne_u16_sdwa vcc, v0, v34 src0_sel:BYTE_0 src1_sel:DWORD
	v_mov_b32_e32 v30, 0
	v_mov_b32_e32 v31, 0
	s_and_saveexec_b64 s[28:29], vcc
	s_cbranch_execz .LBB6_9028
; %bb.9021:                             ;   in Loop: Header=BB6_8948 Depth=3
	v_cmp_ne_u16_sdwa vcc, v0, s44 src0_sel:BYTE_0 src1_sel:DWORD
	v_bfrev_b32_e32 v31, 1
	s_and_saveexec_b64 s[30:31], vcc
	s_cbranch_execz .LBB6_9027
; %bb.9022:                             ;   in Loop: Header=BB6_8948 Depth=3
	v_and_b32_e32 v31, 0x7c0000, v48
	v_bfe_u32 v32, v48, 16, 2
	v_cmp_ne_u32_e32 vcc, s9, v31
                                        ; implicit-def: $vgpr31
	s_and_saveexec_b64 s[34:35], vcc
	s_xor_b64 s[34:35], exec, s[34:35]
	s_cbranch_execz .LBB6_9024
; %bb.9023:                             ;   in Loop: Header=BB6_8948 Depth=3
	v_ffbh_u32_e32 v33, v32
	v_min_u32_e32 v33, 32, v33
	v_subrev_u32_e32 v35, 29, v33
	v_lshlrev_b64 v[54:55], v35, v[0:1]
	v_bfe_u32 v31, v48, 18, 5
	v_sub_u32_e32 v0, 30, v33
	v_and_b32_e32 v33, 3, v54
	v_cmp_eq_u32_e32 vcc, 0, v31
	v_cndmask_b32_e32 v0, v31, v0, vcc
	v_cndmask_b32_e32 v31, v32, v33, vcc
	v_lshlrev_b32_e32 v32, 8, v48
	v_and_b32_e32 v32, 0x80000000, v32
	v_lshl_add_u32 v0, v0, 23, v32
	v_lshl_or_b32 v0, v31, 21, v0
	v_add_u32_e32 v31, 0x38000000, v0
                                        ; implicit-def: $vgpr32
                                        ; implicit-def: $vgpr0
.LBB6_9024:                             ;   in Loop: Header=BB6_8948 Depth=3
	s_andn2_saveexec_b64 s[34:35], s[34:35]
; %bb.9025:                             ;   in Loop: Header=BB6_8948 Depth=3
	v_mov_b32_e32 v31, -1
	v_cmp_gt_i16_sdwa vcc, sext(v0), v31 src0_sel:BYTE_0 src1_sel:DWORD
	v_mov_b32_e32 v0, 0xff800000
	v_mov_b32_e32 v31, 0x7f800000
	v_cndmask_b32_e32 v0, v0, v31, vcc
	v_cmp_eq_u32_e32 vcc, 0, v32
	v_mov_b32_e32 v31, 0x7f800001
	v_cndmask_b32_e32 v31, v31, v0, vcc
; %bb.9026:                             ;   in Loop: Header=BB6_8948 Depth=3
	s_or_b64 exec, exec, s[34:35]
.LBB6_9027:                             ;   in Loop: Header=BB6_8948 Depth=3
	s_or_b64 exec, exec, s[30:31]
.LBB6_9028:                             ;   in Loop: Header=BB6_8948 Depth=3
	s_or_b64 exec, exec, s[28:29]
	v_lshrrev_b32_e32 v0, 16, v36
	v_cmp_ne_u16_sdwa vcc, v0, v34 src0_sel:BYTE_0 src1_sel:DWORD
	s_and_saveexec_b64 s[28:29], vcc
	s_cbranch_execz .LBB6_9036
; %bb.9029:                             ;   in Loop: Header=BB6_8948 Depth=3
	v_cmp_ne_u16_sdwa vcc, v0, s44 src0_sel:BYTE_0 src1_sel:DWORD
	v_bfrev_b32_e32 v30, 1
	s_and_saveexec_b64 s[30:31], vcc
	s_cbranch_execz .LBB6_9035
; %bb.9030:                             ;   in Loop: Header=BB6_8948 Depth=3
	v_and_b32_e32 v30, 0x7c0000, v36
	v_bfe_u32 v32, v36, 16, 2
	v_cmp_ne_u32_e32 vcc, s9, v30
                                        ; implicit-def: $vgpr30
	s_and_saveexec_b64 s[34:35], vcc
	s_xor_b64 s[34:35], exec, s[34:35]
	s_cbranch_execz .LBB6_9032
; %bb.9031:                             ;   in Loop: Header=BB6_8948 Depth=3
	v_ffbh_u32_e32 v33, v32
	v_min_u32_e32 v33, 32, v33
	v_subrev_u32_e32 v35, 29, v33
	v_lshlrev_b64 v[54:55], v35, v[0:1]
	v_bfe_u32 v30, v36, 18, 5
	v_sub_u32_e32 v0, 30, v33
	v_and_b32_e32 v33, 3, v54
	v_cmp_eq_u32_e32 vcc, 0, v30
	v_cndmask_b32_e32 v0, v30, v0, vcc
	v_cndmask_b32_e32 v30, v32, v33, vcc
	v_lshlrev_b32_e32 v32, 8, v36
	v_and_b32_e32 v32, 0x80000000, v32
	v_lshl_add_u32 v0, v0, 23, v32
	v_lshl_or_b32 v0, v30, 21, v0
	v_add_u32_e32 v30, 0x38000000, v0
                                        ; implicit-def: $vgpr32
                                        ; implicit-def: $vgpr0
.LBB6_9032:                             ;   in Loop: Header=BB6_8948 Depth=3
	s_andn2_saveexec_b64 s[34:35], s[34:35]
; %bb.9033:                             ;   in Loop: Header=BB6_8948 Depth=3
	v_mov_b32_e32 v30, -1
	v_cmp_gt_i16_sdwa vcc, sext(v0), v30 src0_sel:BYTE_0 src1_sel:DWORD
	v_mov_b32_e32 v0, 0xff800000
	v_mov_b32_e32 v30, 0x7f800000
	v_cndmask_b32_e32 v0, v0, v30, vcc
	v_cmp_eq_u32_e32 vcc, 0, v32
	v_mov_b32_e32 v30, 0x7f800001
	v_cndmask_b32_e32 v30, v30, v0, vcc
; %bb.9034:                             ;   in Loop: Header=BB6_8948 Depth=3
	s_or_b64 exec, exec, s[34:35]
.LBB6_9035:                             ;   in Loop: Header=BB6_8948 Depth=3
	s_or_b64 exec, exec, s[30:31]
.LBB6_9036:                             ;   in Loop: Header=BB6_8948 Depth=3
	s_or_b64 exec, exec, s[28:29]
	v_mul_f32_e32 v32, v31, v30
	v_and_b32_e32 v54, 0x7f800000, v32
	v_mov_b32_e32 v55, v34
	v_cmp_ne_u64_e32 vcc, s[76:77], v[54:55]
	v_and_b32_e32 v30, 0x7fffff, v32
	v_mov_b32_e32 v31, v34
                                        ; implicit-def: $vgpr0
                                        ; kill: killed $vgpr0
	s_and_saveexec_b64 s[28:29], vcc
	s_xor_b64 s[30:31], exec, s[28:29]
	s_cbranch_execz .LBB6_9050
; %bb.9037:                             ;   in Loop: Header=BB6_8948 Depth=3
	v_and_b32_e32 v54, 0x7fffffff, v32
	v_mov_b32_e32 v55, v34
	v_cmp_gt_u64_e32 vcc, s[78:79], v[54:55]
	v_and_b32_sdwa v0, v32, s44 dst_sel:DWORD dst_unused:UNUSED_PAD src0_sel:BYTE_3 src1_sel:DWORD
                                        ; implicit-def: $vgpr33
                                        ; kill: killed $vgpr33
	s_and_saveexec_b64 s[28:29], vcc
	s_xor_b64 s[34:35], exec, s[28:29]
	s_cbranch_execz .LBB6_9047
; %bb.9038:                             ;   in Loop: Header=BB6_8948 Depth=3
	v_mov_b32_e32 v33, 0
	v_cmp_ne_u32_e32 vcc, 0, v32
	buffer_store_dword v33, off, s[0:3], s33 offset:104 ; 4-byte Folded Spill
	s_and_saveexec_b64 s[36:37], vcc
	s_cbranch_execz .LBB6_9046
; %bb.9039:                             ;   in Loop: Header=BB6_8948 Depth=3
	v_bfe_u32 v33, v32, 23, 8
	v_cmp_gt_u32_e64 s[28:29], s45, v33
	v_sub_u32_e32 v32, 0x71, v33
	v_cmp_eq_u32_e32 vcc, 0, v33
	v_cndmask_b32_e64 v32, 0, v32, s[28:29]
	v_mov_b32_e32 v35, 0x70
	v_cndmask_b32_e32 v35, v32, v35, vcc
	v_or_b32_e32 v54, 0x800000, v30
	v_add_u32_e32 v32, 21, v35
	v_cndmask_b32_e32 v30, v54, v30, vcc
	v_lshlrev_b64 v[54:55], v32, -1
	v_add_u32_e32 v32, 20, v35
	v_bfi_b32 v54, v54, 0, v30
	v_lshlrev_b64 v[40:41], v32, 1
	v_lshrrev_b64 v[30:31], v35, v[30:31]
	v_bfi_b32 v55, v55, 0, 0
	v_cmp_eq_u64_e64 s[28:29], v[54:55], v[40:41]
	v_mov_b32_e32 v32, v31
	v_mov_b32_e32 v31, v30
	s_and_saveexec_b64 s[38:39], s[28:29]
; %bb.9040:                             ;   in Loop: Header=BB6_8948 Depth=3
	v_bfe_u32 v31, v30, 21, 1
	v_add_co_u32_e64 v31, s[28:29], v30, v31
	v_add_co_u32_e64 v31, s[28:29], -1, v31
; %bb.9041:                             ;   in Loop: Header=BB6_8948 Depth=3
	s_or_b64 exec, exec, s[38:39]
	v_add_u32_e32 v32, 0xffffff81, v33
	v_mov_b32_e32 v33, 0xffffff82
	v_cndmask_b32_e32 v32, v32, v33, vcc
	v_lshrrev_b32_e32 v33, 23, v30
	v_add3_u32 v35, v35, v32, v33
	v_add_u32_e32 v33, 14, v35
	v_and_b32_e32 v31, 0x1fffff, v31
	v_add_u32_e32 v30, v31, v30
	v_mov_b32_e32 v31, v34
	v_cmp_ne_u32_e32 vcc, 0, v33
                                        ; implicit-def: $vgpr32
	s_and_saveexec_b64 s[28:29], vcc
	s_xor_b64 s[28:29], exec, s[28:29]
; %bb.9042:                             ;   in Loop: Header=BB6_8948 Depth=3
	v_cmp_lt_u64_e32 vcc, s[88:89], v[30:31]
	v_add_u32_e32 v32, 15, v35
	v_cndmask_b32_e32 v32, v33, v32, vcc
	v_cndmask_b32_e64 v33, 0, 1, vcc
	v_lshrrev_b64 v[30:31], v33, v[30:31]
; %bb.9043:                             ;   in Loop: Header=BB6_8948 Depth=3
	s_andn2_saveexec_b64 s[28:29], s[28:29]
; %bb.9044:                             ;   in Loop: Header=BB6_8948 Depth=3
	v_bfe_u32 v32, v30, 23, 1
; %bb.9045:                             ;   in Loop: Header=BB6_8948 Depth=3
	s_or_b64 exec, exec, s[28:29]
	v_lshrrev_b64 v[30:31], 21, v[30:31]
	v_cmp_gt_i32_e32 vcc, 32, v32
	v_cndmask_b32_e32 v31, 0, v31, vcc
	v_cndmask_b32_e32 v30, 3, v30, vcc
	v_cmp_eq_u64_e64 s[28:29], 0, v[30:31]
	v_min_i32_e32 v31, 31, v32
	v_lshlrev_b32_e32 v31, 2, v31
	v_cmp_eq_u32_e32 vcc, 0, v32
	v_and_b32_e32 v31, 0xfc, v31
	v_and_or_b32 v30, v30, 3, v31
	s_and_b64 s[28:29], vcc, s[28:29]
	v_cndmask_b32_e64 v30, v30, 0, s[28:29]
	v_or_b32_e32 v0, v30, v0
	buffer_store_dword v0, off, s[0:3], s33 offset:104 ; 4-byte Folded Spill
.LBB6_9046:                             ;   in Loop: Header=BB6_8948 Depth=3
	s_or_b64 exec, exec, s[36:37]
                                        ; implicit-def: $vgpr0
.LBB6_9047:                             ;   in Loop: Header=BB6_8948 Depth=3
	s_andn2_saveexec_b64 s[28:29], s[34:35]
	s_cbranch_execz .LBB6_9049
; %bb.9048:                             ;   in Loop: Header=BB6_8948 Depth=3
	v_or_b32_e32 v0, 0x7b, v0
	buffer_store_dword v0, off, s[0:3], s33 offset:104 ; 4-byte Folded Spill
.LBB6_9049:                             ;   in Loop: Header=BB6_8948 Depth=3
	s_or_b64 exec, exec, s[28:29]
                                        ; implicit-def: $vgpr32
                                        ; implicit-def: $vgpr30_vgpr31
.LBB6_9050:                             ;   in Loop: Header=BB6_8948 Depth=3
	s_andn2_saveexec_b64 s[28:29], s[30:31]
	s_cbranch_execz .LBB6_9056
; %bb.9051:                             ;   in Loop: Header=BB6_8948 Depth=3
	v_cmp_ne_u64_e32 vcc, 0, v[30:31]
                                        ; implicit-def: $vgpr0
                                        ; kill: killed $vgpr0
	s_and_saveexec_b64 s[30:31], vcc
	s_xor_b64 vcc, exec, s[30:31]
	s_cbranch_execz .LBB6_9053
; %bb.9052:                             ;   in Loop: Header=BB6_8948 Depth=3
	v_or_b32_sdwa v0, v32, s83 dst_sel:DWORD dst_unused:UNUSED_PAD src0_sel:BYTE_3 src1_sel:DWORD
	buffer_store_dword v0, off, s[0:3], s33 offset:104 ; 4-byte Folded Spill
                                        ; implicit-def: $vgpr32
.LBB6_9053:                             ;   in Loop: Header=BB6_8948 Depth=3
	s_andn2_saveexec_b64 s[30:31], vcc
	s_cbranch_execz .LBB6_9055
; %bb.9054:                             ;   in Loop: Header=BB6_8948 Depth=3
	v_cmp_lt_i32_e32 vcc, -1, v32
	v_bfrev_b32_e32 v0, 0.5
	v_mov_b32_e32 v30, 0x7c
	v_cndmask_b32_e32 v0, v0, v30, vcc
	buffer_store_dword v0, off, s[0:3], s33 offset:104 ; 4-byte Folded Spill
.LBB6_9055:                             ;   in Loop: Header=BB6_8948 Depth=3
	s_or_b64 exec, exec, s[30:31]
.LBB6_9056:                             ;   in Loop: Header=BB6_8948 Depth=3
	s_or_b64 exec, exec, s[28:29]
	v_cmp_lt_u32_e32 vcc, s57, v48
	v_mov_b32_e32 v30, 0
	v_mov_b32_e32 v31, 0
	s_and_saveexec_b64 s[28:29], vcc
	s_cbranch_execz .LBB6_9064
; %bb.9057:                             ;   in Loop: Header=BB6_8948 Depth=3
	v_lshrrev_b32_e32 v0, 24, v48
	v_cmp_ne_u32_e32 vcc, s44, v0
	v_bfrev_b32_e32 v31, 1
	s_and_saveexec_b64 s[30:31], vcc
	s_cbranch_execz .LBB6_9063
; %bb.9058:                             ;   in Loop: Header=BB6_8948 Depth=3
	v_and_b32_e32 v31, 0x7c000000, v48
	v_bfe_u32 v32, v48, 24, 2
	v_cmp_ne_u32_e32 vcc, s8, v31
                                        ; implicit-def: $vgpr31
	s_and_saveexec_b64 s[34:35], vcc
	s_xor_b64 s[34:35], exec, s[34:35]
	s_cbranch_execz .LBB6_9060
; %bb.9059:                             ;   in Loop: Header=BB6_8948 Depth=3
	v_ffbh_u32_e32 v33, v32
	v_min_u32_e32 v33, 32, v33
	v_subrev_u32_e32 v35, 29, v33
	v_lshlrev_b64 v[54:55], v35, v[0:1]
	v_bfe_u32 v31, v48, 26, 5
	v_sub_u32_e32 v0, 30, v33
	v_and_b32_e32 v33, 3, v54
	v_cmp_eq_u32_e32 vcc, 0, v31
	v_cndmask_b32_e32 v0, v31, v0, vcc
	v_cndmask_b32_e32 v31, v32, v33, vcc
	v_and_b32_e32 v32, 0x80000000, v48
	v_lshl_add_u32 v0, v0, 23, v32
	v_lshl_or_b32 v0, v31, 21, v0
	v_add_u32_e32 v31, 0x38000000, v0
                                        ; implicit-def: $vgpr32
.LBB6_9060:                             ;   in Loop: Header=BB6_8948 Depth=3
	s_andn2_saveexec_b64 s[34:35], s[34:35]
; %bb.9061:                             ;   in Loop: Header=BB6_8948 Depth=3
	v_cmp_lt_i32_e32 vcc, -1, v48
	v_mov_b32_e32 v0, 0xff800000
	v_mov_b32_e32 v31, 0x7f800000
	v_cndmask_b32_e32 v0, v0, v31, vcc
	v_cmp_eq_u32_e32 vcc, 0, v32
	v_mov_b32_e32 v31, 0x7f800001
	v_cndmask_b32_e32 v31, v31, v0, vcc
; %bb.9062:                             ;   in Loop: Header=BB6_8948 Depth=3
	s_or_b64 exec, exec, s[34:35]
.LBB6_9063:                             ;   in Loop: Header=BB6_8948 Depth=3
	s_or_b64 exec, exec, s[30:31]
.LBB6_9064:                             ;   in Loop: Header=BB6_8948 Depth=3
	s_or_b64 exec, exec, s[28:29]
	v_cmp_lt_u32_e32 vcc, s57, v36
	s_and_saveexec_b64 s[28:29], vcc
	s_cbranch_execz .LBB6_9072
; %bb.9065:                             ;   in Loop: Header=BB6_8948 Depth=3
	v_lshrrev_b32_e32 v0, 24, v36
	v_cmp_ne_u32_e32 vcc, s44, v0
	v_bfrev_b32_e32 v30, 1
	s_and_saveexec_b64 s[30:31], vcc
	s_cbranch_execz .LBB6_9071
; %bb.9066:                             ;   in Loop: Header=BB6_8948 Depth=3
	v_and_b32_e32 v30, 0x7c000000, v36
	v_bfe_u32 v32, v36, 24, 2
	v_cmp_ne_u32_e32 vcc, s8, v30
                                        ; implicit-def: $vgpr30
	s_and_saveexec_b64 s[34:35], vcc
	s_xor_b64 s[34:35], exec, s[34:35]
	s_cbranch_execz .LBB6_9068
; %bb.9067:                             ;   in Loop: Header=BB6_8948 Depth=3
	v_ffbh_u32_e32 v33, v32
	v_min_u32_e32 v33, 32, v33
	v_subrev_u32_e32 v35, 29, v33
	v_lshlrev_b64 v[54:55], v35, v[0:1]
	v_bfe_u32 v30, v36, 26, 5
	v_sub_u32_e32 v0, 30, v33
	v_and_b32_e32 v33, 3, v54
	v_cmp_eq_u32_e32 vcc, 0, v30
	v_cndmask_b32_e32 v0, v30, v0, vcc
	v_cndmask_b32_e32 v30, v32, v33, vcc
	v_and_b32_e32 v32, 0x80000000, v36
	v_lshl_add_u32 v0, v0, 23, v32
	v_lshl_or_b32 v0, v30, 21, v0
	v_add_u32_e32 v30, 0x38000000, v0
                                        ; implicit-def: $vgpr32
.LBB6_9068:                             ;   in Loop: Header=BB6_8948 Depth=3
	s_andn2_saveexec_b64 s[34:35], s[34:35]
; %bb.9069:                             ;   in Loop: Header=BB6_8948 Depth=3
	v_cmp_lt_i32_e32 vcc, -1, v36
	v_mov_b32_e32 v0, 0xff800000
	v_mov_b32_e32 v30, 0x7f800000
	v_cndmask_b32_e32 v0, v0, v30, vcc
	v_cmp_eq_u32_e32 vcc, 0, v32
	v_mov_b32_e32 v30, 0x7f800001
	v_cndmask_b32_e32 v30, v30, v0, vcc
; %bb.9070:                             ;   in Loop: Header=BB6_8948 Depth=3
	s_or_b64 exec, exec, s[34:35]
.LBB6_9071:                             ;   in Loop: Header=BB6_8948 Depth=3
	s_or_b64 exec, exec, s[30:31]
.LBB6_9072:                             ;   in Loop: Header=BB6_8948 Depth=3
	s_or_b64 exec, exec, s[28:29]
	v_mul_f32_e32 v32, v31, v30
	v_and_b32_e32 v54, 0x7f800000, v32
	v_mov_b32_e32 v55, v34
	v_cmp_ne_u64_e32 vcc, s[76:77], v[54:55]
	v_and_b32_e32 v30, 0x7fffff, v32
	v_mov_b32_e32 v31, v34
                                        ; implicit-def: $vgpr0
                                        ; kill: killed $vgpr0
	s_and_saveexec_b64 s[28:29], vcc
	s_xor_b64 s[30:31], exec, s[28:29]
	s_cbranch_execz .LBB6_9086
; %bb.9073:                             ;   in Loop: Header=BB6_8948 Depth=3
	v_and_b32_e32 v54, 0x7fffffff, v32
	v_mov_b32_e32 v55, v34
	v_cmp_gt_u64_e32 vcc, s[78:79], v[54:55]
	v_and_b32_sdwa v0, v32, s44 dst_sel:DWORD dst_unused:UNUSED_PAD src0_sel:BYTE_3 src1_sel:DWORD
                                        ; implicit-def: $vgpr33
                                        ; kill: killed $vgpr33
	s_and_saveexec_b64 s[28:29], vcc
	s_xor_b64 s[34:35], exec, s[28:29]
	s_cbranch_execz .LBB6_9083
; %bb.9074:                             ;   in Loop: Header=BB6_8948 Depth=3
	v_mov_b32_e32 v33, 0
	v_cmp_ne_u32_e32 vcc, 0, v32
	buffer_store_dword v33, off, s[0:3], s33 offset:112 ; 4-byte Folded Spill
	s_and_saveexec_b64 s[36:37], vcc
	s_cbranch_execz .LBB6_9082
; %bb.9075:                             ;   in Loop: Header=BB6_8948 Depth=3
	v_bfe_u32 v33, v32, 23, 8
	v_cmp_gt_u32_e64 s[28:29], s45, v33
	v_sub_u32_e32 v32, 0x71, v33
	v_cmp_eq_u32_e32 vcc, 0, v33
	v_cndmask_b32_e64 v32, 0, v32, s[28:29]
	v_mov_b32_e32 v35, 0x70
	v_cndmask_b32_e32 v35, v32, v35, vcc
	v_or_b32_e32 v54, 0x800000, v30
	v_add_u32_e32 v32, 21, v35
	v_cndmask_b32_e32 v30, v54, v30, vcc
	v_lshlrev_b64 v[54:55], v32, -1
	v_add_u32_e32 v32, 20, v35
	v_bfi_b32 v54, v54, 0, v30
	v_lshlrev_b64 v[40:41], v32, 1
	v_lshrrev_b64 v[30:31], v35, v[30:31]
	v_bfi_b32 v55, v55, 0, 0
	v_cmp_eq_u64_e64 s[28:29], v[54:55], v[40:41]
	v_mov_b32_e32 v32, v31
	v_mov_b32_e32 v31, v30
	s_and_saveexec_b64 s[38:39], s[28:29]
; %bb.9076:                             ;   in Loop: Header=BB6_8948 Depth=3
	v_bfe_u32 v31, v30, 21, 1
	v_add_co_u32_e64 v31, s[28:29], v30, v31
	v_add_co_u32_e64 v31, s[28:29], -1, v31
; %bb.9077:                             ;   in Loop: Header=BB6_8948 Depth=3
	s_or_b64 exec, exec, s[38:39]
	v_add_u32_e32 v32, 0xffffff81, v33
	v_mov_b32_e32 v33, 0xffffff82
	v_cndmask_b32_e32 v32, v32, v33, vcc
	v_lshrrev_b32_e32 v33, 23, v30
	v_add3_u32 v35, v35, v32, v33
	v_add_u32_e32 v33, 14, v35
	v_and_b32_e32 v31, 0x1fffff, v31
	v_add_u32_e32 v30, v31, v30
	v_mov_b32_e32 v31, v34
	v_cmp_ne_u32_e32 vcc, 0, v33
                                        ; implicit-def: $vgpr32
	s_and_saveexec_b64 s[28:29], vcc
	s_xor_b64 s[28:29], exec, s[28:29]
; %bb.9078:                             ;   in Loop: Header=BB6_8948 Depth=3
	v_cmp_lt_u64_e32 vcc, s[88:89], v[30:31]
	v_add_u32_e32 v32, 15, v35
	v_cndmask_b32_e32 v32, v33, v32, vcc
	v_cndmask_b32_e64 v33, 0, 1, vcc
	v_lshrrev_b64 v[30:31], v33, v[30:31]
; %bb.9079:                             ;   in Loop: Header=BB6_8948 Depth=3
	s_andn2_saveexec_b64 s[28:29], s[28:29]
; %bb.9080:                             ;   in Loop: Header=BB6_8948 Depth=3
	v_bfe_u32 v32, v30, 23, 1
; %bb.9081:                             ;   in Loop: Header=BB6_8948 Depth=3
	s_or_b64 exec, exec, s[28:29]
	v_lshrrev_b64 v[30:31], 21, v[30:31]
	v_cmp_gt_i32_e32 vcc, 32, v32
	v_cndmask_b32_e32 v31, 0, v31, vcc
	v_cndmask_b32_e32 v30, 3, v30, vcc
	v_cmp_eq_u64_e64 s[28:29], 0, v[30:31]
	v_min_i32_e32 v31, 31, v32
	v_lshlrev_b32_e32 v31, 2, v31
	v_cmp_eq_u32_e32 vcc, 0, v32
	v_and_b32_e32 v31, 0xfc, v31
	v_and_or_b32 v30, v30, 3, v31
	s_and_b64 s[28:29], vcc, s[28:29]
	v_cndmask_b32_e64 v30, v30, 0, s[28:29]
	v_or_b32_e32 v0, v30, v0
	buffer_store_dword v0, off, s[0:3], s33 offset:112 ; 4-byte Folded Spill
.LBB6_9082:                             ;   in Loop: Header=BB6_8948 Depth=3
	s_or_b64 exec, exec, s[36:37]
                                        ; implicit-def: $vgpr0
.LBB6_9083:                             ;   in Loop: Header=BB6_8948 Depth=3
	s_andn2_saveexec_b64 s[28:29], s[34:35]
	s_cbranch_execz .LBB6_9085
; %bb.9084:                             ;   in Loop: Header=BB6_8948 Depth=3
	v_or_b32_e32 v0, 0x7b, v0
	buffer_store_dword v0, off, s[0:3], s33 offset:112 ; 4-byte Folded Spill
.LBB6_9085:                             ;   in Loop: Header=BB6_8948 Depth=3
	s_or_b64 exec, exec, s[28:29]
                                        ; implicit-def: $vgpr32
                                        ; implicit-def: $vgpr30_vgpr31
.LBB6_9086:                             ;   in Loop: Header=BB6_8948 Depth=3
	s_andn2_saveexec_b64 s[28:29], s[30:31]
	s_cbranch_execz .LBB6_9092
; %bb.9087:                             ;   in Loop: Header=BB6_8948 Depth=3
	v_cmp_ne_u64_e32 vcc, 0, v[30:31]
                                        ; implicit-def: $vgpr0
                                        ; kill: killed $vgpr0
	s_and_saveexec_b64 s[30:31], vcc
	s_xor_b64 vcc, exec, s[30:31]
	s_cbranch_execz .LBB6_9089
; %bb.9088:                             ;   in Loop: Header=BB6_8948 Depth=3
	v_or_b32_sdwa v0, v32, s83 dst_sel:DWORD dst_unused:UNUSED_PAD src0_sel:BYTE_3 src1_sel:DWORD
	buffer_store_dword v0, off, s[0:3], s33 offset:112 ; 4-byte Folded Spill
                                        ; implicit-def: $vgpr32
.LBB6_9089:                             ;   in Loop: Header=BB6_8948 Depth=3
	s_andn2_saveexec_b64 s[30:31], vcc
	s_cbranch_execz .LBB6_9091
; %bb.9090:                             ;   in Loop: Header=BB6_8948 Depth=3
	v_cmp_lt_i32_e32 vcc, -1, v32
	v_bfrev_b32_e32 v0, 0.5
	v_mov_b32_e32 v30, 0x7c
	v_cndmask_b32_e32 v0, v0, v30, vcc
	buffer_store_dword v0, off, s[0:3], s33 offset:112 ; 4-byte Folded Spill
.LBB6_9091:                             ;   in Loop: Header=BB6_8948 Depth=3
	s_or_b64 exec, exec, s[30:31]
.LBB6_9092:                             ;   in Loop: Header=BB6_8948 Depth=3
	s_or_b64 exec, exec, s[28:29]
	v_mov_b32_e32 v30, v49
	v_mov_b32_e32 v31, v34
	v_cmp_ne_u16_sdwa vcc, v49, v34 src0_sel:BYTE_0 src1_sel:DWORD
	v_mov_b32_e32 v32, 0
	v_mov_b32_e32 v0, 0
	s_and_saveexec_b64 s[28:29], vcc
	s_cbranch_execz .LBB6_9100
; %bb.9093:                             ;   in Loop: Header=BB6_8948 Depth=3
	v_cmp_ne_u16_sdwa vcc, v49, s44 src0_sel:BYTE_0 src1_sel:DWORD
	v_bfrev_b32_e32 v0, 1
	s_and_saveexec_b64 s[30:31], vcc
	s_cbranch_execz .LBB6_9099
; %bb.9094:                             ;   in Loop: Header=BB6_8948 Depth=3
	v_and_b32_e32 v0, 0x7c, v49
	v_and_b32_e32 v33, 3, v49
	v_cmp_ne_u32_e32 vcc, s81, v0
                                        ; implicit-def: $vgpr0
	s_and_saveexec_b64 s[34:35], vcc
	s_xor_b64 s[34:35], exec, s[34:35]
	s_cbranch_execz .LBB6_9096
; %bb.9095:                             ;   in Loop: Header=BB6_8948 Depth=3
	v_ffbh_u32_e32 v35, v33
	v_min_u32_e32 v35, 32, v35
	v_subrev_u32_e32 v54, 29, v35
	v_lshlrev_b64 v[54:55], v54, v[30:31]
	v_bfe_u32 v0, v49, 2, 5
	v_sub_u32_e32 v31, 30, v35
	v_and_b32_e32 v35, 3, v54
	v_cmp_eq_u32_e32 vcc, 0, v0
	v_cndmask_b32_e32 v0, v0, v31, vcc
	v_cndmask_b32_e32 v31, v33, v35, vcc
	v_lshlrev_b32_e32 v33, 24, v49
	v_and_b32_e32 v33, 0x80000000, v33
	v_lshl_add_u32 v0, v0, 23, v33
	v_lshl_or_b32 v0, v31, 21, v0
	v_add_u32_e32 v0, 0x38000000, v0
                                        ; implicit-def: $vgpr33
.LBB6_9096:                             ;   in Loop: Header=BB6_8948 Depth=3
	s_andn2_saveexec_b64 s[34:35], s[34:35]
; %bb.9097:                             ;   in Loop: Header=BB6_8948 Depth=3
	v_mov_b32_e32 v0, -1
	v_cmp_gt_i16_sdwa vcc, sext(v49), v0 src0_sel:BYTE_0 src1_sel:DWORD
	v_mov_b32_e32 v0, 0xff800000
	v_mov_b32_e32 v31, 0x7f800000
	v_cndmask_b32_e32 v0, v0, v31, vcc
	v_cmp_eq_u32_e32 vcc, 0, v33
	v_mov_b32_e32 v31, 0x7f800001
	v_cndmask_b32_e32 v0, v31, v0, vcc
; %bb.9098:                             ;   in Loop: Header=BB6_8948 Depth=3
	s_or_b64 exec, exec, s[34:35]
.LBB6_9099:                             ;   in Loop: Header=BB6_8948 Depth=3
	s_or_b64 exec, exec, s[30:31]
.LBB6_9100:                             ;   in Loop: Header=BB6_8948 Depth=3
	s_or_b64 exec, exec, s[28:29]
	v_cmp_ne_u16_sdwa vcc, v37, v34 src0_sel:BYTE_0 src1_sel:DWORD
	s_and_saveexec_b64 s[28:29], vcc
	s_cbranch_execz .LBB6_9108
; %bb.9101:                             ;   in Loop: Header=BB6_8948 Depth=3
	v_cmp_ne_u16_sdwa vcc, v37, s44 src0_sel:BYTE_0 src1_sel:DWORD
	v_bfrev_b32_e32 v32, 1
	s_and_saveexec_b64 s[30:31], vcc
	s_cbranch_execz .LBB6_9107
; %bb.9102:                             ;   in Loop: Header=BB6_8948 Depth=3
	v_and_b32_e32 v32, 0x7c, v37
	v_and_b32_e32 v31, 3, v37
	v_cmp_ne_u32_e32 vcc, s81, v32
                                        ; implicit-def: $vgpr32
	s_and_saveexec_b64 s[34:35], vcc
	s_xor_b64 s[34:35], exec, s[34:35]
	s_cbranch_execz .LBB6_9104
; %bb.9103:                             ;   in Loop: Header=BB6_8948 Depth=3
	v_ffbh_u32_e32 v54, v31
	v_min_u32_e32 v54, 32, v54
	v_mov_b32_e32 v32, v37
	v_mov_b32_e32 v33, v34
	v_subrev_u32_e32 v55, 29, v54
	v_lshlrev_b64 v[32:33], v55, v[32:33]
	v_bfe_u32 v35, v37, 2, 5
	v_and_b32_e32 v32, 3, v32
	v_cmp_eq_u32_e32 vcc, 0, v35
	v_sub_u32_e32 v33, 30, v54
	v_cndmask_b32_e32 v31, v31, v32, vcc
	v_lshlrev_b32_e32 v32, 24, v37
	v_cndmask_b32_e32 v33, v35, v33, vcc
	v_and_b32_e32 v32, 0x80000000, v32
	v_lshl_add_u32 v32, v33, 23, v32
	v_lshl_or_b32 v31, v31, 21, v32
	v_add_u32_e32 v32, 0x38000000, v31
                                        ; implicit-def: $vgpr31
.LBB6_9104:                             ;   in Loop: Header=BB6_8948 Depth=3
	s_andn2_saveexec_b64 s[34:35], s[34:35]
; %bb.9105:                             ;   in Loop: Header=BB6_8948 Depth=3
	v_mov_b32_e32 v32, -1
	v_cmp_gt_i16_sdwa vcc, sext(v37), v32 src0_sel:BYTE_0 src1_sel:DWORD
	v_mov_b32_e32 v32, 0xff800000
	v_mov_b32_e32 v33, 0x7f800000
	v_cndmask_b32_e32 v32, v32, v33, vcc
	v_cmp_eq_u32_e32 vcc, 0, v31
	v_mov_b32_e32 v31, 0x7f800001
	v_cndmask_b32_e32 v32, v31, v32, vcc
; %bb.9106:                             ;   in Loop: Header=BB6_8948 Depth=3
	s_or_b64 exec, exec, s[34:35]
.LBB6_9107:                             ;   in Loop: Header=BB6_8948 Depth=3
	s_or_b64 exec, exec, s[30:31]
.LBB6_9108:                             ;   in Loop: Header=BB6_8948 Depth=3
	s_or_b64 exec, exec, s[28:29]
	v_mul_f32_e32 v33, v0, v32
	v_and_b32_e32 v54, 0x7f800000, v33
	v_mov_b32_e32 v55, v34
	v_cmp_ne_u64_e32 vcc, s[76:77], v[54:55]
	v_and_b32_e32 v31, 0x7fffff, v33
	v_mov_b32_e32 v32, v34
                                        ; implicit-def: $vgpr0
                                        ; kill: killed $vgpr0
	s_and_saveexec_b64 s[28:29], vcc
	s_xor_b64 s[30:31], exec, s[28:29]
	s_cbranch_execz .LBB6_9122
; %bb.9109:                             ;   in Loop: Header=BB6_8948 Depth=3
	v_and_b32_e32 v54, 0x7fffffff, v33
	v_mov_b32_e32 v55, v34
	v_cmp_gt_u64_e32 vcc, s[78:79], v[54:55]
	v_and_b32_sdwa v0, v33, s44 dst_sel:DWORD dst_unused:UNUSED_PAD src0_sel:BYTE_3 src1_sel:DWORD
                                        ; implicit-def: $vgpr35
                                        ; kill: killed $vgpr35
	s_and_saveexec_b64 s[28:29], vcc
	s_xor_b64 s[34:35], exec, s[28:29]
	s_cbranch_execz .LBB6_9119
; %bb.9110:                             ;   in Loop: Header=BB6_8948 Depth=3
	v_mov_b32_e32 v35, 0
	v_cmp_ne_u32_e32 vcc, 0, v33
	buffer_store_dword v35, off, s[0:3], s33 offset:120 ; 4-byte Folded Spill
	s_and_saveexec_b64 s[36:37], vcc
	s_cbranch_execz .LBB6_9118
; %bb.9111:                             ;   in Loop: Header=BB6_8948 Depth=3
	v_bfe_u32 v35, v33, 23, 8
	v_cmp_gt_u32_e64 s[28:29], s45, v35
	v_sub_u32_e32 v33, 0x71, v35
	v_cmp_eq_u32_e32 vcc, 0, v35
	v_cndmask_b32_e64 v33, 0, v33, s[28:29]
	v_mov_b32_e32 v54, 0x70
	v_cndmask_b32_e32 v54, v33, v54, vcc
	v_add_u32_e32 v33, 21, v54
	v_or_b32_e32 v55, 0x800000, v31
	v_lshlrev_b64 v[40:41], v33, -1
	v_cndmask_b32_e32 v31, v55, v31, vcc
	v_add_u32_e32 v33, 20, v54
	v_bfi_b32 v40, v40, 0, v31
	v_lshlrev_b64 v[42:43], v33, 1
	v_lshrrev_b64 v[31:32], v54, v[31:32]
	v_bfi_b32 v41, v41, 0, 0
	v_cmp_eq_u64_e64 s[28:29], v[40:41], v[42:43]
	v_mov_b32_e32 v33, v32
	v_mov_b32_e32 v32, v31
	s_and_saveexec_b64 s[38:39], s[28:29]
; %bb.9112:                             ;   in Loop: Header=BB6_8948 Depth=3
	v_bfe_u32 v32, v31, 21, 1
	v_add_co_u32_e64 v32, s[28:29], v31, v32
	v_add_co_u32_e64 v32, s[28:29], -1, v32
; %bb.9113:                             ;   in Loop: Header=BB6_8948 Depth=3
	s_or_b64 exec, exec, s[38:39]
	v_add_u32_e32 v33, 0xffffff81, v35
	v_mov_b32_e32 v35, 0xffffff82
	v_cndmask_b32_e32 v33, v33, v35, vcc
	v_lshrrev_b32_e32 v35, 23, v31
	v_add3_u32 v54, v54, v33, v35
	v_add_u32_e32 v35, 14, v54
	v_and_b32_e32 v32, 0x1fffff, v32
	v_add_u32_e32 v31, v32, v31
	v_mov_b32_e32 v32, v34
	v_cmp_ne_u32_e32 vcc, 0, v35
                                        ; implicit-def: $vgpr33
	s_and_saveexec_b64 s[28:29], vcc
	s_xor_b64 s[28:29], exec, s[28:29]
; %bb.9114:                             ;   in Loop: Header=BB6_8948 Depth=3
	v_cmp_lt_u64_e32 vcc, s[88:89], v[31:32]
	v_add_u32_e32 v33, 15, v54
	v_cndmask_b32_e32 v33, v35, v33, vcc
	v_cndmask_b32_e64 v35, 0, 1, vcc
	v_lshrrev_b64 v[31:32], v35, v[31:32]
; %bb.9115:                             ;   in Loop: Header=BB6_8948 Depth=3
	s_andn2_saveexec_b64 s[28:29], s[28:29]
; %bb.9116:                             ;   in Loop: Header=BB6_8948 Depth=3
	v_bfe_u32 v33, v31, 23, 1
; %bb.9117:                             ;   in Loop: Header=BB6_8948 Depth=3
	s_or_b64 exec, exec, s[28:29]
	v_lshrrev_b64 v[31:32], 21, v[31:32]
	v_cmp_gt_i32_e32 vcc, 32, v33
	v_cndmask_b32_e32 v32, 0, v32, vcc
	v_cndmask_b32_e32 v31, 3, v31, vcc
	v_cmp_eq_u64_e64 s[28:29], 0, v[31:32]
	v_min_i32_e32 v32, 31, v33
	v_lshlrev_b32_e32 v32, 2, v32
	v_cmp_eq_u32_e32 vcc, 0, v33
	v_and_b32_e32 v32, 0xfc, v32
	v_and_or_b32 v31, v31, 3, v32
	s_and_b64 s[28:29], vcc, s[28:29]
	v_cndmask_b32_e64 v31, v31, 0, s[28:29]
	v_or_b32_e32 v0, v31, v0
	buffer_store_dword v0, off, s[0:3], s33 offset:120 ; 4-byte Folded Spill
.LBB6_9118:                             ;   in Loop: Header=BB6_8948 Depth=3
	s_or_b64 exec, exec, s[36:37]
                                        ; implicit-def: $vgpr0
.LBB6_9119:                             ;   in Loop: Header=BB6_8948 Depth=3
	s_andn2_saveexec_b64 s[28:29], s[34:35]
	s_cbranch_execz .LBB6_9121
; %bb.9120:                             ;   in Loop: Header=BB6_8948 Depth=3
	v_or_b32_e32 v0, 0x7b, v0
	buffer_store_dword v0, off, s[0:3], s33 offset:120 ; 4-byte Folded Spill
.LBB6_9121:                             ;   in Loop: Header=BB6_8948 Depth=3
	s_or_b64 exec, exec, s[28:29]
                                        ; implicit-def: $vgpr33
                                        ; implicit-def: $vgpr31_vgpr32
.LBB6_9122:                             ;   in Loop: Header=BB6_8948 Depth=3
	s_andn2_saveexec_b64 s[28:29], s[30:31]
	s_cbranch_execz .LBB6_9128
; %bb.9123:                             ;   in Loop: Header=BB6_8948 Depth=3
	v_cmp_ne_u64_e32 vcc, 0, v[31:32]
                                        ; implicit-def: $vgpr0
                                        ; kill: killed $vgpr0
	s_and_saveexec_b64 s[30:31], vcc
	s_xor_b64 vcc, exec, s[30:31]
	s_cbranch_execz .LBB6_9125
; %bb.9124:                             ;   in Loop: Header=BB6_8948 Depth=3
	v_or_b32_sdwa v0, v33, s83 dst_sel:DWORD dst_unused:UNUSED_PAD src0_sel:BYTE_3 src1_sel:DWORD
	buffer_store_dword v0, off, s[0:3], s33 offset:120 ; 4-byte Folded Spill
                                        ; implicit-def: $vgpr33
.LBB6_9125:                             ;   in Loop: Header=BB6_8948 Depth=3
	s_andn2_saveexec_b64 s[30:31], vcc
	s_cbranch_execz .LBB6_9127
; %bb.9126:                             ;   in Loop: Header=BB6_8948 Depth=3
	v_cmp_lt_i32_e32 vcc, -1, v33
	v_bfrev_b32_e32 v0, 0.5
	v_mov_b32_e32 v31, 0x7c
	v_cndmask_b32_e32 v0, v0, v31, vcc
	buffer_store_dword v0, off, s[0:3], s33 offset:120 ; 4-byte Folded Spill
.LBB6_9127:                             ;   in Loop: Header=BB6_8948 Depth=3
	s_or_b64 exec, exec, s[30:31]
.LBB6_9128:                             ;   in Loop: Header=BB6_8948 Depth=3
	s_or_b64 exec, exec, s[28:29]
	v_lshrrev_b16_e32 v31, 8, v30
	v_cmp_ne_u16_e32 vcc, 0, v31
	v_mov_b32_e32 v0, 0
	v_mov_b32_e32 v32, 0
	s_and_saveexec_b64 s[28:29], vcc
	s_cbranch_execz .LBB6_9136
; %bb.9129:                             ;   in Loop: Header=BB6_8948 Depth=3
	v_cmp_ne_u16_e32 vcc, s44, v31
	v_bfrev_b32_e32 v32, 1
	s_and_saveexec_b64 s[30:31], vcc
	s_cbranch_execz .LBB6_9135
; %bb.9130:                             ;   in Loop: Header=BB6_8948 Depth=3
	v_and_b32_e32 v32, 0x7c, v31
	v_and_b32_e32 v33, 3, v31
	v_cmp_ne_u32_e32 vcc, s81, v32
                                        ; implicit-def: $vgpr32
	s_and_saveexec_b64 s[34:35], vcc
	s_xor_b64 s[34:35], exec, s[34:35]
	s_cbranch_execz .LBB6_9132
; %bb.9131:                             ;   in Loop: Header=BB6_8948 Depth=3
	v_ffbh_u32_e32 v54, v33
	v_min_u32_e32 v54, 32, v54
	v_mov_b32_e32 v32, v34
	v_subrev_u32_e32 v55, 29, v54
	v_bfe_u32 v35, v31, 2, 5
	v_lshlrev_b64 v[31:32], v55, v[31:32]
	v_sub_u32_e32 v32, 30, v54
	v_cmp_eq_u32_e32 vcc, 0, v35
	v_lshlrev_b32_e32 v30, 16, v30
	v_and_b32_e32 v31, 3, v31
	v_cndmask_b32_e32 v32, v35, v32, vcc
	v_and_b32_e32 v30, 0x80000000, v30
	v_cndmask_b32_e32 v31, v33, v31, vcc
	v_lshl_add_u32 v30, v32, 23, v30
	v_lshl_or_b32 v30, v31, 21, v30
	v_add_u32_e32 v32, 0x38000000, v30
                                        ; implicit-def: $vgpr33
                                        ; implicit-def: $vgpr30_vgpr31
.LBB6_9132:                             ;   in Loop: Header=BB6_8948 Depth=3
	s_andn2_saveexec_b64 s[34:35], s[34:35]
; %bb.9133:                             ;   in Loop: Header=BB6_8948 Depth=3
	v_cmp_lt_i16_e32 vcc, -1, v30
	v_mov_b32_e32 v30, 0xff800000
	v_mov_b32_e32 v31, 0x7f800000
	v_cndmask_b32_e32 v30, v30, v31, vcc
	v_cmp_eq_u32_e32 vcc, 0, v33
	v_mov_b32_e32 v31, 0x7f800001
	v_cndmask_b32_e32 v32, v31, v30, vcc
; %bb.9134:                             ;   in Loop: Header=BB6_8948 Depth=3
	s_or_b64 exec, exec, s[34:35]
.LBB6_9135:                             ;   in Loop: Header=BB6_8948 Depth=3
	s_or_b64 exec, exec, s[30:31]
.LBB6_9136:                             ;   in Loop: Header=BB6_8948 Depth=3
	s_or_b64 exec, exec, s[28:29]
	v_lshrrev_b16_e32 v30, 8, v37
	v_cmp_ne_u16_e32 vcc, 0, v30
	s_and_saveexec_b64 s[28:29], vcc
	s_cbranch_execz .LBB6_9144
; %bb.9137:                             ;   in Loop: Header=BB6_8948 Depth=3
	v_cmp_ne_u16_e32 vcc, s44, v30
	v_bfrev_b32_e32 v0, 1
	s_and_saveexec_b64 s[30:31], vcc
	s_cbranch_execz .LBB6_9143
; %bb.9138:                             ;   in Loop: Header=BB6_8948 Depth=3
	v_and_b32_e32 v0, 0x7c, v30
	v_and_b32_e32 v33, 3, v30
	v_cmp_ne_u32_e32 vcc, s81, v0
                                        ; implicit-def: $vgpr0
	s_and_saveexec_b64 s[34:35], vcc
	s_xor_b64 s[34:35], exec, s[34:35]
	s_cbranch_execz .LBB6_9140
; %bb.9139:                             ;   in Loop: Header=BB6_8948 Depth=3
	v_ffbh_u32_e32 v35, v33
	v_min_u32_e32 v35, 32, v35
	v_mov_b32_e32 v31, v34
	v_subrev_u32_e32 v54, 29, v35
	v_bfe_u32 v0, v30, 2, 5
	v_lshlrev_b64 v[30:31], v54, v[30:31]
	v_sub_u32_e32 v31, 30, v35
	v_cmp_eq_u32_e32 vcc, 0, v0
	v_cndmask_b32_e32 v0, v0, v31, vcc
	v_lshlrev_b32_e32 v31, 16, v37
	v_and_b32_e32 v30, 3, v30
	v_and_b32_e32 v31, 0x80000000, v31
	v_cndmask_b32_e32 v30, v33, v30, vcc
	v_lshl_add_u32 v0, v0, 23, v31
	v_lshl_or_b32 v0, v30, 21, v0
	v_add_u32_e32 v0, 0x38000000, v0
                                        ; implicit-def: $vgpr33
.LBB6_9140:                             ;   in Loop: Header=BB6_8948 Depth=3
	s_andn2_saveexec_b64 s[34:35], s[34:35]
; %bb.9141:                             ;   in Loop: Header=BB6_8948 Depth=3
	v_cmp_lt_i16_e32 vcc, -1, v37
	v_mov_b32_e32 v0, 0xff800000
	v_mov_b32_e32 v30, 0x7f800000
	v_cndmask_b32_e32 v0, v0, v30, vcc
	v_cmp_eq_u32_e32 vcc, 0, v33
	v_mov_b32_e32 v30, 0x7f800001
	v_cndmask_b32_e32 v0, v30, v0, vcc
; %bb.9142:                             ;   in Loop: Header=BB6_8948 Depth=3
	s_or_b64 exec, exec, s[34:35]
.LBB6_9143:                             ;   in Loop: Header=BB6_8948 Depth=3
	s_or_b64 exec, exec, s[30:31]
.LBB6_9144:                             ;   in Loop: Header=BB6_8948 Depth=3
	s_or_b64 exec, exec, s[28:29]
	v_mul_f32_e32 v32, v32, v0
	v_and_b32_e32 v54, 0x7f800000, v32
	v_mov_b32_e32 v55, v34
	v_cmp_ne_u64_e32 vcc, s[76:77], v[54:55]
	v_and_b32_e32 v30, 0x7fffff, v32
	v_mov_b32_e32 v31, v34
                                        ; implicit-def: $vgpr0
                                        ; kill: killed $vgpr0
	s_and_saveexec_b64 s[28:29], vcc
	s_xor_b64 s[30:31], exec, s[28:29]
	s_cbranch_execz .LBB6_9158
; %bb.9145:                             ;   in Loop: Header=BB6_8948 Depth=3
	v_and_b32_e32 v54, 0x7fffffff, v32
	v_mov_b32_e32 v55, v34
	v_cmp_gt_u64_e32 vcc, s[78:79], v[54:55]
	v_and_b32_sdwa v0, v32, s44 dst_sel:DWORD dst_unused:UNUSED_PAD src0_sel:BYTE_3 src1_sel:DWORD
                                        ; implicit-def: $vgpr33
                                        ; kill: killed $vgpr33
	s_and_saveexec_b64 s[28:29], vcc
	s_xor_b64 s[34:35], exec, s[28:29]
	s_cbranch_execz .LBB6_9155
; %bb.9146:                             ;   in Loop: Header=BB6_8948 Depth=3
	v_mov_b32_e32 v33, 0
	v_cmp_ne_u32_e32 vcc, 0, v32
	buffer_store_dword v33, off, s[0:3], s33 offset:128 ; 4-byte Folded Spill
	s_and_saveexec_b64 s[36:37], vcc
	s_cbranch_execz .LBB6_9154
; %bb.9147:                             ;   in Loop: Header=BB6_8948 Depth=3
	v_bfe_u32 v33, v32, 23, 8
	v_cmp_gt_u32_e64 s[28:29], s45, v33
	v_sub_u32_e32 v32, 0x71, v33
	v_cmp_eq_u32_e32 vcc, 0, v33
	v_cndmask_b32_e64 v32, 0, v32, s[28:29]
	v_mov_b32_e32 v35, 0x70
	v_cndmask_b32_e32 v35, v32, v35, vcc
	v_or_b32_e32 v54, 0x800000, v30
	v_add_u32_e32 v32, 21, v35
	v_cndmask_b32_e32 v30, v54, v30, vcc
	v_lshlrev_b64 v[54:55], v32, -1
	v_add_u32_e32 v32, 20, v35
	v_bfi_b32 v54, v54, 0, v30
	v_lshlrev_b64 v[40:41], v32, 1
	v_lshrrev_b64 v[30:31], v35, v[30:31]
	v_bfi_b32 v55, v55, 0, 0
	v_cmp_eq_u64_e64 s[28:29], v[54:55], v[40:41]
	v_mov_b32_e32 v32, v31
	v_mov_b32_e32 v31, v30
	s_and_saveexec_b64 s[38:39], s[28:29]
; %bb.9148:                             ;   in Loop: Header=BB6_8948 Depth=3
	v_bfe_u32 v31, v30, 21, 1
	v_add_co_u32_e64 v31, s[28:29], v30, v31
	v_add_co_u32_e64 v31, s[28:29], -1, v31
; %bb.9149:                             ;   in Loop: Header=BB6_8948 Depth=3
	s_or_b64 exec, exec, s[38:39]
	v_add_u32_e32 v32, 0xffffff81, v33
	v_mov_b32_e32 v33, 0xffffff82
	v_cndmask_b32_e32 v32, v32, v33, vcc
	v_lshrrev_b32_e32 v33, 23, v30
	v_add3_u32 v35, v35, v32, v33
	v_add_u32_e32 v33, 14, v35
	v_and_b32_e32 v31, 0x1fffff, v31
	v_add_u32_e32 v30, v31, v30
	v_mov_b32_e32 v31, v34
	v_cmp_ne_u32_e32 vcc, 0, v33
                                        ; implicit-def: $vgpr32
	s_and_saveexec_b64 s[28:29], vcc
	s_xor_b64 s[28:29], exec, s[28:29]
; %bb.9150:                             ;   in Loop: Header=BB6_8948 Depth=3
	v_cmp_lt_u64_e32 vcc, s[88:89], v[30:31]
	v_add_u32_e32 v32, 15, v35
	v_cndmask_b32_e32 v32, v33, v32, vcc
	v_cndmask_b32_e64 v33, 0, 1, vcc
	v_lshrrev_b64 v[30:31], v33, v[30:31]
; %bb.9151:                             ;   in Loop: Header=BB6_8948 Depth=3
	s_andn2_saveexec_b64 s[28:29], s[28:29]
; %bb.9152:                             ;   in Loop: Header=BB6_8948 Depth=3
	v_bfe_u32 v32, v30, 23, 1
; %bb.9153:                             ;   in Loop: Header=BB6_8948 Depth=3
	s_or_b64 exec, exec, s[28:29]
	v_lshrrev_b64 v[30:31], 21, v[30:31]
	v_cmp_gt_i32_e32 vcc, 32, v32
	v_cndmask_b32_e32 v31, 0, v31, vcc
	v_cndmask_b32_e32 v30, 3, v30, vcc
	v_cmp_eq_u64_e64 s[28:29], 0, v[30:31]
	v_min_i32_e32 v31, 31, v32
	v_lshlrev_b32_e32 v31, 2, v31
	v_cmp_eq_u32_e32 vcc, 0, v32
	v_and_b32_e32 v31, 0xfc, v31
	v_and_or_b32 v30, v30, 3, v31
	s_and_b64 s[28:29], vcc, s[28:29]
	v_cndmask_b32_e64 v30, v30, 0, s[28:29]
	v_or_b32_e32 v0, v30, v0
	buffer_store_dword v0, off, s[0:3], s33 offset:128 ; 4-byte Folded Spill
.LBB6_9154:                             ;   in Loop: Header=BB6_8948 Depth=3
	s_or_b64 exec, exec, s[36:37]
                                        ; implicit-def: $vgpr0
.LBB6_9155:                             ;   in Loop: Header=BB6_8948 Depth=3
	s_andn2_saveexec_b64 s[28:29], s[34:35]
	s_cbranch_execz .LBB6_9157
; %bb.9156:                             ;   in Loop: Header=BB6_8948 Depth=3
	v_or_b32_e32 v0, 0x7b, v0
	buffer_store_dword v0, off, s[0:3], s33 offset:128 ; 4-byte Folded Spill
.LBB6_9157:                             ;   in Loop: Header=BB6_8948 Depth=3
	s_or_b64 exec, exec, s[28:29]
                                        ; implicit-def: $vgpr32
                                        ; implicit-def: $vgpr30_vgpr31
.LBB6_9158:                             ;   in Loop: Header=BB6_8948 Depth=3
	s_andn2_saveexec_b64 s[28:29], s[30:31]
	s_cbranch_execz .LBB6_9164
; %bb.9159:                             ;   in Loop: Header=BB6_8948 Depth=3
	v_cmp_ne_u64_e32 vcc, 0, v[30:31]
                                        ; implicit-def: $vgpr0
                                        ; kill: killed $vgpr0
	s_and_saveexec_b64 s[30:31], vcc
	s_xor_b64 vcc, exec, s[30:31]
	s_cbranch_execz .LBB6_9161
; %bb.9160:                             ;   in Loop: Header=BB6_8948 Depth=3
	v_or_b32_sdwa v0, v32, s83 dst_sel:DWORD dst_unused:UNUSED_PAD src0_sel:BYTE_3 src1_sel:DWORD
	buffer_store_dword v0, off, s[0:3], s33 offset:128 ; 4-byte Folded Spill
                                        ; implicit-def: $vgpr32
.LBB6_9161:                             ;   in Loop: Header=BB6_8948 Depth=3
	s_andn2_saveexec_b64 s[30:31], vcc
	s_cbranch_execz .LBB6_9163
; %bb.9162:                             ;   in Loop: Header=BB6_8948 Depth=3
	v_cmp_lt_i32_e32 vcc, -1, v32
	v_bfrev_b32_e32 v0, 0.5
	v_mov_b32_e32 v30, 0x7c
	v_cndmask_b32_e32 v0, v0, v30, vcc
	buffer_store_dword v0, off, s[0:3], s33 offset:128 ; 4-byte Folded Spill
.LBB6_9163:                             ;   in Loop: Header=BB6_8948 Depth=3
	s_or_b64 exec, exec, s[30:31]
.LBB6_9164:                             ;   in Loop: Header=BB6_8948 Depth=3
	s_or_b64 exec, exec, s[28:29]
	v_lshrrev_b32_e32 v0, 16, v49
	v_cmp_ne_u16_sdwa vcc, v0, v34 src0_sel:BYTE_0 src1_sel:DWORD
	v_mov_b32_e32 v30, 0
	v_mov_b32_e32 v31, 0
	s_and_saveexec_b64 s[28:29], vcc
	s_cbranch_execz .LBB6_9172
; %bb.9165:                             ;   in Loop: Header=BB6_8948 Depth=3
	v_cmp_ne_u16_sdwa vcc, v0, s44 src0_sel:BYTE_0 src1_sel:DWORD
	v_bfrev_b32_e32 v31, 1
	s_and_saveexec_b64 s[30:31], vcc
	s_cbranch_execz .LBB6_9171
; %bb.9166:                             ;   in Loop: Header=BB6_8948 Depth=3
	v_and_b32_e32 v31, 0x7c0000, v49
	v_bfe_u32 v32, v49, 16, 2
	v_cmp_ne_u32_e32 vcc, s9, v31
                                        ; implicit-def: $vgpr31
	s_and_saveexec_b64 s[34:35], vcc
	s_xor_b64 s[34:35], exec, s[34:35]
	s_cbranch_execz .LBB6_9168
; %bb.9167:                             ;   in Loop: Header=BB6_8948 Depth=3
	v_ffbh_u32_e32 v33, v32
	v_min_u32_e32 v33, 32, v33
	v_subrev_u32_e32 v35, 29, v33
	v_lshlrev_b64 v[54:55], v35, v[0:1]
	v_bfe_u32 v31, v49, 18, 5
	v_sub_u32_e32 v0, 30, v33
	v_and_b32_e32 v33, 3, v54
	v_cmp_eq_u32_e32 vcc, 0, v31
	v_cndmask_b32_e32 v0, v31, v0, vcc
	v_cndmask_b32_e32 v31, v32, v33, vcc
	v_lshlrev_b32_e32 v32, 8, v49
	v_and_b32_e32 v32, 0x80000000, v32
	v_lshl_add_u32 v0, v0, 23, v32
	v_lshl_or_b32 v0, v31, 21, v0
	v_add_u32_e32 v31, 0x38000000, v0
                                        ; implicit-def: $vgpr32
                                        ; implicit-def: $vgpr0
.LBB6_9168:                             ;   in Loop: Header=BB6_8948 Depth=3
	s_andn2_saveexec_b64 s[34:35], s[34:35]
; %bb.9169:                             ;   in Loop: Header=BB6_8948 Depth=3
	v_mov_b32_e32 v31, -1
	v_cmp_gt_i16_sdwa vcc, sext(v0), v31 src0_sel:BYTE_0 src1_sel:DWORD
	v_mov_b32_e32 v0, 0xff800000
	v_mov_b32_e32 v31, 0x7f800000
	v_cndmask_b32_e32 v0, v0, v31, vcc
	v_cmp_eq_u32_e32 vcc, 0, v32
	v_mov_b32_e32 v31, 0x7f800001
	v_cndmask_b32_e32 v31, v31, v0, vcc
; %bb.9170:                             ;   in Loop: Header=BB6_8948 Depth=3
	s_or_b64 exec, exec, s[34:35]
.LBB6_9171:                             ;   in Loop: Header=BB6_8948 Depth=3
	s_or_b64 exec, exec, s[30:31]
.LBB6_9172:                             ;   in Loop: Header=BB6_8948 Depth=3
	s_or_b64 exec, exec, s[28:29]
	v_lshrrev_b32_e32 v0, 16, v37
	v_cmp_ne_u16_sdwa vcc, v0, v34 src0_sel:BYTE_0 src1_sel:DWORD
	s_and_saveexec_b64 s[28:29], vcc
	s_cbranch_execz .LBB6_9180
; %bb.9173:                             ;   in Loop: Header=BB6_8948 Depth=3
	v_cmp_ne_u16_sdwa vcc, v0, s44 src0_sel:BYTE_0 src1_sel:DWORD
	v_bfrev_b32_e32 v30, 1
	s_and_saveexec_b64 s[30:31], vcc
	s_cbranch_execz .LBB6_9179
; %bb.9174:                             ;   in Loop: Header=BB6_8948 Depth=3
	v_and_b32_e32 v30, 0x7c0000, v37
	v_bfe_u32 v32, v37, 16, 2
	v_cmp_ne_u32_e32 vcc, s9, v30
                                        ; implicit-def: $vgpr30
	s_and_saveexec_b64 s[34:35], vcc
	s_xor_b64 s[34:35], exec, s[34:35]
	s_cbranch_execz .LBB6_9176
; %bb.9175:                             ;   in Loop: Header=BB6_8948 Depth=3
	v_ffbh_u32_e32 v33, v32
	v_min_u32_e32 v33, 32, v33
	v_subrev_u32_e32 v35, 29, v33
	v_lshlrev_b64 v[54:55], v35, v[0:1]
	v_bfe_u32 v30, v37, 18, 5
	v_sub_u32_e32 v0, 30, v33
	v_and_b32_e32 v33, 3, v54
	v_cmp_eq_u32_e32 vcc, 0, v30
	v_cndmask_b32_e32 v0, v30, v0, vcc
	v_cndmask_b32_e32 v30, v32, v33, vcc
	v_lshlrev_b32_e32 v32, 8, v37
	v_and_b32_e32 v32, 0x80000000, v32
	v_lshl_add_u32 v0, v0, 23, v32
	v_lshl_or_b32 v0, v30, 21, v0
	v_add_u32_e32 v30, 0x38000000, v0
                                        ; implicit-def: $vgpr32
                                        ; implicit-def: $vgpr0
.LBB6_9176:                             ;   in Loop: Header=BB6_8948 Depth=3
	s_andn2_saveexec_b64 s[34:35], s[34:35]
; %bb.9177:                             ;   in Loop: Header=BB6_8948 Depth=3
	v_mov_b32_e32 v30, -1
	v_cmp_gt_i16_sdwa vcc, sext(v0), v30 src0_sel:BYTE_0 src1_sel:DWORD
	v_mov_b32_e32 v0, 0xff800000
	v_mov_b32_e32 v30, 0x7f800000
	v_cndmask_b32_e32 v0, v0, v30, vcc
	v_cmp_eq_u32_e32 vcc, 0, v32
	v_mov_b32_e32 v30, 0x7f800001
	v_cndmask_b32_e32 v30, v30, v0, vcc
; %bb.9178:                             ;   in Loop: Header=BB6_8948 Depth=3
	s_or_b64 exec, exec, s[34:35]
.LBB6_9179:                             ;   in Loop: Header=BB6_8948 Depth=3
	s_or_b64 exec, exec, s[30:31]
.LBB6_9180:                             ;   in Loop: Header=BB6_8948 Depth=3
	s_or_b64 exec, exec, s[28:29]
	v_mul_f32_e32 v32, v31, v30
	v_and_b32_e32 v54, 0x7f800000, v32
	v_mov_b32_e32 v55, v34
	v_cmp_ne_u64_e32 vcc, s[76:77], v[54:55]
	v_and_b32_e32 v30, 0x7fffff, v32
	v_mov_b32_e32 v31, v34
                                        ; implicit-def: $vgpr0
                                        ; kill: killed $vgpr0
	s_and_saveexec_b64 s[28:29], vcc
	s_xor_b64 s[30:31], exec, s[28:29]
	s_cbranch_execz .LBB6_9194
; %bb.9181:                             ;   in Loop: Header=BB6_8948 Depth=3
	v_and_b32_e32 v54, 0x7fffffff, v32
	v_mov_b32_e32 v55, v34
	v_cmp_gt_u64_e32 vcc, s[78:79], v[54:55]
	v_and_b32_sdwa v0, v32, s44 dst_sel:DWORD dst_unused:UNUSED_PAD src0_sel:BYTE_3 src1_sel:DWORD
                                        ; implicit-def: $vgpr33
                                        ; kill: killed $vgpr33
	s_and_saveexec_b64 s[28:29], vcc
	s_xor_b64 s[34:35], exec, s[28:29]
	s_cbranch_execz .LBB6_9191
; %bb.9182:                             ;   in Loop: Header=BB6_8948 Depth=3
	v_mov_b32_e32 v33, 0
	v_cmp_ne_u32_e32 vcc, 0, v32
	buffer_store_dword v33, off, s[0:3], s33 offset:136 ; 4-byte Folded Spill
	s_and_saveexec_b64 s[36:37], vcc
	s_cbranch_execz .LBB6_9190
; %bb.9183:                             ;   in Loop: Header=BB6_8948 Depth=3
	v_bfe_u32 v33, v32, 23, 8
	v_cmp_gt_u32_e64 s[28:29], s45, v33
	v_sub_u32_e32 v32, 0x71, v33
	v_cmp_eq_u32_e32 vcc, 0, v33
	v_cndmask_b32_e64 v32, 0, v32, s[28:29]
	v_mov_b32_e32 v35, 0x70
	v_cndmask_b32_e32 v35, v32, v35, vcc
	v_or_b32_e32 v54, 0x800000, v30
	v_add_u32_e32 v32, 21, v35
	v_cndmask_b32_e32 v30, v54, v30, vcc
	v_lshlrev_b64 v[54:55], v32, -1
	v_add_u32_e32 v32, 20, v35
	v_bfi_b32 v54, v54, 0, v30
	v_lshlrev_b64 v[40:41], v32, 1
	v_lshrrev_b64 v[30:31], v35, v[30:31]
	v_bfi_b32 v55, v55, 0, 0
	v_cmp_eq_u64_e64 s[28:29], v[54:55], v[40:41]
	v_mov_b32_e32 v32, v31
	v_mov_b32_e32 v31, v30
	s_and_saveexec_b64 s[38:39], s[28:29]
; %bb.9184:                             ;   in Loop: Header=BB6_8948 Depth=3
	v_bfe_u32 v31, v30, 21, 1
	v_add_co_u32_e64 v31, s[28:29], v30, v31
	v_add_co_u32_e64 v31, s[28:29], -1, v31
; %bb.9185:                             ;   in Loop: Header=BB6_8948 Depth=3
	s_or_b64 exec, exec, s[38:39]
	v_add_u32_e32 v32, 0xffffff81, v33
	v_mov_b32_e32 v33, 0xffffff82
	v_cndmask_b32_e32 v32, v32, v33, vcc
	v_lshrrev_b32_e32 v33, 23, v30
	v_add3_u32 v35, v35, v32, v33
	v_add_u32_e32 v33, 14, v35
	v_and_b32_e32 v31, 0x1fffff, v31
	v_add_u32_e32 v30, v31, v30
	v_mov_b32_e32 v31, v34
	v_cmp_ne_u32_e32 vcc, 0, v33
                                        ; implicit-def: $vgpr32
	s_and_saveexec_b64 s[28:29], vcc
	s_xor_b64 s[28:29], exec, s[28:29]
; %bb.9186:                             ;   in Loop: Header=BB6_8948 Depth=3
	v_cmp_lt_u64_e32 vcc, s[88:89], v[30:31]
	v_add_u32_e32 v32, 15, v35
	v_cndmask_b32_e32 v32, v33, v32, vcc
	v_cndmask_b32_e64 v33, 0, 1, vcc
	v_lshrrev_b64 v[30:31], v33, v[30:31]
; %bb.9187:                             ;   in Loop: Header=BB6_8948 Depth=3
	s_andn2_saveexec_b64 s[28:29], s[28:29]
; %bb.9188:                             ;   in Loop: Header=BB6_8948 Depth=3
	v_bfe_u32 v32, v30, 23, 1
; %bb.9189:                             ;   in Loop: Header=BB6_8948 Depth=3
	s_or_b64 exec, exec, s[28:29]
	v_lshrrev_b64 v[30:31], 21, v[30:31]
	v_cmp_gt_i32_e32 vcc, 32, v32
	v_cndmask_b32_e32 v31, 0, v31, vcc
	v_cndmask_b32_e32 v30, 3, v30, vcc
	v_cmp_eq_u64_e64 s[28:29], 0, v[30:31]
	v_min_i32_e32 v31, 31, v32
	v_lshlrev_b32_e32 v31, 2, v31
	v_cmp_eq_u32_e32 vcc, 0, v32
	v_and_b32_e32 v31, 0xfc, v31
	v_and_or_b32 v30, v30, 3, v31
	s_and_b64 s[28:29], vcc, s[28:29]
	v_cndmask_b32_e64 v30, v30, 0, s[28:29]
	v_or_b32_e32 v0, v30, v0
	buffer_store_dword v0, off, s[0:3], s33 offset:136 ; 4-byte Folded Spill
.LBB6_9190:                             ;   in Loop: Header=BB6_8948 Depth=3
	s_or_b64 exec, exec, s[36:37]
                                        ; implicit-def: $vgpr0
.LBB6_9191:                             ;   in Loop: Header=BB6_8948 Depth=3
	s_andn2_saveexec_b64 s[28:29], s[34:35]
	s_cbranch_execz .LBB6_9193
; %bb.9192:                             ;   in Loop: Header=BB6_8948 Depth=3
	v_or_b32_e32 v0, 0x7b, v0
	buffer_store_dword v0, off, s[0:3], s33 offset:136 ; 4-byte Folded Spill
.LBB6_9193:                             ;   in Loop: Header=BB6_8948 Depth=3
	s_or_b64 exec, exec, s[28:29]
                                        ; implicit-def: $vgpr32
                                        ; implicit-def: $vgpr30_vgpr31
.LBB6_9194:                             ;   in Loop: Header=BB6_8948 Depth=3
	s_andn2_saveexec_b64 s[28:29], s[30:31]
	s_cbranch_execz .LBB6_9200
; %bb.9195:                             ;   in Loop: Header=BB6_8948 Depth=3
	v_cmp_ne_u64_e32 vcc, 0, v[30:31]
                                        ; implicit-def: $vgpr0
                                        ; kill: killed $vgpr0
	s_and_saveexec_b64 s[30:31], vcc
	s_xor_b64 vcc, exec, s[30:31]
	s_cbranch_execz .LBB6_9197
; %bb.9196:                             ;   in Loop: Header=BB6_8948 Depth=3
	v_or_b32_sdwa v0, v32, s83 dst_sel:DWORD dst_unused:UNUSED_PAD src0_sel:BYTE_3 src1_sel:DWORD
	buffer_store_dword v0, off, s[0:3], s33 offset:136 ; 4-byte Folded Spill
                                        ; implicit-def: $vgpr32
.LBB6_9197:                             ;   in Loop: Header=BB6_8948 Depth=3
	s_andn2_saveexec_b64 s[30:31], vcc
	s_cbranch_execz .LBB6_9199
; %bb.9198:                             ;   in Loop: Header=BB6_8948 Depth=3
	v_cmp_lt_i32_e32 vcc, -1, v32
	v_bfrev_b32_e32 v0, 0.5
	v_mov_b32_e32 v30, 0x7c
	v_cndmask_b32_e32 v0, v0, v30, vcc
	buffer_store_dword v0, off, s[0:3], s33 offset:136 ; 4-byte Folded Spill
.LBB6_9199:                             ;   in Loop: Header=BB6_8948 Depth=3
	s_or_b64 exec, exec, s[30:31]
.LBB6_9200:                             ;   in Loop: Header=BB6_8948 Depth=3
	s_or_b64 exec, exec, s[28:29]
	v_cmp_lt_u64_e32 vcc, s[56:57], v[48:49]
	v_mov_b32_e32 v30, 0
	v_mov_b32_e32 v31, 0
	s_and_saveexec_b64 s[28:29], vcc
	s_cbranch_execz .LBB6_9208
; %bb.9201:                             ;   in Loop: Header=BB6_8948 Depth=3
	v_lshrrev_b32_e32 v0, 24, v49
	v_cmp_ne_u32_e32 vcc, s44, v0
	v_bfrev_b32_e32 v31, 1
	s_and_saveexec_b64 s[30:31], vcc
	s_cbranch_execz .LBB6_9207
; %bb.9202:                             ;   in Loop: Header=BB6_8948 Depth=3
	v_and_b32_e32 v31, 0x7c000000, v49
	v_bfe_u32 v32, v49, 24, 2
	v_cmp_ne_u32_e32 vcc, s8, v31
                                        ; implicit-def: $vgpr31
	s_and_saveexec_b64 s[34:35], vcc
	s_xor_b64 s[34:35], exec, s[34:35]
	s_cbranch_execz .LBB6_9204
; %bb.9203:                             ;   in Loop: Header=BB6_8948 Depth=3
	v_ffbh_u32_e32 v33, v32
	v_min_u32_e32 v33, 32, v33
	v_subrev_u32_e32 v35, 29, v33
	v_lshlrev_b64 v[54:55], v35, v[0:1]
	v_bfe_u32 v31, v49, 26, 5
	v_sub_u32_e32 v0, 30, v33
	v_and_b32_e32 v33, 3, v54
	v_cmp_eq_u32_e32 vcc, 0, v31
	v_cndmask_b32_e32 v0, v31, v0, vcc
	v_cndmask_b32_e32 v31, v32, v33, vcc
	v_and_b32_e32 v32, 0x80000000, v49
	v_lshl_add_u32 v0, v0, 23, v32
	v_lshl_or_b32 v0, v31, 21, v0
	v_add_u32_e32 v31, 0x38000000, v0
                                        ; implicit-def: $vgpr32
.LBB6_9204:                             ;   in Loop: Header=BB6_8948 Depth=3
	s_andn2_saveexec_b64 s[34:35], s[34:35]
; %bb.9205:                             ;   in Loop: Header=BB6_8948 Depth=3
	v_cmp_lt_i64_e32 vcc, -1, v[48:49]
	v_mov_b32_e32 v0, 0xff800000
	v_mov_b32_e32 v31, 0x7f800000
	v_cndmask_b32_e32 v0, v0, v31, vcc
	v_cmp_eq_u32_e32 vcc, 0, v32
	v_mov_b32_e32 v31, 0x7f800001
	v_cndmask_b32_e32 v31, v31, v0, vcc
; %bb.9206:                             ;   in Loop: Header=BB6_8948 Depth=3
	s_or_b64 exec, exec, s[34:35]
.LBB6_9207:                             ;   in Loop: Header=BB6_8948 Depth=3
	s_or_b64 exec, exec, s[30:31]
.LBB6_9208:                             ;   in Loop: Header=BB6_8948 Depth=3
	s_or_b64 exec, exec, s[28:29]
	v_cmp_lt_u64_e32 vcc, s[56:57], v[36:37]
	s_and_saveexec_b64 s[28:29], vcc
	s_cbranch_execz .LBB6_9216
; %bb.9209:                             ;   in Loop: Header=BB6_8948 Depth=3
	v_lshrrev_b32_e32 v0, 24, v37
	v_cmp_ne_u32_e32 vcc, s44, v0
	v_bfrev_b32_e32 v30, 1
	s_and_saveexec_b64 s[30:31], vcc
	s_cbranch_execz .LBB6_9215
; %bb.9210:                             ;   in Loop: Header=BB6_8948 Depth=3
	v_and_b32_e32 v30, 0x7c000000, v37
	v_bfe_u32 v32, v37, 24, 2
	v_cmp_ne_u32_e32 vcc, s8, v30
                                        ; implicit-def: $vgpr30
	s_and_saveexec_b64 s[34:35], vcc
	s_xor_b64 s[34:35], exec, s[34:35]
	s_cbranch_execz .LBB6_9212
; %bb.9211:                             ;   in Loop: Header=BB6_8948 Depth=3
	v_ffbh_u32_e32 v33, v32
	v_min_u32_e32 v33, 32, v33
	v_subrev_u32_e32 v35, 29, v33
	v_lshlrev_b64 v[48:49], v35, v[0:1]
	v_bfe_u32 v30, v37, 26, 5
	v_sub_u32_e32 v0, 30, v33
	v_and_b32_e32 v33, 3, v48
	v_cmp_eq_u32_e32 vcc, 0, v30
	v_cndmask_b32_e32 v0, v30, v0, vcc
	v_cndmask_b32_e32 v30, v32, v33, vcc
	v_and_b32_e32 v32, 0x80000000, v37
	v_lshl_add_u32 v0, v0, 23, v32
	v_lshl_or_b32 v0, v30, 21, v0
	v_add_u32_e32 v30, 0x38000000, v0
                                        ; implicit-def: $vgpr32
.LBB6_9212:                             ;   in Loop: Header=BB6_8948 Depth=3
	s_andn2_saveexec_b64 s[34:35], s[34:35]
; %bb.9213:                             ;   in Loop: Header=BB6_8948 Depth=3
	v_cmp_lt_i64_e32 vcc, -1, v[36:37]
	v_mov_b32_e32 v0, 0xff800000
	v_mov_b32_e32 v30, 0x7f800000
	v_cndmask_b32_e32 v0, v0, v30, vcc
	v_cmp_eq_u32_e32 vcc, 0, v32
	v_mov_b32_e32 v30, 0x7f800001
	v_cndmask_b32_e32 v30, v30, v0, vcc
; %bb.9214:                             ;   in Loop: Header=BB6_8948 Depth=3
	s_or_b64 exec, exec, s[34:35]
.LBB6_9215:                             ;   in Loop: Header=BB6_8948 Depth=3
	s_or_b64 exec, exec, s[30:31]
.LBB6_9216:                             ;   in Loop: Header=BB6_8948 Depth=3
	s_or_b64 exec, exec, s[28:29]
	v_mul_f32_e32 v32, v31, v30
	v_and_b32_e32 v35, 0x7f800000, v32
	v_mov_b32_e32 v36, v34
	v_cmp_ne_u64_e32 vcc, s[76:77], v[35:36]
	v_and_b32_e32 v30, 0x7fffff, v32
	v_mov_b32_e32 v31, v34
                                        ; implicit-def: $vgpr0
                                        ; kill: killed $vgpr0
	s_and_saveexec_b64 s[28:29], vcc
	s_xor_b64 s[30:31], exec, s[28:29]
	s_cbranch_execz .LBB6_9230
; %bb.9217:                             ;   in Loop: Header=BB6_8948 Depth=3
	v_and_b32_e32 v35, 0x7fffffff, v32
	v_mov_b32_e32 v36, v34
	v_cmp_gt_u64_e32 vcc, s[78:79], v[35:36]
	v_and_b32_sdwa v0, v32, s44 dst_sel:DWORD dst_unused:UNUSED_PAD src0_sel:BYTE_3 src1_sel:DWORD
                                        ; implicit-def: $vgpr33
                                        ; kill: killed $vgpr33
	s_and_saveexec_b64 s[28:29], vcc
	s_xor_b64 s[34:35], exec, s[28:29]
	s_cbranch_execz .LBB6_9227
; %bb.9218:                             ;   in Loop: Header=BB6_8948 Depth=3
	v_mov_b32_e32 v33, 0
	v_cmp_ne_u32_e32 vcc, 0, v32
	buffer_store_dword v33, off, s[0:3], s33 offset:144 ; 4-byte Folded Spill
	s_and_saveexec_b64 s[36:37], vcc
	s_cbranch_execz .LBB6_9226
; %bb.9219:                             ;   in Loop: Header=BB6_8948 Depth=3
	v_bfe_u32 v33, v32, 23, 8
	v_cmp_gt_u32_e64 s[28:29], s45, v33
	v_sub_u32_e32 v32, 0x71, v33
	v_cmp_eq_u32_e32 vcc, 0, v33
	v_cndmask_b32_e64 v32, 0, v32, s[28:29]
	v_mov_b32_e32 v35, 0x70
	v_cndmask_b32_e32 v35, v32, v35, vcc
	v_or_b32_e32 v36, 0x800000, v30
	v_add_u32_e32 v32, 21, v35
	v_cndmask_b32_e32 v30, v36, v30, vcc
	v_lshlrev_b64 v[36:37], v32, -1
	v_add_u32_e32 v32, 20, v35
	v_bfi_b32 v36, v36, 0, v30
	v_lshlrev_b64 v[48:49], v32, 1
	v_lshrrev_b64 v[30:31], v35, v[30:31]
	v_bfi_b32 v37, v37, 0, 0
	v_cmp_eq_u64_e64 s[28:29], v[36:37], v[48:49]
	v_mov_b32_e32 v32, v31
	v_mov_b32_e32 v31, v30
	s_and_saveexec_b64 s[38:39], s[28:29]
; %bb.9220:                             ;   in Loop: Header=BB6_8948 Depth=3
	v_bfe_u32 v31, v30, 21, 1
	v_add_co_u32_e64 v31, s[28:29], v30, v31
	v_add_co_u32_e64 v31, s[28:29], -1, v31
; %bb.9221:                             ;   in Loop: Header=BB6_8948 Depth=3
	s_or_b64 exec, exec, s[38:39]
	v_add_u32_e32 v32, 0xffffff81, v33
	v_mov_b32_e32 v33, 0xffffff82
	v_cndmask_b32_e32 v32, v32, v33, vcc
	v_lshrrev_b32_e32 v33, 23, v30
	v_add3_u32 v35, v35, v32, v33
	v_add_u32_e32 v33, 14, v35
	v_and_b32_e32 v31, 0x1fffff, v31
	v_add_u32_e32 v30, v31, v30
	v_mov_b32_e32 v31, v34
	v_cmp_ne_u32_e32 vcc, 0, v33
                                        ; implicit-def: $vgpr32
	s_and_saveexec_b64 s[28:29], vcc
	s_xor_b64 s[28:29], exec, s[28:29]
; %bb.9222:                             ;   in Loop: Header=BB6_8948 Depth=3
	v_cmp_lt_u64_e32 vcc, s[88:89], v[30:31]
	v_add_u32_e32 v32, 15, v35
	v_cndmask_b32_e32 v32, v33, v32, vcc
	v_cndmask_b32_e64 v33, 0, 1, vcc
	v_lshrrev_b64 v[30:31], v33, v[30:31]
; %bb.9223:                             ;   in Loop: Header=BB6_8948 Depth=3
	s_andn2_saveexec_b64 s[28:29], s[28:29]
; %bb.9224:                             ;   in Loop: Header=BB6_8948 Depth=3
	v_bfe_u32 v32, v30, 23, 1
; %bb.9225:                             ;   in Loop: Header=BB6_8948 Depth=3
	s_or_b64 exec, exec, s[28:29]
	v_lshrrev_b64 v[30:31], 21, v[30:31]
	v_cmp_gt_i32_e32 vcc, 32, v32
	v_cndmask_b32_e32 v31, 0, v31, vcc
	v_cndmask_b32_e32 v30, 3, v30, vcc
	v_cmp_eq_u64_e64 s[28:29], 0, v[30:31]
	v_min_i32_e32 v31, 31, v32
	v_lshlrev_b32_e32 v31, 2, v31
	v_cmp_eq_u32_e32 vcc, 0, v32
	v_and_b32_e32 v31, 0xfc, v31
	v_and_or_b32 v30, v30, 3, v31
	s_and_b64 s[28:29], vcc, s[28:29]
	v_cndmask_b32_e64 v30, v30, 0, s[28:29]
	v_or_b32_e32 v0, v30, v0
	buffer_store_dword v0, off, s[0:3], s33 offset:144 ; 4-byte Folded Spill
.LBB6_9226:                             ;   in Loop: Header=BB6_8948 Depth=3
	s_or_b64 exec, exec, s[36:37]
                                        ; implicit-def: $vgpr0
.LBB6_9227:                             ;   in Loop: Header=BB6_8948 Depth=3
	s_andn2_saveexec_b64 s[28:29], s[34:35]
	s_cbranch_execz .LBB6_9229
; %bb.9228:                             ;   in Loop: Header=BB6_8948 Depth=3
	v_or_b32_e32 v0, 0x7b, v0
	buffer_store_dword v0, off, s[0:3], s33 offset:144 ; 4-byte Folded Spill
.LBB6_9229:                             ;   in Loop: Header=BB6_8948 Depth=3
	s_or_b64 exec, exec, s[28:29]
                                        ; implicit-def: $vgpr32
                                        ; implicit-def: $vgpr30_vgpr31
.LBB6_9230:                             ;   in Loop: Header=BB6_8948 Depth=3
	s_andn2_saveexec_b64 s[28:29], s[30:31]
	s_cbranch_execz .LBB6_9236
; %bb.9231:                             ;   in Loop: Header=BB6_8948 Depth=3
	v_cmp_ne_u64_e32 vcc, 0, v[30:31]
                                        ; implicit-def: $vgpr0
                                        ; kill: killed $vgpr0
	s_and_saveexec_b64 s[30:31], vcc
	s_xor_b64 vcc, exec, s[30:31]
	s_cbranch_execz .LBB6_9233
; %bb.9232:                             ;   in Loop: Header=BB6_8948 Depth=3
	v_or_b32_sdwa v0, v32, s83 dst_sel:DWORD dst_unused:UNUSED_PAD src0_sel:BYTE_3 src1_sel:DWORD
	buffer_store_dword v0, off, s[0:3], s33 offset:144 ; 4-byte Folded Spill
                                        ; implicit-def: $vgpr32
.LBB6_9233:                             ;   in Loop: Header=BB6_8948 Depth=3
	s_andn2_saveexec_b64 s[30:31], vcc
	s_cbranch_execz .LBB6_9235
; %bb.9234:                             ;   in Loop: Header=BB6_8948 Depth=3
	v_cmp_lt_i32_e32 vcc, -1, v32
	v_bfrev_b32_e32 v0, 0.5
	v_mov_b32_e32 v30, 0x7c
	v_cndmask_b32_e32 v0, v0, v30, vcc
	buffer_store_dword v0, off, s[0:3], s33 offset:144 ; 4-byte Folded Spill
.LBB6_9235:                             ;   in Loop: Header=BB6_8948 Depth=3
	s_or_b64 exec, exec, s[30:31]
.LBB6_9236:                             ;   in Loop: Header=BB6_8948 Depth=3
	s_or_b64 exec, exec, s[28:29]
	v_cmp_ne_u16_sdwa vcc, v50, v34 src0_sel:BYTE_0 src1_sel:DWORD
	v_mov_b32_e32 v0, 0
	v_mov_b32_e32 v30, 0
	s_and_saveexec_b64 s[28:29], vcc
	s_cbranch_execz .LBB6_9244
; %bb.9237:                             ;   in Loop: Header=BB6_8948 Depth=3
	v_cmp_ne_u16_sdwa vcc, sext(v50), s80 src0_sel:BYTE_0 src1_sel:DWORD
	v_bfrev_b32_e32 v30, 1
	s_and_saveexec_b64 s[30:31], vcc
	s_cbranch_execz .LBB6_9243
; %bb.9238:                             ;   in Loop: Header=BB6_8948 Depth=3
	v_and_b32_e32 v30, 0x7c, v50
	v_and_b32_e32 v31, 3, v50
	v_cmp_ne_u32_e32 vcc, s81, v30
                                        ; implicit-def: $vgpr30
	s_and_saveexec_b64 s[34:35], vcc
	s_xor_b64 s[34:35], exec, s[34:35]
	s_cbranch_execz .LBB6_9240
; %bb.9239:                             ;   in Loop: Header=BB6_8948 Depth=3
	v_ffbh_u32_e32 v32, v31
	v_min_u32_e32 v35, 32, v32
	v_subrev_u32_e32 v32, 29, v35
	v_lshlrev_b64 v[32:33], v32, v[50:51]
	v_bfe_u32 v30, v50, 2, 5
	v_and_b32_e32 v32, 3, v32
	v_cmp_eq_u32_e32 vcc, 0, v30
	v_sub_u32_e32 v33, 30, v35
	v_cndmask_b32_e32 v31, v31, v32, vcc
	v_lshlrev_b32_e32 v32, 24, v50
	v_cndmask_b32_e32 v30, v30, v33, vcc
	v_and_b32_e32 v32, 0x80000000, v32
	v_lshl_add_u32 v30, v30, 23, v32
	v_lshl_or_b32 v30, v31, 21, v30
	v_add_u32_e32 v30, 0x38000000, v30
                                        ; implicit-def: $vgpr31
.LBB6_9240:                             ;   in Loop: Header=BB6_8948 Depth=3
	s_andn2_saveexec_b64 s[34:35], s[34:35]
; %bb.9241:                             ;   in Loop: Header=BB6_8948 Depth=3
	v_mov_b32_e32 v30, -1
	v_cmp_gt_i16_sdwa vcc, sext(v50), v30 src0_sel:BYTE_0 src1_sel:DWORD
	v_mov_b32_e32 v30, 0xff800000
	v_mov_b32_e32 v32, 0x7f800000
	v_cndmask_b32_e32 v30, v30, v32, vcc
	v_cmp_eq_u32_e32 vcc, 0, v31
	v_mov_b32_e32 v31, 0x7f800001
	v_cndmask_b32_e32 v30, v31, v30, vcc
; %bb.9242:                             ;   in Loop: Header=BB6_8948 Depth=3
	s_or_b64 exec, exec, s[34:35]
.LBB6_9243:                             ;   in Loop: Header=BB6_8948 Depth=3
	s_or_b64 exec, exec, s[30:31]
.LBB6_9244:                             ;   in Loop: Header=BB6_8948 Depth=3
	s_or_b64 exec, exec, s[28:29]
	v_cmp_ne_u16_sdwa vcc, v38, v34 src0_sel:BYTE_0 src1_sel:DWORD
	s_and_saveexec_b64 s[28:29], vcc
	s_cbranch_execz .LBB6_9252
; %bb.9245:                             ;   in Loop: Header=BB6_8948 Depth=3
	v_cmp_ne_u16_sdwa vcc, sext(v38), s80 src0_sel:BYTE_0 src1_sel:DWORD
	v_bfrev_b32_e32 v0, 1
	s_and_saveexec_b64 s[30:31], vcc
	s_cbranch_execz .LBB6_9251
; %bb.9246:                             ;   in Loop: Header=BB6_8948 Depth=3
	v_and_b32_e32 v0, 0x7c, v38
	v_and_b32_e32 v31, 3, v38
	v_cmp_ne_u32_e32 vcc, s81, v0
                                        ; implicit-def: $vgpr0
	s_and_saveexec_b64 s[34:35], vcc
	s_xor_b64 s[34:35], exec, s[34:35]
	s_cbranch_execz .LBB6_9248
; %bb.9247:                             ;   in Loop: Header=BB6_8948 Depth=3
	v_ffbh_u32_e32 v32, v31
	v_min_u32_e32 v35, 32, v32
	v_subrev_u32_e32 v32, 29, v35
	v_lshlrev_b64 v[32:33], v32, v[38:39]
	v_bfe_u32 v0, v38, 2, 5
	v_and_b32_e32 v32, 3, v32
	v_cmp_eq_u32_e32 vcc, 0, v0
	v_sub_u32_e32 v33, 30, v35
	v_cndmask_b32_e32 v31, v31, v32, vcc
	v_lshlrev_b32_e32 v32, 24, v38
	v_cndmask_b32_e32 v0, v0, v33, vcc
	v_and_b32_e32 v32, 0x80000000, v32
	v_lshl_add_u32 v0, v0, 23, v32
	v_lshl_or_b32 v0, v31, 21, v0
	v_add_u32_e32 v0, 0x38000000, v0
                                        ; implicit-def: $vgpr31
.LBB6_9248:                             ;   in Loop: Header=BB6_8948 Depth=3
	s_andn2_saveexec_b64 s[34:35], s[34:35]
; %bb.9249:                             ;   in Loop: Header=BB6_8948 Depth=3
	v_mov_b32_e32 v0, -1
	v_cmp_gt_i16_sdwa vcc, sext(v38), v0 src0_sel:BYTE_0 src1_sel:DWORD
	v_mov_b32_e32 v0, 0xff800000
	v_mov_b32_e32 v32, 0x7f800000
	v_cndmask_b32_e32 v0, v0, v32, vcc
	v_cmp_eq_u32_e32 vcc, 0, v31
	v_mov_b32_e32 v31, 0x7f800001
	v_cndmask_b32_e32 v0, v31, v0, vcc
; %bb.9250:                             ;   in Loop: Header=BB6_8948 Depth=3
	s_or_b64 exec, exec, s[34:35]
.LBB6_9251:                             ;   in Loop: Header=BB6_8948 Depth=3
	s_or_b64 exec, exec, s[30:31]
.LBB6_9252:                             ;   in Loop: Header=BB6_8948 Depth=3
	s_or_b64 exec, exec, s[28:29]
	v_mul_f32_e32 v32, v30, v0
	v_and_b32_e32 v35, 0x7f800000, v32
	v_mov_b32_e32 v36, v34
	v_cmp_ne_u64_e32 vcc, s[76:77], v[35:36]
	v_and_b32_e32 v30, 0x7fffff, v32
	v_mov_b32_e32 v31, v34
                                        ; implicit-def: $vgpr0
                                        ; kill: killed $vgpr0
	s_and_saveexec_b64 s[28:29], vcc
	s_xor_b64 s[30:31], exec, s[28:29]
	s_cbranch_execz .LBB6_9266
; %bb.9253:                             ;   in Loop: Header=BB6_8948 Depth=3
	v_and_b32_e32 v35, 0x7fffffff, v32
	v_mov_b32_e32 v36, v34
	v_cmp_gt_u64_e32 vcc, s[78:79], v[35:36]
	v_and_b32_sdwa v0, v32, s44 dst_sel:DWORD dst_unused:UNUSED_PAD src0_sel:BYTE_3 src1_sel:DWORD
                                        ; implicit-def: $vgpr33
                                        ; kill: killed $vgpr33
	s_and_saveexec_b64 s[28:29], vcc
	s_xor_b64 s[34:35], exec, s[28:29]
	s_cbranch_execz .LBB6_9263
; %bb.9254:                             ;   in Loop: Header=BB6_8948 Depth=3
	v_mov_b32_e32 v33, 0
	v_cmp_ne_u32_e32 vcc, 0, v32
	buffer_store_dword v33, off, s[0:3], s33 offset:152 ; 4-byte Folded Spill
	s_and_saveexec_b64 s[36:37], vcc
	s_cbranch_execz .LBB6_9262
; %bb.9255:                             ;   in Loop: Header=BB6_8948 Depth=3
	v_bfe_u32 v33, v32, 23, 8
	v_cmp_gt_u32_e64 s[28:29], s45, v33
	v_sub_u32_e32 v32, 0x71, v33
	v_cmp_eq_u32_e32 vcc, 0, v33
	v_cndmask_b32_e64 v32, 0, v32, s[28:29]
	v_mov_b32_e32 v35, 0x70
	v_cndmask_b32_e32 v35, v32, v35, vcc
	v_or_b32_e32 v36, 0x800000, v30
	v_add_u32_e32 v32, 21, v35
	v_cndmask_b32_e32 v30, v36, v30, vcc
	v_lshlrev_b64 v[36:37], v32, -1
	v_add_u32_e32 v32, 20, v35
	v_bfi_b32 v36, v36, 0, v30
	v_lshlrev_b64 v[48:49], v32, 1
	v_lshrrev_b64 v[30:31], v35, v[30:31]
	v_bfi_b32 v37, v37, 0, 0
	v_cmp_eq_u64_e64 s[28:29], v[36:37], v[48:49]
	v_mov_b32_e32 v32, v31
	v_mov_b32_e32 v31, v30
	s_and_saveexec_b64 s[38:39], s[28:29]
; %bb.9256:                             ;   in Loop: Header=BB6_8948 Depth=3
	v_bfe_u32 v31, v30, 21, 1
	v_add_co_u32_e64 v31, s[28:29], v30, v31
	v_add_co_u32_e64 v31, s[28:29], -1, v31
; %bb.9257:                             ;   in Loop: Header=BB6_8948 Depth=3
	s_or_b64 exec, exec, s[38:39]
	v_add_u32_e32 v32, 0xffffff81, v33
	v_mov_b32_e32 v33, 0xffffff82
	v_cndmask_b32_e32 v32, v32, v33, vcc
	v_lshrrev_b32_e32 v33, 23, v30
	v_add3_u32 v35, v35, v32, v33
	v_add_u32_e32 v33, 14, v35
	v_and_b32_e32 v31, 0x1fffff, v31
	v_add_u32_e32 v30, v31, v30
	v_mov_b32_e32 v31, v34
	v_cmp_ne_u32_e32 vcc, 0, v33
                                        ; implicit-def: $vgpr32
	s_and_saveexec_b64 s[28:29], vcc
	s_xor_b64 s[28:29], exec, s[28:29]
; %bb.9258:                             ;   in Loop: Header=BB6_8948 Depth=3
	v_cmp_lt_u64_e32 vcc, s[88:89], v[30:31]
	v_add_u32_e32 v32, 15, v35
	v_cndmask_b32_e32 v32, v33, v32, vcc
	v_cndmask_b32_e64 v33, 0, 1, vcc
	v_lshrrev_b64 v[30:31], v33, v[30:31]
; %bb.9259:                             ;   in Loop: Header=BB6_8948 Depth=3
	s_andn2_saveexec_b64 s[28:29], s[28:29]
; %bb.9260:                             ;   in Loop: Header=BB6_8948 Depth=3
	v_bfe_u32 v32, v30, 23, 1
; %bb.9261:                             ;   in Loop: Header=BB6_8948 Depth=3
	s_or_b64 exec, exec, s[28:29]
	v_lshrrev_b64 v[30:31], 21, v[30:31]
	v_cmp_gt_i32_e32 vcc, 32, v32
	v_cndmask_b32_e32 v31, 0, v31, vcc
	v_cndmask_b32_e32 v30, 3, v30, vcc
	v_cmp_eq_u64_e64 s[28:29], 0, v[30:31]
	v_min_i32_e32 v31, 31, v32
	v_lshlrev_b32_e32 v31, 2, v31
	v_cmp_eq_u32_e32 vcc, 0, v32
	v_and_b32_e32 v31, 0xfc, v31
	v_and_or_b32 v30, v30, 3, v31
	s_and_b64 s[28:29], vcc, s[28:29]
	v_cndmask_b32_e64 v30, v30, 0, s[28:29]
	v_or_b32_e32 v0, v30, v0
	buffer_store_dword v0, off, s[0:3], s33 offset:152 ; 4-byte Folded Spill
.LBB6_9262:                             ;   in Loop: Header=BB6_8948 Depth=3
	s_or_b64 exec, exec, s[36:37]
                                        ; implicit-def: $vgpr0
.LBB6_9263:                             ;   in Loop: Header=BB6_8948 Depth=3
	s_andn2_saveexec_b64 s[28:29], s[34:35]
	s_cbranch_execz .LBB6_9265
; %bb.9264:                             ;   in Loop: Header=BB6_8948 Depth=3
	v_or_b32_e32 v0, 0x7b, v0
	buffer_store_dword v0, off, s[0:3], s33 offset:152 ; 4-byte Folded Spill
.LBB6_9265:                             ;   in Loop: Header=BB6_8948 Depth=3
	s_or_b64 exec, exec, s[28:29]
                                        ; implicit-def: $vgpr32
                                        ; implicit-def: $vgpr30_vgpr31
.LBB6_9266:                             ;   in Loop: Header=BB6_8948 Depth=3
	s_andn2_saveexec_b64 s[28:29], s[30:31]
	s_cbranch_execz .LBB6_9272
; %bb.9267:                             ;   in Loop: Header=BB6_8948 Depth=3
	v_cmp_ne_u64_e32 vcc, 0, v[30:31]
                                        ; implicit-def: $vgpr0
                                        ; kill: killed $vgpr0
	s_and_saveexec_b64 s[30:31], vcc
	s_xor_b64 vcc, exec, s[30:31]
	s_cbranch_execz .LBB6_9269
; %bb.9268:                             ;   in Loop: Header=BB6_8948 Depth=3
	v_or_b32_sdwa v0, v32, s83 dst_sel:DWORD dst_unused:UNUSED_PAD src0_sel:BYTE_3 src1_sel:DWORD
	buffer_store_dword v0, off, s[0:3], s33 offset:152 ; 4-byte Folded Spill
                                        ; implicit-def: $vgpr32
.LBB6_9269:                             ;   in Loop: Header=BB6_8948 Depth=3
	s_andn2_saveexec_b64 s[30:31], vcc
	s_cbranch_execz .LBB6_9271
; %bb.9270:                             ;   in Loop: Header=BB6_8948 Depth=3
	v_cmp_lt_i32_e32 vcc, -1, v32
	v_bfrev_b32_e32 v0, 0.5
	v_mov_b32_e32 v30, 0x7c
	v_cndmask_b32_e32 v0, v0, v30, vcc
	buffer_store_dword v0, off, s[0:3], s33 offset:152 ; 4-byte Folded Spill
.LBB6_9271:                             ;   in Loop: Header=BB6_8948 Depth=3
	s_or_b64 exec, exec, s[30:31]
.LBB6_9272:                             ;   in Loop: Header=BB6_8948 Depth=3
	s_or_b64 exec, exec, s[28:29]
	v_lshrrev_b16_e32 v30, 8, v50
	v_cmp_ne_u16_e32 vcc, 0, v30
	v_mov_b32_e32 v0, 0
	v_mov_b32_e32 v32, 0
	s_and_saveexec_b64 s[28:29], vcc
	s_cbranch_execz .LBB6_9280
; %bb.9273:                             ;   in Loop: Header=BB6_8948 Depth=3
	v_cmp_ne_u16_e32 vcc, s44, v30
	v_bfrev_b32_e32 v32, 1
	s_and_saveexec_b64 s[30:31], vcc
	s_cbranch_execz .LBB6_9279
; %bb.9274:                             ;   in Loop: Header=BB6_8948 Depth=3
	v_and_b32_e32 v31, 0x7c, v30
	v_and_b32_e32 v33, 3, v30
	v_cmp_ne_u32_e32 vcc, s81, v31
                                        ; implicit-def: $vgpr32
	s_and_saveexec_b64 s[34:35], vcc
	s_xor_b64 s[34:35], exec, s[34:35]
	s_cbranch_execz .LBB6_9276
; %bb.9275:                             ;   in Loop: Header=BB6_8948 Depth=3
	v_ffbh_u32_e32 v35, v33
	v_min_u32_e32 v35, 32, v35
	v_mov_b32_e32 v31, v34
	v_subrev_u32_e32 v36, 29, v35
	v_bfe_u32 v32, v30, 2, 5
	v_lshlrev_b64 v[30:31], v36, v[30:31]
	v_sub_u32_e32 v31, 30, v35
	v_cmp_eq_u32_e32 vcc, 0, v32
	v_cndmask_b32_e32 v31, v32, v31, vcc
	v_lshlrev_b32_e32 v32, 16, v50
	v_and_b32_e32 v30, 3, v30
	v_and_b32_e32 v32, 0x80000000, v32
	v_cndmask_b32_e32 v30, v33, v30, vcc
	v_lshl_add_u32 v31, v31, 23, v32
	v_lshl_or_b32 v30, v30, 21, v31
	v_add_u32_e32 v32, 0x38000000, v30
                                        ; implicit-def: $vgpr33
.LBB6_9276:                             ;   in Loop: Header=BB6_8948 Depth=3
	s_andn2_saveexec_b64 s[34:35], s[34:35]
; %bb.9277:                             ;   in Loop: Header=BB6_8948 Depth=3
	v_cmp_lt_i16_e32 vcc, -1, v50
	v_mov_b32_e32 v30, 0xff800000
	v_mov_b32_e32 v31, 0x7f800000
	v_cndmask_b32_e32 v30, v30, v31, vcc
	v_cmp_eq_u32_e32 vcc, 0, v33
	v_mov_b32_e32 v31, 0x7f800001
	v_cndmask_b32_e32 v32, v31, v30, vcc
; %bb.9278:                             ;   in Loop: Header=BB6_8948 Depth=3
	s_or_b64 exec, exec, s[34:35]
.LBB6_9279:                             ;   in Loop: Header=BB6_8948 Depth=3
	s_or_b64 exec, exec, s[30:31]
.LBB6_9280:                             ;   in Loop: Header=BB6_8948 Depth=3
	s_or_b64 exec, exec, s[28:29]
	v_lshrrev_b16_e32 v30, 8, v38
	v_cmp_ne_u16_e32 vcc, 0, v30
	s_and_saveexec_b64 s[28:29], vcc
	s_cbranch_execz .LBB6_9288
; %bb.9281:                             ;   in Loop: Header=BB6_8948 Depth=3
	v_cmp_ne_u16_e32 vcc, s44, v30
	v_bfrev_b32_e32 v0, 1
	s_and_saveexec_b64 s[30:31], vcc
	s_cbranch_execz .LBB6_9287
; %bb.9282:                             ;   in Loop: Header=BB6_8948 Depth=3
	v_and_b32_e32 v0, 0x7c, v30
	v_and_b32_e32 v33, 3, v30
	v_cmp_ne_u32_e32 vcc, s81, v0
                                        ; implicit-def: $vgpr0
	s_and_saveexec_b64 s[34:35], vcc
	s_xor_b64 s[34:35], exec, s[34:35]
	s_cbranch_execz .LBB6_9284
; %bb.9283:                             ;   in Loop: Header=BB6_8948 Depth=3
	v_ffbh_u32_e32 v35, v33
	v_min_u32_e32 v35, 32, v35
	v_mov_b32_e32 v31, v34
	v_subrev_u32_e32 v36, 29, v35
	v_bfe_u32 v0, v30, 2, 5
	v_lshlrev_b64 v[30:31], v36, v[30:31]
	v_sub_u32_e32 v31, 30, v35
	v_cmp_eq_u32_e32 vcc, 0, v0
	v_cndmask_b32_e32 v0, v0, v31, vcc
	v_lshlrev_b32_e32 v31, 16, v38
	v_and_b32_e32 v30, 3, v30
	v_and_b32_e32 v31, 0x80000000, v31
	v_cndmask_b32_e32 v30, v33, v30, vcc
	v_lshl_add_u32 v0, v0, 23, v31
	v_lshl_or_b32 v0, v30, 21, v0
	v_add_u32_e32 v0, 0x38000000, v0
                                        ; implicit-def: $vgpr33
.LBB6_9284:                             ;   in Loop: Header=BB6_8948 Depth=3
	s_andn2_saveexec_b64 s[34:35], s[34:35]
; %bb.9285:                             ;   in Loop: Header=BB6_8948 Depth=3
	v_cmp_lt_i16_e32 vcc, -1, v38
	v_mov_b32_e32 v0, 0xff800000
	v_mov_b32_e32 v30, 0x7f800000
	v_cndmask_b32_e32 v0, v0, v30, vcc
	v_cmp_eq_u32_e32 vcc, 0, v33
	v_mov_b32_e32 v30, 0x7f800001
	v_cndmask_b32_e32 v0, v30, v0, vcc
; %bb.9286:                             ;   in Loop: Header=BB6_8948 Depth=3
	s_or_b64 exec, exec, s[34:35]
.LBB6_9287:                             ;   in Loop: Header=BB6_8948 Depth=3
	s_or_b64 exec, exec, s[30:31]
.LBB6_9288:                             ;   in Loop: Header=BB6_8948 Depth=3
	s_or_b64 exec, exec, s[28:29]
	v_mul_f32_e32 v32, v32, v0
	v_and_b32_e32 v35, 0x7f800000, v32
	v_mov_b32_e32 v36, v34
	v_cmp_ne_u64_e32 vcc, s[76:77], v[35:36]
	v_and_b32_e32 v30, 0x7fffff, v32
	v_mov_b32_e32 v31, v34
                                        ; implicit-def: $vgpr0
                                        ; kill: killed $vgpr0
	s_and_saveexec_b64 s[28:29], vcc
	s_xor_b64 s[30:31], exec, s[28:29]
	s_cbranch_execz .LBB6_9302
; %bb.9289:                             ;   in Loop: Header=BB6_8948 Depth=3
	v_and_b32_e32 v35, 0x7fffffff, v32
	v_mov_b32_e32 v36, v34
	v_cmp_gt_u64_e32 vcc, s[78:79], v[35:36]
	v_and_b32_sdwa v0, v32, s44 dst_sel:DWORD dst_unused:UNUSED_PAD src0_sel:BYTE_3 src1_sel:DWORD
                                        ; implicit-def: $vgpr33
                                        ; kill: killed $vgpr33
	s_and_saveexec_b64 s[28:29], vcc
	s_xor_b64 s[34:35], exec, s[28:29]
	s_cbranch_execz .LBB6_9299
; %bb.9290:                             ;   in Loop: Header=BB6_8948 Depth=3
	v_mov_b32_e32 v33, 0
	v_cmp_ne_u32_e32 vcc, 0, v32
	buffer_store_dword v33, off, s[0:3], s33 offset:160 ; 4-byte Folded Spill
	s_and_saveexec_b64 s[36:37], vcc
	s_cbranch_execz .LBB6_9298
; %bb.9291:                             ;   in Loop: Header=BB6_8948 Depth=3
	v_bfe_u32 v33, v32, 23, 8
	v_cmp_gt_u32_e64 s[28:29], s45, v33
	v_sub_u32_e32 v32, 0x71, v33
	v_cmp_eq_u32_e32 vcc, 0, v33
	v_cndmask_b32_e64 v32, 0, v32, s[28:29]
	v_mov_b32_e32 v35, 0x70
	v_cndmask_b32_e32 v35, v32, v35, vcc
	v_or_b32_e32 v36, 0x800000, v30
	v_add_u32_e32 v32, 21, v35
	v_cndmask_b32_e32 v30, v36, v30, vcc
	v_lshlrev_b64 v[36:37], v32, -1
	v_add_u32_e32 v32, 20, v35
	v_bfi_b32 v36, v36, 0, v30
	v_lshlrev_b64 v[48:49], v32, 1
	v_lshrrev_b64 v[30:31], v35, v[30:31]
	v_bfi_b32 v37, v37, 0, 0
	v_cmp_eq_u64_e64 s[28:29], v[36:37], v[48:49]
	v_mov_b32_e32 v32, v31
	v_mov_b32_e32 v31, v30
	s_and_saveexec_b64 s[38:39], s[28:29]
; %bb.9292:                             ;   in Loop: Header=BB6_8948 Depth=3
	v_bfe_u32 v31, v30, 21, 1
	v_add_co_u32_e64 v31, s[28:29], v30, v31
	v_add_co_u32_e64 v31, s[28:29], -1, v31
; %bb.9293:                             ;   in Loop: Header=BB6_8948 Depth=3
	s_or_b64 exec, exec, s[38:39]
	v_add_u32_e32 v32, 0xffffff81, v33
	v_mov_b32_e32 v33, 0xffffff82
	v_cndmask_b32_e32 v32, v32, v33, vcc
	v_lshrrev_b32_e32 v33, 23, v30
	v_add3_u32 v35, v35, v32, v33
	v_add_u32_e32 v33, 14, v35
	v_and_b32_e32 v31, 0x1fffff, v31
	v_add_u32_e32 v30, v31, v30
	v_mov_b32_e32 v31, v34
	v_cmp_ne_u32_e32 vcc, 0, v33
                                        ; implicit-def: $vgpr32
	s_and_saveexec_b64 s[28:29], vcc
	s_xor_b64 s[28:29], exec, s[28:29]
; %bb.9294:                             ;   in Loop: Header=BB6_8948 Depth=3
	v_cmp_lt_u64_e32 vcc, s[88:89], v[30:31]
	v_add_u32_e32 v32, 15, v35
	v_cndmask_b32_e32 v32, v33, v32, vcc
	v_cndmask_b32_e64 v33, 0, 1, vcc
	v_lshrrev_b64 v[30:31], v33, v[30:31]
; %bb.9295:                             ;   in Loop: Header=BB6_8948 Depth=3
	s_andn2_saveexec_b64 s[28:29], s[28:29]
; %bb.9296:                             ;   in Loop: Header=BB6_8948 Depth=3
	v_bfe_u32 v32, v30, 23, 1
; %bb.9297:                             ;   in Loop: Header=BB6_8948 Depth=3
	s_or_b64 exec, exec, s[28:29]
	v_lshrrev_b64 v[30:31], 21, v[30:31]
	v_cmp_gt_i32_e32 vcc, 32, v32
	v_cndmask_b32_e32 v31, 0, v31, vcc
	v_cndmask_b32_e32 v30, 3, v30, vcc
	v_cmp_eq_u64_e64 s[28:29], 0, v[30:31]
	v_min_i32_e32 v31, 31, v32
	v_lshlrev_b32_e32 v31, 2, v31
	v_cmp_eq_u32_e32 vcc, 0, v32
	v_and_b32_e32 v31, 0xfc, v31
	v_and_or_b32 v30, v30, 3, v31
	s_and_b64 s[28:29], vcc, s[28:29]
	v_cndmask_b32_e64 v30, v30, 0, s[28:29]
	v_or_b32_e32 v0, v30, v0
	buffer_store_dword v0, off, s[0:3], s33 offset:160 ; 4-byte Folded Spill
.LBB6_9298:                             ;   in Loop: Header=BB6_8948 Depth=3
	s_or_b64 exec, exec, s[36:37]
                                        ; implicit-def: $vgpr0
.LBB6_9299:                             ;   in Loop: Header=BB6_8948 Depth=3
	s_andn2_saveexec_b64 s[28:29], s[34:35]
	s_cbranch_execz .LBB6_9301
; %bb.9300:                             ;   in Loop: Header=BB6_8948 Depth=3
	v_or_b32_e32 v0, 0x7b, v0
	buffer_store_dword v0, off, s[0:3], s33 offset:160 ; 4-byte Folded Spill
.LBB6_9301:                             ;   in Loop: Header=BB6_8948 Depth=3
	s_or_b64 exec, exec, s[28:29]
                                        ; implicit-def: $vgpr32
                                        ; implicit-def: $vgpr30_vgpr31
.LBB6_9302:                             ;   in Loop: Header=BB6_8948 Depth=3
	s_andn2_saveexec_b64 s[28:29], s[30:31]
	s_cbranch_execz .LBB6_9308
; %bb.9303:                             ;   in Loop: Header=BB6_8948 Depth=3
	v_cmp_ne_u64_e32 vcc, 0, v[30:31]
                                        ; implicit-def: $vgpr0
                                        ; kill: killed $vgpr0
	s_and_saveexec_b64 s[30:31], vcc
	s_xor_b64 vcc, exec, s[30:31]
	s_cbranch_execz .LBB6_9305
; %bb.9304:                             ;   in Loop: Header=BB6_8948 Depth=3
	v_or_b32_sdwa v0, v32, s83 dst_sel:DWORD dst_unused:UNUSED_PAD src0_sel:BYTE_3 src1_sel:DWORD
	buffer_store_dword v0, off, s[0:3], s33 offset:160 ; 4-byte Folded Spill
                                        ; implicit-def: $vgpr32
.LBB6_9305:                             ;   in Loop: Header=BB6_8948 Depth=3
	s_andn2_saveexec_b64 s[30:31], vcc
	s_cbranch_execz .LBB6_9307
; %bb.9306:                             ;   in Loop: Header=BB6_8948 Depth=3
	v_cmp_lt_i32_e32 vcc, -1, v32
	v_bfrev_b32_e32 v0, 0.5
	v_mov_b32_e32 v30, 0x7c
	v_cndmask_b32_e32 v0, v0, v30, vcc
	buffer_store_dword v0, off, s[0:3], s33 offset:160 ; 4-byte Folded Spill
.LBB6_9307:                             ;   in Loop: Header=BB6_8948 Depth=3
	s_or_b64 exec, exec, s[30:31]
.LBB6_9308:                             ;   in Loop: Header=BB6_8948 Depth=3
	s_or_b64 exec, exec, s[28:29]
	v_lshrrev_b32_e32 v0, 16, v50
	v_cmp_ne_u16_sdwa vcc, v0, v34 src0_sel:BYTE_0 src1_sel:DWORD
	v_mov_b32_e32 v30, 0
	v_mov_b32_e32 v31, 0
	s_and_saveexec_b64 s[28:29], vcc
	s_cbranch_execz .LBB6_9316
; %bb.9309:                             ;   in Loop: Header=BB6_8948 Depth=3
	v_cmp_ne_u16_sdwa vcc, v0, s44 src0_sel:BYTE_0 src1_sel:DWORD
	v_bfrev_b32_e32 v31, 1
	s_and_saveexec_b64 s[30:31], vcc
	s_cbranch_execz .LBB6_9315
; %bb.9310:                             ;   in Loop: Header=BB6_8948 Depth=3
	v_and_b32_e32 v31, 0x7c0000, v50
	v_bfe_u32 v32, v50, 16, 2
	v_cmp_ne_u32_e32 vcc, s9, v31
                                        ; implicit-def: $vgpr31
	s_and_saveexec_b64 s[34:35], vcc
	s_xor_b64 s[34:35], exec, s[34:35]
	s_cbranch_execz .LBB6_9312
; %bb.9311:                             ;   in Loop: Header=BB6_8948 Depth=3
	v_ffbh_u32_e32 v33, v32
	v_min_u32_e32 v33, 32, v33
	v_subrev_u32_e32 v35, 29, v33
	v_lshlrev_b64 v[35:36], v35, v[0:1]
	v_bfe_u32 v31, v50, 18, 5
	v_sub_u32_e32 v0, 30, v33
	v_and_b32_e32 v33, 3, v35
	v_cmp_eq_u32_e32 vcc, 0, v31
	v_cndmask_b32_e32 v0, v31, v0, vcc
	v_cndmask_b32_e32 v31, v32, v33, vcc
	v_lshlrev_b32_e32 v32, 8, v50
	v_and_b32_e32 v32, 0x80000000, v32
	v_lshl_add_u32 v0, v0, 23, v32
	v_lshl_or_b32 v0, v31, 21, v0
	v_add_u32_e32 v31, 0x38000000, v0
                                        ; implicit-def: $vgpr32
                                        ; implicit-def: $vgpr0
.LBB6_9312:                             ;   in Loop: Header=BB6_8948 Depth=3
	s_andn2_saveexec_b64 s[34:35], s[34:35]
; %bb.9313:                             ;   in Loop: Header=BB6_8948 Depth=3
	v_mov_b32_e32 v31, -1
	v_cmp_gt_i16_sdwa vcc, sext(v0), v31 src0_sel:BYTE_0 src1_sel:DWORD
	v_mov_b32_e32 v0, 0xff800000
	v_mov_b32_e32 v31, 0x7f800000
	v_cndmask_b32_e32 v0, v0, v31, vcc
	v_cmp_eq_u32_e32 vcc, 0, v32
	v_mov_b32_e32 v31, 0x7f800001
	v_cndmask_b32_e32 v31, v31, v0, vcc
; %bb.9314:                             ;   in Loop: Header=BB6_8948 Depth=3
	s_or_b64 exec, exec, s[34:35]
.LBB6_9315:                             ;   in Loop: Header=BB6_8948 Depth=3
	s_or_b64 exec, exec, s[30:31]
.LBB6_9316:                             ;   in Loop: Header=BB6_8948 Depth=3
	s_or_b64 exec, exec, s[28:29]
	v_lshrrev_b32_e32 v0, 16, v38
	v_cmp_ne_u16_sdwa vcc, v0, v34 src0_sel:BYTE_0 src1_sel:DWORD
	s_and_saveexec_b64 s[28:29], vcc
	s_cbranch_execz .LBB6_9324
; %bb.9317:                             ;   in Loop: Header=BB6_8948 Depth=3
	v_cmp_ne_u16_sdwa vcc, v0, s44 src0_sel:BYTE_0 src1_sel:DWORD
	v_bfrev_b32_e32 v30, 1
	s_and_saveexec_b64 s[30:31], vcc
	s_cbranch_execz .LBB6_9323
; %bb.9318:                             ;   in Loop: Header=BB6_8948 Depth=3
	v_and_b32_e32 v30, 0x7c0000, v38
	v_bfe_u32 v32, v38, 16, 2
	v_cmp_ne_u32_e32 vcc, s9, v30
                                        ; implicit-def: $vgpr30
	s_and_saveexec_b64 s[34:35], vcc
	s_xor_b64 s[34:35], exec, s[34:35]
	s_cbranch_execz .LBB6_9320
; %bb.9319:                             ;   in Loop: Header=BB6_8948 Depth=3
	v_ffbh_u32_e32 v33, v32
	v_min_u32_e32 v33, 32, v33
	v_subrev_u32_e32 v35, 29, v33
	v_lshlrev_b64 v[35:36], v35, v[0:1]
	v_bfe_u32 v30, v38, 18, 5
	v_sub_u32_e32 v0, 30, v33
	v_and_b32_e32 v33, 3, v35
	v_cmp_eq_u32_e32 vcc, 0, v30
	v_cndmask_b32_e32 v0, v30, v0, vcc
	v_cndmask_b32_e32 v30, v32, v33, vcc
	v_lshlrev_b32_e32 v32, 8, v38
	v_and_b32_e32 v32, 0x80000000, v32
	v_lshl_add_u32 v0, v0, 23, v32
	v_lshl_or_b32 v0, v30, 21, v0
	v_add_u32_e32 v30, 0x38000000, v0
                                        ; implicit-def: $vgpr32
                                        ; implicit-def: $vgpr0
.LBB6_9320:                             ;   in Loop: Header=BB6_8948 Depth=3
	s_andn2_saveexec_b64 s[34:35], s[34:35]
; %bb.9321:                             ;   in Loop: Header=BB6_8948 Depth=3
	v_mov_b32_e32 v30, -1
	v_cmp_gt_i16_sdwa vcc, sext(v0), v30 src0_sel:BYTE_0 src1_sel:DWORD
	v_mov_b32_e32 v0, 0xff800000
	v_mov_b32_e32 v30, 0x7f800000
	v_cndmask_b32_e32 v0, v0, v30, vcc
	v_cmp_eq_u32_e32 vcc, 0, v32
	v_mov_b32_e32 v30, 0x7f800001
	v_cndmask_b32_e32 v30, v30, v0, vcc
; %bb.9322:                             ;   in Loop: Header=BB6_8948 Depth=3
	s_or_b64 exec, exec, s[34:35]
.LBB6_9323:                             ;   in Loop: Header=BB6_8948 Depth=3
	s_or_b64 exec, exec, s[30:31]
.LBB6_9324:                             ;   in Loop: Header=BB6_8948 Depth=3
	s_or_b64 exec, exec, s[28:29]
	v_mul_f32_e32 v32, v31, v30
	v_and_b32_e32 v35, 0x7f800000, v32
	v_mov_b32_e32 v36, v34
	v_cmp_ne_u64_e32 vcc, s[76:77], v[35:36]
	v_and_b32_e32 v30, 0x7fffff, v32
	v_mov_b32_e32 v31, v34
                                        ; implicit-def: $vgpr0
                                        ; kill: killed $vgpr0
	s_and_saveexec_b64 s[28:29], vcc
	s_xor_b64 s[30:31], exec, s[28:29]
	s_cbranch_execz .LBB6_9338
; %bb.9325:                             ;   in Loop: Header=BB6_8948 Depth=3
	v_and_b32_e32 v35, 0x7fffffff, v32
	v_mov_b32_e32 v36, v34
	v_cmp_gt_u64_e32 vcc, s[78:79], v[35:36]
	v_and_b32_sdwa v0, v32, s44 dst_sel:DWORD dst_unused:UNUSED_PAD src0_sel:BYTE_3 src1_sel:DWORD
                                        ; implicit-def: $vgpr33
                                        ; kill: killed $vgpr33
	s_and_saveexec_b64 s[28:29], vcc
	s_xor_b64 s[34:35], exec, s[28:29]
	s_cbranch_execz .LBB6_9335
; %bb.9326:                             ;   in Loop: Header=BB6_8948 Depth=3
	v_mov_b32_e32 v33, 0
	v_cmp_ne_u32_e32 vcc, 0, v32
	buffer_store_dword v33, off, s[0:3], s33 offset:168 ; 4-byte Folded Spill
	s_and_saveexec_b64 s[36:37], vcc
	s_cbranch_execz .LBB6_9334
; %bb.9327:                             ;   in Loop: Header=BB6_8948 Depth=3
	v_bfe_u32 v33, v32, 23, 8
	v_cmp_gt_u32_e64 s[28:29], s45, v33
	v_sub_u32_e32 v32, 0x71, v33
	v_cmp_eq_u32_e32 vcc, 0, v33
	v_cndmask_b32_e64 v32, 0, v32, s[28:29]
	v_mov_b32_e32 v35, 0x70
	v_cndmask_b32_e32 v35, v32, v35, vcc
	v_or_b32_e32 v36, 0x800000, v30
	v_add_u32_e32 v32, 21, v35
	v_cndmask_b32_e32 v30, v36, v30, vcc
	v_lshlrev_b64 v[36:37], v32, -1
	v_add_u32_e32 v32, 20, v35
	v_bfi_b32 v36, v36, 0, v30
	v_lshlrev_b64 v[48:49], v32, 1
	v_lshrrev_b64 v[30:31], v35, v[30:31]
	v_bfi_b32 v37, v37, 0, 0
	v_cmp_eq_u64_e64 s[28:29], v[36:37], v[48:49]
	v_mov_b32_e32 v32, v31
	v_mov_b32_e32 v31, v30
	s_and_saveexec_b64 s[38:39], s[28:29]
; %bb.9328:                             ;   in Loop: Header=BB6_8948 Depth=3
	v_bfe_u32 v31, v30, 21, 1
	v_add_co_u32_e64 v31, s[28:29], v30, v31
	v_add_co_u32_e64 v31, s[28:29], -1, v31
; %bb.9329:                             ;   in Loop: Header=BB6_8948 Depth=3
	s_or_b64 exec, exec, s[38:39]
	v_add_u32_e32 v32, 0xffffff81, v33
	v_mov_b32_e32 v33, 0xffffff82
	v_cndmask_b32_e32 v32, v32, v33, vcc
	v_lshrrev_b32_e32 v33, 23, v30
	v_add3_u32 v35, v35, v32, v33
	v_add_u32_e32 v33, 14, v35
	v_and_b32_e32 v31, 0x1fffff, v31
	v_add_u32_e32 v30, v31, v30
	v_mov_b32_e32 v31, v34
	v_cmp_ne_u32_e32 vcc, 0, v33
                                        ; implicit-def: $vgpr32
	s_and_saveexec_b64 s[28:29], vcc
	s_xor_b64 s[28:29], exec, s[28:29]
; %bb.9330:                             ;   in Loop: Header=BB6_8948 Depth=3
	v_cmp_lt_u64_e32 vcc, s[88:89], v[30:31]
	v_add_u32_e32 v32, 15, v35
	v_cndmask_b32_e32 v32, v33, v32, vcc
	v_cndmask_b32_e64 v33, 0, 1, vcc
	v_lshrrev_b64 v[30:31], v33, v[30:31]
; %bb.9331:                             ;   in Loop: Header=BB6_8948 Depth=3
	s_andn2_saveexec_b64 s[28:29], s[28:29]
; %bb.9332:                             ;   in Loop: Header=BB6_8948 Depth=3
	v_bfe_u32 v32, v30, 23, 1
; %bb.9333:                             ;   in Loop: Header=BB6_8948 Depth=3
	s_or_b64 exec, exec, s[28:29]
	v_lshrrev_b64 v[30:31], 21, v[30:31]
	v_cmp_gt_i32_e32 vcc, 32, v32
	v_cndmask_b32_e32 v31, 0, v31, vcc
	v_cndmask_b32_e32 v30, 3, v30, vcc
	v_cmp_eq_u64_e64 s[28:29], 0, v[30:31]
	v_min_i32_e32 v31, 31, v32
	v_lshlrev_b32_e32 v31, 2, v31
	v_cmp_eq_u32_e32 vcc, 0, v32
	v_and_b32_e32 v31, 0xfc, v31
	v_and_or_b32 v30, v30, 3, v31
	s_and_b64 s[28:29], vcc, s[28:29]
	v_cndmask_b32_e64 v30, v30, 0, s[28:29]
	v_or_b32_e32 v0, v30, v0
	buffer_store_dword v0, off, s[0:3], s33 offset:168 ; 4-byte Folded Spill
.LBB6_9334:                             ;   in Loop: Header=BB6_8948 Depth=3
	s_or_b64 exec, exec, s[36:37]
                                        ; implicit-def: $vgpr0
.LBB6_9335:                             ;   in Loop: Header=BB6_8948 Depth=3
	s_andn2_saveexec_b64 s[28:29], s[34:35]
	s_cbranch_execz .LBB6_9337
; %bb.9336:                             ;   in Loop: Header=BB6_8948 Depth=3
	v_or_b32_e32 v0, 0x7b, v0
	buffer_store_dword v0, off, s[0:3], s33 offset:168 ; 4-byte Folded Spill
.LBB6_9337:                             ;   in Loop: Header=BB6_8948 Depth=3
	s_or_b64 exec, exec, s[28:29]
                                        ; implicit-def: $vgpr32
                                        ; implicit-def: $vgpr30_vgpr31
.LBB6_9338:                             ;   in Loop: Header=BB6_8948 Depth=3
	s_andn2_saveexec_b64 s[28:29], s[30:31]
	s_cbranch_execz .LBB6_9344
; %bb.9339:                             ;   in Loop: Header=BB6_8948 Depth=3
	v_cmp_ne_u64_e32 vcc, 0, v[30:31]
                                        ; implicit-def: $vgpr0
                                        ; kill: killed $vgpr0
	s_and_saveexec_b64 s[30:31], vcc
	s_xor_b64 vcc, exec, s[30:31]
	s_cbranch_execz .LBB6_9341
; %bb.9340:                             ;   in Loop: Header=BB6_8948 Depth=3
	v_or_b32_sdwa v0, v32, s83 dst_sel:DWORD dst_unused:UNUSED_PAD src0_sel:BYTE_3 src1_sel:DWORD
	buffer_store_dword v0, off, s[0:3], s33 offset:168 ; 4-byte Folded Spill
                                        ; implicit-def: $vgpr32
.LBB6_9341:                             ;   in Loop: Header=BB6_8948 Depth=3
	s_andn2_saveexec_b64 s[30:31], vcc
	s_cbranch_execz .LBB6_9343
; %bb.9342:                             ;   in Loop: Header=BB6_8948 Depth=3
	v_cmp_lt_i32_e32 vcc, -1, v32
	v_bfrev_b32_e32 v0, 0.5
	v_mov_b32_e32 v30, 0x7c
	v_cndmask_b32_e32 v0, v0, v30, vcc
	buffer_store_dword v0, off, s[0:3], s33 offset:168 ; 4-byte Folded Spill
.LBB6_9343:                             ;   in Loop: Header=BB6_8948 Depth=3
	s_or_b64 exec, exec, s[30:31]
.LBB6_9344:                             ;   in Loop: Header=BB6_8948 Depth=3
	s_or_b64 exec, exec, s[28:29]
	v_cmp_lt_u32_e32 vcc, s57, v50
	v_mov_b32_e32 v30, 0
	v_mov_b32_e32 v31, 0
	s_and_saveexec_b64 s[28:29], vcc
	s_cbranch_execz .LBB6_9352
; %bb.9345:                             ;   in Loop: Header=BB6_8948 Depth=3
	v_lshrrev_b32_e32 v0, 24, v50
	v_cmp_ne_u32_e32 vcc, s44, v0
	v_bfrev_b32_e32 v31, 1
	s_and_saveexec_b64 s[30:31], vcc
	s_cbranch_execz .LBB6_9351
; %bb.9346:                             ;   in Loop: Header=BB6_8948 Depth=3
	v_and_b32_e32 v31, 0x7c000000, v50
	v_bfe_u32 v32, v50, 24, 2
	v_cmp_ne_u32_e32 vcc, s8, v31
                                        ; implicit-def: $vgpr31
	s_and_saveexec_b64 s[34:35], vcc
	s_xor_b64 s[34:35], exec, s[34:35]
	s_cbranch_execz .LBB6_9348
; %bb.9347:                             ;   in Loop: Header=BB6_8948 Depth=3
	v_ffbh_u32_e32 v33, v32
	v_min_u32_e32 v33, 32, v33
	v_subrev_u32_e32 v35, 29, v33
	v_lshlrev_b64 v[35:36], v35, v[0:1]
	v_bfe_u32 v31, v50, 26, 5
	v_sub_u32_e32 v0, 30, v33
	v_and_b32_e32 v33, 3, v35
	v_cmp_eq_u32_e32 vcc, 0, v31
	v_cndmask_b32_e32 v0, v31, v0, vcc
	v_cndmask_b32_e32 v31, v32, v33, vcc
	v_and_b32_e32 v32, 0x80000000, v50
	v_lshl_add_u32 v0, v0, 23, v32
	v_lshl_or_b32 v0, v31, 21, v0
	v_add_u32_e32 v31, 0x38000000, v0
                                        ; implicit-def: $vgpr32
.LBB6_9348:                             ;   in Loop: Header=BB6_8948 Depth=3
	s_andn2_saveexec_b64 s[34:35], s[34:35]
; %bb.9349:                             ;   in Loop: Header=BB6_8948 Depth=3
	v_cmp_lt_i32_e32 vcc, -1, v50
	v_mov_b32_e32 v0, 0xff800000
	v_mov_b32_e32 v31, 0x7f800000
	v_cndmask_b32_e32 v0, v0, v31, vcc
	v_cmp_eq_u32_e32 vcc, 0, v32
	v_mov_b32_e32 v31, 0x7f800001
	v_cndmask_b32_e32 v31, v31, v0, vcc
; %bb.9350:                             ;   in Loop: Header=BB6_8948 Depth=3
	s_or_b64 exec, exec, s[34:35]
.LBB6_9351:                             ;   in Loop: Header=BB6_8948 Depth=3
	s_or_b64 exec, exec, s[30:31]
.LBB6_9352:                             ;   in Loop: Header=BB6_8948 Depth=3
	s_or_b64 exec, exec, s[28:29]
	v_cmp_lt_u32_e32 vcc, s57, v38
	s_and_saveexec_b64 s[28:29], vcc
	s_cbranch_execz .LBB6_9360
; %bb.9353:                             ;   in Loop: Header=BB6_8948 Depth=3
	v_lshrrev_b32_e32 v0, 24, v38
	v_cmp_ne_u32_e32 vcc, s44, v0
	v_bfrev_b32_e32 v30, 1
	s_and_saveexec_b64 s[30:31], vcc
	s_cbranch_execz .LBB6_9359
; %bb.9354:                             ;   in Loop: Header=BB6_8948 Depth=3
	v_and_b32_e32 v30, 0x7c000000, v38
	v_bfe_u32 v32, v38, 24, 2
	v_cmp_ne_u32_e32 vcc, s8, v30
                                        ; implicit-def: $vgpr30
	s_and_saveexec_b64 s[34:35], vcc
	s_xor_b64 s[34:35], exec, s[34:35]
	s_cbranch_execz .LBB6_9356
; %bb.9355:                             ;   in Loop: Header=BB6_8948 Depth=3
	v_ffbh_u32_e32 v33, v32
	v_min_u32_e32 v33, 32, v33
	v_subrev_u32_e32 v35, 29, v33
	v_lshlrev_b64 v[35:36], v35, v[0:1]
	v_bfe_u32 v30, v38, 26, 5
	v_sub_u32_e32 v0, 30, v33
	v_and_b32_e32 v33, 3, v35
	v_cmp_eq_u32_e32 vcc, 0, v30
	v_cndmask_b32_e32 v0, v30, v0, vcc
	v_cndmask_b32_e32 v30, v32, v33, vcc
	v_and_b32_e32 v32, 0x80000000, v38
	v_lshl_add_u32 v0, v0, 23, v32
	v_lshl_or_b32 v0, v30, 21, v0
	v_add_u32_e32 v30, 0x38000000, v0
                                        ; implicit-def: $vgpr32
.LBB6_9356:                             ;   in Loop: Header=BB6_8948 Depth=3
	s_andn2_saveexec_b64 s[34:35], s[34:35]
; %bb.9357:                             ;   in Loop: Header=BB6_8948 Depth=3
	v_cmp_lt_i32_e32 vcc, -1, v38
	v_mov_b32_e32 v0, 0xff800000
	v_mov_b32_e32 v30, 0x7f800000
	v_cndmask_b32_e32 v0, v0, v30, vcc
	v_cmp_eq_u32_e32 vcc, 0, v32
	v_mov_b32_e32 v30, 0x7f800001
	v_cndmask_b32_e32 v30, v30, v0, vcc
; %bb.9358:                             ;   in Loop: Header=BB6_8948 Depth=3
	s_or_b64 exec, exec, s[34:35]
.LBB6_9359:                             ;   in Loop: Header=BB6_8948 Depth=3
	s_or_b64 exec, exec, s[30:31]
.LBB6_9360:                             ;   in Loop: Header=BB6_8948 Depth=3
	s_or_b64 exec, exec, s[28:29]
	v_mul_f32_e32 v32, v31, v30
	v_and_b32_e32 v35, 0x7f800000, v32
	v_mov_b32_e32 v36, v34
	v_cmp_ne_u64_e32 vcc, s[76:77], v[35:36]
	v_and_b32_e32 v30, 0x7fffff, v32
	v_mov_b32_e32 v31, v34
                                        ; implicit-def: $vgpr0
                                        ; kill: killed $vgpr0
	s_and_saveexec_b64 s[28:29], vcc
	s_xor_b64 s[30:31], exec, s[28:29]
	s_cbranch_execz .LBB6_9374
; %bb.9361:                             ;   in Loop: Header=BB6_8948 Depth=3
	v_and_b32_e32 v35, 0x7fffffff, v32
	v_mov_b32_e32 v36, v34
	v_cmp_gt_u64_e32 vcc, s[78:79], v[35:36]
	v_and_b32_sdwa v0, v32, s44 dst_sel:DWORD dst_unused:UNUSED_PAD src0_sel:BYTE_3 src1_sel:DWORD
                                        ; implicit-def: $vgpr33
                                        ; kill: killed $vgpr33
	s_and_saveexec_b64 s[28:29], vcc
	s_xor_b64 s[34:35], exec, s[28:29]
	s_cbranch_execz .LBB6_9371
; %bb.9362:                             ;   in Loop: Header=BB6_8948 Depth=3
	v_mov_b32_e32 v33, 0
	v_cmp_ne_u32_e32 vcc, 0, v32
	buffer_store_dword v33, off, s[0:3], s33 offset:176 ; 4-byte Folded Spill
	s_and_saveexec_b64 s[36:37], vcc
	s_cbranch_execz .LBB6_9370
; %bb.9363:                             ;   in Loop: Header=BB6_8948 Depth=3
	v_bfe_u32 v33, v32, 23, 8
	v_cmp_gt_u32_e64 s[28:29], s45, v33
	v_sub_u32_e32 v32, 0x71, v33
	v_cmp_eq_u32_e32 vcc, 0, v33
	v_cndmask_b32_e64 v32, 0, v32, s[28:29]
	v_mov_b32_e32 v35, 0x70
	v_cndmask_b32_e32 v35, v32, v35, vcc
	v_or_b32_e32 v36, 0x800000, v30
	v_add_u32_e32 v32, 21, v35
	v_cndmask_b32_e32 v30, v36, v30, vcc
	v_lshlrev_b64 v[36:37], v32, -1
	v_add_u32_e32 v32, 20, v35
	v_bfi_b32 v36, v36, 0, v30
	v_lshlrev_b64 v[48:49], v32, 1
	v_lshrrev_b64 v[30:31], v35, v[30:31]
	v_bfi_b32 v37, v37, 0, 0
	v_cmp_eq_u64_e64 s[28:29], v[36:37], v[48:49]
	v_mov_b32_e32 v32, v31
	v_mov_b32_e32 v31, v30
	s_and_saveexec_b64 s[38:39], s[28:29]
; %bb.9364:                             ;   in Loop: Header=BB6_8948 Depth=3
	v_bfe_u32 v31, v30, 21, 1
	v_add_co_u32_e64 v31, s[28:29], v30, v31
	v_add_co_u32_e64 v31, s[28:29], -1, v31
; %bb.9365:                             ;   in Loop: Header=BB6_8948 Depth=3
	s_or_b64 exec, exec, s[38:39]
	v_add_u32_e32 v32, 0xffffff81, v33
	v_mov_b32_e32 v33, 0xffffff82
	v_cndmask_b32_e32 v32, v32, v33, vcc
	v_lshrrev_b32_e32 v33, 23, v30
	v_add3_u32 v35, v35, v32, v33
	v_add_u32_e32 v33, 14, v35
	v_and_b32_e32 v31, 0x1fffff, v31
	v_add_u32_e32 v30, v31, v30
	v_mov_b32_e32 v31, v34
	v_cmp_ne_u32_e32 vcc, 0, v33
                                        ; implicit-def: $vgpr32
	s_and_saveexec_b64 s[28:29], vcc
	s_xor_b64 s[28:29], exec, s[28:29]
; %bb.9366:                             ;   in Loop: Header=BB6_8948 Depth=3
	v_cmp_lt_u64_e32 vcc, s[88:89], v[30:31]
	v_add_u32_e32 v32, 15, v35
	v_cndmask_b32_e32 v32, v33, v32, vcc
	v_cndmask_b32_e64 v33, 0, 1, vcc
	v_lshrrev_b64 v[30:31], v33, v[30:31]
; %bb.9367:                             ;   in Loop: Header=BB6_8948 Depth=3
	s_andn2_saveexec_b64 s[28:29], s[28:29]
; %bb.9368:                             ;   in Loop: Header=BB6_8948 Depth=3
	v_bfe_u32 v32, v30, 23, 1
; %bb.9369:                             ;   in Loop: Header=BB6_8948 Depth=3
	s_or_b64 exec, exec, s[28:29]
	v_lshrrev_b64 v[30:31], 21, v[30:31]
	v_cmp_gt_i32_e32 vcc, 32, v32
	v_cndmask_b32_e32 v31, 0, v31, vcc
	v_cndmask_b32_e32 v30, 3, v30, vcc
	v_cmp_eq_u64_e64 s[28:29], 0, v[30:31]
	v_min_i32_e32 v31, 31, v32
	v_lshlrev_b32_e32 v31, 2, v31
	v_cmp_eq_u32_e32 vcc, 0, v32
	v_and_b32_e32 v31, 0xfc, v31
	v_and_or_b32 v30, v30, 3, v31
	s_and_b64 s[28:29], vcc, s[28:29]
	v_cndmask_b32_e64 v30, v30, 0, s[28:29]
	v_or_b32_e32 v0, v30, v0
	buffer_store_dword v0, off, s[0:3], s33 offset:176 ; 4-byte Folded Spill
.LBB6_9370:                             ;   in Loop: Header=BB6_8948 Depth=3
	s_or_b64 exec, exec, s[36:37]
                                        ; implicit-def: $vgpr0
.LBB6_9371:                             ;   in Loop: Header=BB6_8948 Depth=3
	s_andn2_saveexec_b64 s[28:29], s[34:35]
	s_cbranch_execz .LBB6_9373
; %bb.9372:                             ;   in Loop: Header=BB6_8948 Depth=3
	v_or_b32_e32 v0, 0x7b, v0
	buffer_store_dword v0, off, s[0:3], s33 offset:176 ; 4-byte Folded Spill
.LBB6_9373:                             ;   in Loop: Header=BB6_8948 Depth=3
	s_or_b64 exec, exec, s[28:29]
                                        ; implicit-def: $vgpr32
                                        ; implicit-def: $vgpr30_vgpr31
.LBB6_9374:                             ;   in Loop: Header=BB6_8948 Depth=3
	s_andn2_saveexec_b64 s[28:29], s[30:31]
	s_cbranch_execz .LBB6_9380
; %bb.9375:                             ;   in Loop: Header=BB6_8948 Depth=3
	v_cmp_ne_u64_e32 vcc, 0, v[30:31]
                                        ; implicit-def: $vgpr0
                                        ; kill: killed $vgpr0
	s_and_saveexec_b64 s[30:31], vcc
	s_xor_b64 vcc, exec, s[30:31]
	s_cbranch_execz .LBB6_9377
; %bb.9376:                             ;   in Loop: Header=BB6_8948 Depth=3
	v_or_b32_sdwa v0, v32, s83 dst_sel:DWORD dst_unused:UNUSED_PAD src0_sel:BYTE_3 src1_sel:DWORD
	buffer_store_dword v0, off, s[0:3], s33 offset:176 ; 4-byte Folded Spill
                                        ; implicit-def: $vgpr32
.LBB6_9377:                             ;   in Loop: Header=BB6_8948 Depth=3
	s_andn2_saveexec_b64 s[30:31], vcc
	s_cbranch_execz .LBB6_9379
; %bb.9378:                             ;   in Loop: Header=BB6_8948 Depth=3
	v_cmp_lt_i32_e32 vcc, -1, v32
	v_bfrev_b32_e32 v0, 0.5
	v_mov_b32_e32 v30, 0x7c
	v_cndmask_b32_e32 v0, v0, v30, vcc
	buffer_store_dword v0, off, s[0:3], s33 offset:176 ; 4-byte Folded Spill
.LBB6_9379:                             ;   in Loop: Header=BB6_8948 Depth=3
	s_or_b64 exec, exec, s[30:31]
.LBB6_9380:                             ;   in Loop: Header=BB6_8948 Depth=3
	s_or_b64 exec, exec, s[28:29]
	v_mov_b32_e32 v30, v51
	v_mov_b32_e32 v31, v34
	v_cmp_ne_u16_sdwa vcc, v51, v34 src0_sel:BYTE_0 src1_sel:DWORD
	v_mov_b32_e32 v32, 0
	v_mov_b32_e32 v0, 0
	s_and_saveexec_b64 s[28:29], vcc
	s_cbranch_execz .LBB6_9388
; %bb.9381:                             ;   in Loop: Header=BB6_8948 Depth=3
	v_cmp_ne_u16_sdwa vcc, v51, s44 src0_sel:BYTE_0 src1_sel:DWORD
	v_bfrev_b32_e32 v0, 1
	s_and_saveexec_b64 s[30:31], vcc
	s_cbranch_execz .LBB6_9387
; %bb.9382:                             ;   in Loop: Header=BB6_8948 Depth=3
	v_and_b32_e32 v0, 0x7c, v51
	v_and_b32_e32 v33, 3, v51
	v_cmp_ne_u32_e32 vcc, s81, v0
                                        ; implicit-def: $vgpr0
	s_and_saveexec_b64 s[34:35], vcc
	s_xor_b64 s[34:35], exec, s[34:35]
	s_cbranch_execz .LBB6_9384
; %bb.9383:                             ;   in Loop: Header=BB6_8948 Depth=3
	v_ffbh_u32_e32 v35, v33
	v_min_u32_e32 v37, 32, v35
	v_subrev_u32_e32 v35, 29, v37
	v_lshlrev_b64 v[35:36], v35, v[30:31]
	v_bfe_u32 v0, v51, 2, 5
	v_sub_u32_e32 v31, 30, v37
	v_and_b32_e32 v35, 3, v35
	v_cmp_eq_u32_e32 vcc, 0, v0
	v_cndmask_b32_e32 v0, v0, v31, vcc
	v_cndmask_b32_e32 v31, v33, v35, vcc
	v_lshlrev_b32_e32 v33, 24, v51
	v_and_b32_e32 v33, 0x80000000, v33
	v_lshl_add_u32 v0, v0, 23, v33
	v_lshl_or_b32 v0, v31, 21, v0
	v_add_u32_e32 v0, 0x38000000, v0
                                        ; implicit-def: $vgpr33
.LBB6_9384:                             ;   in Loop: Header=BB6_8948 Depth=3
	s_andn2_saveexec_b64 s[34:35], s[34:35]
; %bb.9385:                             ;   in Loop: Header=BB6_8948 Depth=3
	v_mov_b32_e32 v0, -1
	v_cmp_gt_i16_sdwa vcc, sext(v51), v0 src0_sel:BYTE_0 src1_sel:DWORD
	v_mov_b32_e32 v0, 0xff800000
	v_mov_b32_e32 v31, 0x7f800000
	v_cndmask_b32_e32 v0, v0, v31, vcc
	v_cmp_eq_u32_e32 vcc, 0, v33
	v_mov_b32_e32 v31, 0x7f800001
	v_cndmask_b32_e32 v0, v31, v0, vcc
; %bb.9386:                             ;   in Loop: Header=BB6_8948 Depth=3
	s_or_b64 exec, exec, s[34:35]
.LBB6_9387:                             ;   in Loop: Header=BB6_8948 Depth=3
	s_or_b64 exec, exec, s[30:31]
.LBB6_9388:                             ;   in Loop: Header=BB6_8948 Depth=3
	s_or_b64 exec, exec, s[28:29]
	v_cmp_ne_u16_sdwa vcc, v39, v34 src0_sel:BYTE_0 src1_sel:DWORD
	s_and_saveexec_b64 s[28:29], vcc
	s_cbranch_execz .LBB6_9396
; %bb.9389:                             ;   in Loop: Header=BB6_8948 Depth=3
	v_cmp_ne_u16_sdwa vcc, v39, s44 src0_sel:BYTE_0 src1_sel:DWORD
	v_bfrev_b32_e32 v32, 1
	s_and_saveexec_b64 s[30:31], vcc
	s_cbranch_execz .LBB6_9395
; %bb.9390:                             ;   in Loop: Header=BB6_8948 Depth=3
	v_and_b32_e32 v32, 0x7c, v39
	v_and_b32_e32 v31, 3, v39
	v_cmp_ne_u32_e32 vcc, s81, v32
                                        ; implicit-def: $vgpr32
	s_and_saveexec_b64 s[34:35], vcc
	s_xor_b64 s[34:35], exec, s[34:35]
	s_cbranch_execz .LBB6_9392
; %bb.9391:                             ;   in Loop: Header=BB6_8948 Depth=3
	v_ffbh_u32_e32 v36, v31
	v_min_u32_e32 v36, 32, v36
	v_mov_b32_e32 v32, v39
	v_mov_b32_e32 v33, v34
	v_subrev_u32_e32 v37, 29, v36
	v_lshlrev_b64 v[32:33], v37, v[32:33]
	v_bfe_u32 v35, v39, 2, 5
	v_and_b32_e32 v32, 3, v32
	v_cmp_eq_u32_e32 vcc, 0, v35
	v_sub_u32_e32 v33, 30, v36
	v_cndmask_b32_e32 v31, v31, v32, vcc
	v_lshlrev_b32_e32 v32, 24, v39
	v_cndmask_b32_e32 v33, v35, v33, vcc
	v_and_b32_e32 v32, 0x80000000, v32
	v_lshl_add_u32 v32, v33, 23, v32
	v_lshl_or_b32 v31, v31, 21, v32
	v_add_u32_e32 v32, 0x38000000, v31
                                        ; implicit-def: $vgpr31
.LBB6_9392:                             ;   in Loop: Header=BB6_8948 Depth=3
	s_andn2_saveexec_b64 s[34:35], s[34:35]
; %bb.9393:                             ;   in Loop: Header=BB6_8948 Depth=3
	v_mov_b32_e32 v32, -1
	v_cmp_gt_i16_sdwa vcc, sext(v39), v32 src0_sel:BYTE_0 src1_sel:DWORD
	v_mov_b32_e32 v32, 0xff800000
	v_mov_b32_e32 v33, 0x7f800000
	v_cndmask_b32_e32 v32, v32, v33, vcc
	v_cmp_eq_u32_e32 vcc, 0, v31
	v_mov_b32_e32 v31, 0x7f800001
	v_cndmask_b32_e32 v32, v31, v32, vcc
; %bb.9394:                             ;   in Loop: Header=BB6_8948 Depth=3
	s_or_b64 exec, exec, s[34:35]
.LBB6_9395:                             ;   in Loop: Header=BB6_8948 Depth=3
	s_or_b64 exec, exec, s[30:31]
.LBB6_9396:                             ;   in Loop: Header=BB6_8948 Depth=3
	s_or_b64 exec, exec, s[28:29]
	v_mul_f32_e32 v33, v0, v32
	v_and_b32_e32 v35, 0x7f800000, v33
	v_mov_b32_e32 v36, v34
	v_cmp_ne_u64_e32 vcc, s[76:77], v[35:36]
	v_and_b32_e32 v31, 0x7fffff, v33
	v_mov_b32_e32 v32, v34
                                        ; implicit-def: $vgpr0
                                        ; kill: killed $vgpr0
	s_and_saveexec_b64 s[28:29], vcc
	s_xor_b64 s[30:31], exec, s[28:29]
	s_cbranch_execz .LBB6_9410
; %bb.9397:                             ;   in Loop: Header=BB6_8948 Depth=3
	v_and_b32_e32 v35, 0x7fffffff, v33
	v_mov_b32_e32 v36, v34
	v_cmp_gt_u64_e32 vcc, s[78:79], v[35:36]
	v_and_b32_sdwa v0, v33, s44 dst_sel:DWORD dst_unused:UNUSED_PAD src0_sel:BYTE_3 src1_sel:DWORD
                                        ; implicit-def: $vgpr35
                                        ; kill: killed $vgpr35
	s_and_saveexec_b64 s[28:29], vcc
	s_xor_b64 s[34:35], exec, s[28:29]
	s_cbranch_execz .LBB6_9407
; %bb.9398:                             ;   in Loop: Header=BB6_8948 Depth=3
	v_mov_b32_e32 v35, 0
	v_cmp_ne_u32_e32 vcc, 0, v33
	buffer_store_dword v35, off, s[0:3], s33 offset:184 ; 4-byte Folded Spill
	s_and_saveexec_b64 s[36:37], vcc
	s_cbranch_execz .LBB6_9406
; %bb.9399:                             ;   in Loop: Header=BB6_8948 Depth=3
	v_bfe_u32 v35, v33, 23, 8
	v_cmp_gt_u32_e64 s[28:29], s45, v35
	v_sub_u32_e32 v33, 0x71, v35
	v_cmp_eq_u32_e32 vcc, 0, v35
	v_cndmask_b32_e64 v33, 0, v33, s[28:29]
	v_mov_b32_e32 v36, 0x70
	v_cndmask_b32_e32 v36, v33, v36, vcc
	v_add_u32_e32 v33, 21, v36
	v_or_b32_e32 v37, 0x800000, v31
	v_lshlrev_b64 v[48:49], v33, -1
	v_cndmask_b32_e32 v31, v37, v31, vcc
	v_add_u32_e32 v33, 20, v36
	v_bfi_b32 v48, v48, 0, v31
	v_lshlrev_b64 v[54:55], v33, 1
	v_lshrrev_b64 v[31:32], v36, v[31:32]
	v_bfi_b32 v49, v49, 0, 0
	v_cmp_eq_u64_e64 s[28:29], v[48:49], v[54:55]
	v_mov_b32_e32 v33, v32
	v_mov_b32_e32 v32, v31
	s_and_saveexec_b64 s[38:39], s[28:29]
; %bb.9400:                             ;   in Loop: Header=BB6_8948 Depth=3
	v_bfe_u32 v32, v31, 21, 1
	v_add_co_u32_e64 v32, s[28:29], v31, v32
	v_add_co_u32_e64 v32, s[28:29], -1, v32
; %bb.9401:                             ;   in Loop: Header=BB6_8948 Depth=3
	s_or_b64 exec, exec, s[38:39]
	v_add_u32_e32 v33, 0xffffff81, v35
	v_mov_b32_e32 v35, 0xffffff82
	v_cndmask_b32_e32 v33, v33, v35, vcc
	v_lshrrev_b32_e32 v35, 23, v31
	v_add3_u32 v36, v36, v33, v35
	v_add_u32_e32 v35, 14, v36
	v_and_b32_e32 v32, 0x1fffff, v32
	v_add_u32_e32 v31, v32, v31
	v_mov_b32_e32 v32, v34
	v_cmp_ne_u32_e32 vcc, 0, v35
                                        ; implicit-def: $vgpr33
	s_and_saveexec_b64 s[28:29], vcc
	s_xor_b64 s[28:29], exec, s[28:29]
; %bb.9402:                             ;   in Loop: Header=BB6_8948 Depth=3
	v_cmp_lt_u64_e32 vcc, s[88:89], v[31:32]
	v_add_u32_e32 v33, 15, v36
	v_cndmask_b32_e32 v33, v35, v33, vcc
	v_cndmask_b32_e64 v35, 0, 1, vcc
	v_lshrrev_b64 v[31:32], v35, v[31:32]
; %bb.9403:                             ;   in Loop: Header=BB6_8948 Depth=3
	s_andn2_saveexec_b64 s[28:29], s[28:29]
; %bb.9404:                             ;   in Loop: Header=BB6_8948 Depth=3
	v_bfe_u32 v33, v31, 23, 1
; %bb.9405:                             ;   in Loop: Header=BB6_8948 Depth=3
	s_or_b64 exec, exec, s[28:29]
	v_lshrrev_b64 v[31:32], 21, v[31:32]
	v_cmp_gt_i32_e32 vcc, 32, v33
	v_cndmask_b32_e32 v32, 0, v32, vcc
	v_cndmask_b32_e32 v31, 3, v31, vcc
	v_cmp_eq_u64_e64 s[28:29], 0, v[31:32]
	v_min_i32_e32 v32, 31, v33
	v_lshlrev_b32_e32 v32, 2, v32
	v_cmp_eq_u32_e32 vcc, 0, v33
	v_and_b32_e32 v32, 0xfc, v32
	v_and_or_b32 v31, v31, 3, v32
	s_and_b64 s[28:29], vcc, s[28:29]
	v_cndmask_b32_e64 v31, v31, 0, s[28:29]
	v_or_b32_e32 v0, v31, v0
	buffer_store_dword v0, off, s[0:3], s33 offset:184 ; 4-byte Folded Spill
.LBB6_9406:                             ;   in Loop: Header=BB6_8948 Depth=3
	s_or_b64 exec, exec, s[36:37]
                                        ; implicit-def: $vgpr0
.LBB6_9407:                             ;   in Loop: Header=BB6_8948 Depth=3
	s_andn2_saveexec_b64 s[28:29], s[34:35]
	s_cbranch_execz .LBB6_9409
; %bb.9408:                             ;   in Loop: Header=BB6_8948 Depth=3
	v_or_b32_e32 v0, 0x7b, v0
	buffer_store_dword v0, off, s[0:3], s33 offset:184 ; 4-byte Folded Spill
.LBB6_9409:                             ;   in Loop: Header=BB6_8948 Depth=3
	s_or_b64 exec, exec, s[28:29]
                                        ; implicit-def: $vgpr33
                                        ; implicit-def: $vgpr31_vgpr32
.LBB6_9410:                             ;   in Loop: Header=BB6_8948 Depth=3
	s_andn2_saveexec_b64 s[28:29], s[30:31]
	s_cbranch_execz .LBB6_9416
; %bb.9411:                             ;   in Loop: Header=BB6_8948 Depth=3
	v_cmp_ne_u64_e32 vcc, 0, v[31:32]
                                        ; implicit-def: $vgpr0
                                        ; kill: killed $vgpr0
	s_and_saveexec_b64 s[30:31], vcc
	s_xor_b64 vcc, exec, s[30:31]
	s_cbranch_execz .LBB6_9413
; %bb.9412:                             ;   in Loop: Header=BB6_8948 Depth=3
	v_or_b32_sdwa v0, v33, s83 dst_sel:DWORD dst_unused:UNUSED_PAD src0_sel:BYTE_3 src1_sel:DWORD
	buffer_store_dword v0, off, s[0:3], s33 offset:184 ; 4-byte Folded Spill
                                        ; implicit-def: $vgpr33
.LBB6_9413:                             ;   in Loop: Header=BB6_8948 Depth=3
	s_andn2_saveexec_b64 s[30:31], vcc
	s_cbranch_execz .LBB6_9415
; %bb.9414:                             ;   in Loop: Header=BB6_8948 Depth=3
	v_cmp_lt_i32_e32 vcc, -1, v33
	v_bfrev_b32_e32 v0, 0.5
	v_mov_b32_e32 v31, 0x7c
	v_cndmask_b32_e32 v0, v0, v31, vcc
	buffer_store_dword v0, off, s[0:3], s33 offset:184 ; 4-byte Folded Spill
.LBB6_9415:                             ;   in Loop: Header=BB6_8948 Depth=3
	s_or_b64 exec, exec, s[30:31]
.LBB6_9416:                             ;   in Loop: Header=BB6_8948 Depth=3
	s_or_b64 exec, exec, s[28:29]
	v_lshrrev_b16_e32 v31, 8, v30
	v_cmp_ne_u16_e32 vcc, 0, v31
	v_mov_b32_e32 v0, 0
	v_mov_b32_e32 v32, 0
	s_and_saveexec_b64 s[28:29], vcc
	s_cbranch_execz .LBB6_9424
; %bb.9417:                             ;   in Loop: Header=BB6_8948 Depth=3
	v_cmp_ne_u16_e32 vcc, s44, v31
	v_bfrev_b32_e32 v32, 1
	s_and_saveexec_b64 s[30:31], vcc
	s_cbranch_execz .LBB6_9423
; %bb.9418:                             ;   in Loop: Header=BB6_8948 Depth=3
	v_and_b32_e32 v32, 0x7c, v31
	v_and_b32_e32 v33, 3, v31
	v_cmp_ne_u32_e32 vcc, s81, v32
                                        ; implicit-def: $vgpr32
	s_and_saveexec_b64 s[34:35], vcc
	s_xor_b64 s[34:35], exec, s[34:35]
	s_cbranch_execz .LBB6_9420
; %bb.9419:                             ;   in Loop: Header=BB6_8948 Depth=3
	v_ffbh_u32_e32 v36, v33
	v_min_u32_e32 v36, 32, v36
	v_mov_b32_e32 v32, v34
	v_subrev_u32_e32 v37, 29, v36
	v_bfe_u32 v35, v31, 2, 5
	v_lshlrev_b64 v[31:32], v37, v[31:32]
	v_sub_u32_e32 v32, 30, v36
	v_cmp_eq_u32_e32 vcc, 0, v35
	v_lshlrev_b32_e32 v30, 16, v30
	v_and_b32_e32 v31, 3, v31
	v_cndmask_b32_e32 v32, v35, v32, vcc
	v_and_b32_e32 v30, 0x80000000, v30
	v_cndmask_b32_e32 v31, v33, v31, vcc
	v_lshl_add_u32 v30, v32, 23, v30
	v_lshl_or_b32 v30, v31, 21, v30
	v_add_u32_e32 v32, 0x38000000, v30
                                        ; implicit-def: $vgpr33
                                        ; implicit-def: $vgpr30_vgpr31
.LBB6_9420:                             ;   in Loop: Header=BB6_8948 Depth=3
	s_andn2_saveexec_b64 s[34:35], s[34:35]
; %bb.9421:                             ;   in Loop: Header=BB6_8948 Depth=3
	v_cmp_lt_i16_e32 vcc, -1, v30
	v_mov_b32_e32 v30, 0xff800000
	v_mov_b32_e32 v31, 0x7f800000
	v_cndmask_b32_e32 v30, v30, v31, vcc
	v_cmp_eq_u32_e32 vcc, 0, v33
	v_mov_b32_e32 v31, 0x7f800001
	v_cndmask_b32_e32 v32, v31, v30, vcc
; %bb.9422:                             ;   in Loop: Header=BB6_8948 Depth=3
	s_or_b64 exec, exec, s[34:35]
.LBB6_9423:                             ;   in Loop: Header=BB6_8948 Depth=3
	s_or_b64 exec, exec, s[30:31]
.LBB6_9424:                             ;   in Loop: Header=BB6_8948 Depth=3
	s_or_b64 exec, exec, s[28:29]
	v_lshrrev_b16_e32 v30, 8, v39
	v_cmp_ne_u16_e32 vcc, 0, v30
	s_and_saveexec_b64 s[28:29], vcc
	s_cbranch_execz .LBB6_9432
; %bb.9425:                             ;   in Loop: Header=BB6_8948 Depth=3
	v_cmp_ne_u16_e32 vcc, s44, v30
	v_bfrev_b32_e32 v0, 1
	s_and_saveexec_b64 s[30:31], vcc
	s_cbranch_execz .LBB6_9431
; %bb.9426:                             ;   in Loop: Header=BB6_8948 Depth=3
	v_and_b32_e32 v0, 0x7c, v30
	v_and_b32_e32 v33, 3, v30
	v_cmp_ne_u32_e32 vcc, s81, v0
                                        ; implicit-def: $vgpr0
	s_and_saveexec_b64 s[34:35], vcc
	s_xor_b64 s[34:35], exec, s[34:35]
	s_cbranch_execz .LBB6_9428
; %bb.9427:                             ;   in Loop: Header=BB6_8948 Depth=3
	v_ffbh_u32_e32 v35, v33
	v_min_u32_e32 v35, 32, v35
	v_mov_b32_e32 v31, v34
	v_subrev_u32_e32 v36, 29, v35
	v_bfe_u32 v0, v30, 2, 5
	v_lshlrev_b64 v[30:31], v36, v[30:31]
	v_sub_u32_e32 v31, 30, v35
	v_cmp_eq_u32_e32 vcc, 0, v0
	v_cndmask_b32_e32 v0, v0, v31, vcc
	v_lshlrev_b32_e32 v31, 16, v39
	v_and_b32_e32 v30, 3, v30
	v_and_b32_e32 v31, 0x80000000, v31
	v_cndmask_b32_e32 v30, v33, v30, vcc
	v_lshl_add_u32 v0, v0, 23, v31
	v_lshl_or_b32 v0, v30, 21, v0
	v_add_u32_e32 v0, 0x38000000, v0
                                        ; implicit-def: $vgpr33
.LBB6_9428:                             ;   in Loop: Header=BB6_8948 Depth=3
	s_andn2_saveexec_b64 s[34:35], s[34:35]
; %bb.9429:                             ;   in Loop: Header=BB6_8948 Depth=3
	v_cmp_lt_i16_e32 vcc, -1, v39
	v_mov_b32_e32 v0, 0xff800000
	v_mov_b32_e32 v30, 0x7f800000
	v_cndmask_b32_e32 v0, v0, v30, vcc
	v_cmp_eq_u32_e32 vcc, 0, v33
	v_mov_b32_e32 v30, 0x7f800001
	v_cndmask_b32_e32 v0, v30, v0, vcc
; %bb.9430:                             ;   in Loop: Header=BB6_8948 Depth=3
	s_or_b64 exec, exec, s[34:35]
.LBB6_9431:                             ;   in Loop: Header=BB6_8948 Depth=3
	s_or_b64 exec, exec, s[30:31]
.LBB6_9432:                             ;   in Loop: Header=BB6_8948 Depth=3
	s_or_b64 exec, exec, s[28:29]
	v_mul_f32_e32 v32, v32, v0
	v_and_b32_e32 v35, 0x7f800000, v32
	v_mov_b32_e32 v36, v34
	v_cmp_ne_u64_e32 vcc, s[76:77], v[35:36]
	v_and_b32_e32 v30, 0x7fffff, v32
	v_mov_b32_e32 v31, v34
                                        ; implicit-def: $vgpr0
                                        ; kill: killed $vgpr0
	s_and_saveexec_b64 s[28:29], vcc
	s_xor_b64 s[30:31], exec, s[28:29]
	s_cbranch_execz .LBB6_9446
; %bb.9433:                             ;   in Loop: Header=BB6_8948 Depth=3
	v_and_b32_e32 v35, 0x7fffffff, v32
	v_mov_b32_e32 v36, v34
	v_cmp_gt_u64_e32 vcc, s[78:79], v[35:36]
	v_and_b32_sdwa v0, v32, s44 dst_sel:DWORD dst_unused:UNUSED_PAD src0_sel:BYTE_3 src1_sel:DWORD
                                        ; implicit-def: $vgpr33
                                        ; kill: killed $vgpr33
	s_and_saveexec_b64 s[28:29], vcc
	s_xor_b64 s[34:35], exec, s[28:29]
	s_cbranch_execz .LBB6_9443
; %bb.9434:                             ;   in Loop: Header=BB6_8948 Depth=3
	v_mov_b32_e32 v33, 0
	v_cmp_ne_u32_e32 vcc, 0, v32
	buffer_store_dword v33, off, s[0:3], s33 offset:192 ; 4-byte Folded Spill
	s_and_saveexec_b64 s[36:37], vcc
	s_cbranch_execz .LBB6_9442
; %bb.9435:                             ;   in Loop: Header=BB6_8948 Depth=3
	v_bfe_u32 v33, v32, 23, 8
	v_cmp_gt_u32_e64 s[28:29], s45, v33
	v_sub_u32_e32 v32, 0x71, v33
	v_cmp_eq_u32_e32 vcc, 0, v33
	v_cndmask_b32_e64 v32, 0, v32, s[28:29]
	v_mov_b32_e32 v35, 0x70
	v_cndmask_b32_e32 v35, v32, v35, vcc
	v_or_b32_e32 v36, 0x800000, v30
	v_add_u32_e32 v32, 21, v35
	v_cndmask_b32_e32 v30, v36, v30, vcc
	v_lshlrev_b64 v[36:37], v32, -1
	v_add_u32_e32 v32, 20, v35
	v_bfi_b32 v36, v36, 0, v30
	v_lshlrev_b64 v[48:49], v32, 1
	v_lshrrev_b64 v[30:31], v35, v[30:31]
	v_bfi_b32 v37, v37, 0, 0
	v_cmp_eq_u64_e64 s[28:29], v[36:37], v[48:49]
	v_mov_b32_e32 v32, v31
	v_mov_b32_e32 v31, v30
	s_and_saveexec_b64 s[38:39], s[28:29]
; %bb.9436:                             ;   in Loop: Header=BB6_8948 Depth=3
	v_bfe_u32 v31, v30, 21, 1
	v_add_co_u32_e64 v31, s[28:29], v30, v31
	v_add_co_u32_e64 v31, s[28:29], -1, v31
; %bb.9437:                             ;   in Loop: Header=BB6_8948 Depth=3
	s_or_b64 exec, exec, s[38:39]
	v_add_u32_e32 v32, 0xffffff81, v33
	v_mov_b32_e32 v33, 0xffffff82
	v_cndmask_b32_e32 v32, v32, v33, vcc
	v_lshrrev_b32_e32 v33, 23, v30
	v_add3_u32 v35, v35, v32, v33
	v_add_u32_e32 v33, 14, v35
	v_and_b32_e32 v31, 0x1fffff, v31
	v_add_u32_e32 v30, v31, v30
	v_mov_b32_e32 v31, v34
	v_cmp_ne_u32_e32 vcc, 0, v33
                                        ; implicit-def: $vgpr32
	s_and_saveexec_b64 s[28:29], vcc
	s_xor_b64 s[28:29], exec, s[28:29]
; %bb.9438:                             ;   in Loop: Header=BB6_8948 Depth=3
	v_cmp_lt_u64_e32 vcc, s[88:89], v[30:31]
	v_add_u32_e32 v32, 15, v35
	v_cndmask_b32_e32 v32, v33, v32, vcc
	v_cndmask_b32_e64 v33, 0, 1, vcc
	v_lshrrev_b64 v[30:31], v33, v[30:31]
; %bb.9439:                             ;   in Loop: Header=BB6_8948 Depth=3
	s_andn2_saveexec_b64 s[28:29], s[28:29]
; %bb.9440:                             ;   in Loop: Header=BB6_8948 Depth=3
	v_bfe_u32 v32, v30, 23, 1
; %bb.9441:                             ;   in Loop: Header=BB6_8948 Depth=3
	s_or_b64 exec, exec, s[28:29]
	v_lshrrev_b64 v[30:31], 21, v[30:31]
	v_cmp_gt_i32_e32 vcc, 32, v32
	v_cndmask_b32_e32 v31, 0, v31, vcc
	v_cndmask_b32_e32 v30, 3, v30, vcc
	v_cmp_eq_u64_e64 s[28:29], 0, v[30:31]
	v_min_i32_e32 v31, 31, v32
	v_lshlrev_b32_e32 v31, 2, v31
	v_cmp_eq_u32_e32 vcc, 0, v32
	v_and_b32_e32 v31, 0xfc, v31
	v_and_or_b32 v30, v30, 3, v31
	s_and_b64 s[28:29], vcc, s[28:29]
	v_cndmask_b32_e64 v30, v30, 0, s[28:29]
	v_or_b32_e32 v0, v30, v0
	buffer_store_dword v0, off, s[0:3], s33 offset:192 ; 4-byte Folded Spill
.LBB6_9442:                             ;   in Loop: Header=BB6_8948 Depth=3
	s_or_b64 exec, exec, s[36:37]
                                        ; implicit-def: $vgpr0
.LBB6_9443:                             ;   in Loop: Header=BB6_8948 Depth=3
	s_andn2_saveexec_b64 s[28:29], s[34:35]
	s_cbranch_execz .LBB6_9445
; %bb.9444:                             ;   in Loop: Header=BB6_8948 Depth=3
	v_or_b32_e32 v0, 0x7b, v0
	buffer_store_dword v0, off, s[0:3], s33 offset:192 ; 4-byte Folded Spill
.LBB6_9445:                             ;   in Loop: Header=BB6_8948 Depth=3
	s_or_b64 exec, exec, s[28:29]
                                        ; implicit-def: $vgpr32
                                        ; implicit-def: $vgpr30_vgpr31
.LBB6_9446:                             ;   in Loop: Header=BB6_8948 Depth=3
	s_andn2_saveexec_b64 s[28:29], s[30:31]
	s_cbranch_execz .LBB6_9452
; %bb.9447:                             ;   in Loop: Header=BB6_8948 Depth=3
	v_cmp_ne_u64_e32 vcc, 0, v[30:31]
                                        ; implicit-def: $vgpr0
                                        ; kill: killed $vgpr0
	s_and_saveexec_b64 s[30:31], vcc
	s_xor_b64 vcc, exec, s[30:31]
	s_cbranch_execz .LBB6_9449
; %bb.9448:                             ;   in Loop: Header=BB6_8948 Depth=3
	v_or_b32_sdwa v0, v32, s83 dst_sel:DWORD dst_unused:UNUSED_PAD src0_sel:BYTE_3 src1_sel:DWORD
	buffer_store_dword v0, off, s[0:3], s33 offset:192 ; 4-byte Folded Spill
                                        ; implicit-def: $vgpr32
.LBB6_9449:                             ;   in Loop: Header=BB6_8948 Depth=3
	s_andn2_saveexec_b64 s[30:31], vcc
	s_cbranch_execz .LBB6_9451
; %bb.9450:                             ;   in Loop: Header=BB6_8948 Depth=3
	v_cmp_lt_i32_e32 vcc, -1, v32
	v_bfrev_b32_e32 v0, 0.5
	v_mov_b32_e32 v30, 0x7c
	v_cndmask_b32_e32 v0, v0, v30, vcc
	buffer_store_dword v0, off, s[0:3], s33 offset:192 ; 4-byte Folded Spill
.LBB6_9451:                             ;   in Loop: Header=BB6_8948 Depth=3
	s_or_b64 exec, exec, s[30:31]
.LBB6_9452:                             ;   in Loop: Header=BB6_8948 Depth=3
	s_or_b64 exec, exec, s[28:29]
	v_lshrrev_b32_e32 v0, 16, v51
	v_cmp_ne_u16_sdwa vcc, v0, v34 src0_sel:BYTE_0 src1_sel:DWORD
	v_mov_b32_e32 v30, 0
	v_mov_b32_e32 v31, 0
	s_and_saveexec_b64 s[28:29], vcc
	s_cbranch_execz .LBB6_9460
; %bb.9453:                             ;   in Loop: Header=BB6_8948 Depth=3
	v_cmp_ne_u16_sdwa vcc, v0, s44 src0_sel:BYTE_0 src1_sel:DWORD
	v_bfrev_b32_e32 v31, 1
	s_and_saveexec_b64 s[30:31], vcc
	s_cbranch_execz .LBB6_9459
; %bb.9454:                             ;   in Loop: Header=BB6_8948 Depth=3
	v_and_b32_e32 v31, 0x7c0000, v51
	v_bfe_u32 v32, v51, 16, 2
	v_cmp_ne_u32_e32 vcc, s9, v31
                                        ; implicit-def: $vgpr31
	s_and_saveexec_b64 s[34:35], vcc
	s_xor_b64 s[34:35], exec, s[34:35]
	s_cbranch_execz .LBB6_9456
; %bb.9455:                             ;   in Loop: Header=BB6_8948 Depth=3
	v_ffbh_u32_e32 v33, v32
	v_min_u32_e32 v33, 32, v33
	v_subrev_u32_e32 v35, 29, v33
	v_lshlrev_b64 v[35:36], v35, v[0:1]
	v_bfe_u32 v31, v51, 18, 5
	v_sub_u32_e32 v0, 30, v33
	v_and_b32_e32 v33, 3, v35
	v_cmp_eq_u32_e32 vcc, 0, v31
	v_cndmask_b32_e32 v0, v31, v0, vcc
	v_cndmask_b32_e32 v31, v32, v33, vcc
	v_lshlrev_b32_e32 v32, 8, v51
	v_and_b32_e32 v32, 0x80000000, v32
	v_lshl_add_u32 v0, v0, 23, v32
	v_lshl_or_b32 v0, v31, 21, v0
	v_add_u32_e32 v31, 0x38000000, v0
                                        ; implicit-def: $vgpr32
                                        ; implicit-def: $vgpr0
.LBB6_9456:                             ;   in Loop: Header=BB6_8948 Depth=3
	s_andn2_saveexec_b64 s[34:35], s[34:35]
; %bb.9457:                             ;   in Loop: Header=BB6_8948 Depth=3
	v_mov_b32_e32 v31, -1
	v_cmp_gt_i16_sdwa vcc, sext(v0), v31 src0_sel:BYTE_0 src1_sel:DWORD
	v_mov_b32_e32 v0, 0xff800000
	v_mov_b32_e32 v31, 0x7f800000
	v_cndmask_b32_e32 v0, v0, v31, vcc
	v_cmp_eq_u32_e32 vcc, 0, v32
	v_mov_b32_e32 v31, 0x7f800001
	v_cndmask_b32_e32 v31, v31, v0, vcc
; %bb.9458:                             ;   in Loop: Header=BB6_8948 Depth=3
	s_or_b64 exec, exec, s[34:35]
.LBB6_9459:                             ;   in Loop: Header=BB6_8948 Depth=3
	s_or_b64 exec, exec, s[30:31]
.LBB6_9460:                             ;   in Loop: Header=BB6_8948 Depth=3
	s_or_b64 exec, exec, s[28:29]
	v_lshrrev_b32_e32 v0, 16, v39
	v_cmp_ne_u16_sdwa vcc, v0, v34 src0_sel:BYTE_0 src1_sel:DWORD
	s_and_saveexec_b64 s[28:29], vcc
	s_cbranch_execz .LBB6_9468
; %bb.9461:                             ;   in Loop: Header=BB6_8948 Depth=3
	v_cmp_ne_u16_sdwa vcc, v0, s44 src0_sel:BYTE_0 src1_sel:DWORD
	v_bfrev_b32_e32 v30, 1
	s_and_saveexec_b64 s[30:31], vcc
	s_cbranch_execz .LBB6_9467
; %bb.9462:                             ;   in Loop: Header=BB6_8948 Depth=3
	v_and_b32_e32 v30, 0x7c0000, v39
	v_bfe_u32 v32, v39, 16, 2
	v_cmp_ne_u32_e32 vcc, s9, v30
                                        ; implicit-def: $vgpr30
	s_and_saveexec_b64 s[34:35], vcc
	s_xor_b64 s[34:35], exec, s[34:35]
	s_cbranch_execz .LBB6_9464
; %bb.9463:                             ;   in Loop: Header=BB6_8948 Depth=3
	v_ffbh_u32_e32 v33, v32
	v_min_u32_e32 v33, 32, v33
	v_subrev_u32_e32 v35, 29, v33
	v_lshlrev_b64 v[35:36], v35, v[0:1]
	v_bfe_u32 v30, v39, 18, 5
	v_sub_u32_e32 v0, 30, v33
	v_and_b32_e32 v33, 3, v35
	v_cmp_eq_u32_e32 vcc, 0, v30
	v_cndmask_b32_e32 v0, v30, v0, vcc
	v_cndmask_b32_e32 v30, v32, v33, vcc
	v_lshlrev_b32_e32 v32, 8, v39
	v_and_b32_e32 v32, 0x80000000, v32
	v_lshl_add_u32 v0, v0, 23, v32
	v_lshl_or_b32 v0, v30, 21, v0
	v_add_u32_e32 v30, 0x38000000, v0
                                        ; implicit-def: $vgpr32
                                        ; implicit-def: $vgpr0
.LBB6_9464:                             ;   in Loop: Header=BB6_8948 Depth=3
	s_andn2_saveexec_b64 s[34:35], s[34:35]
; %bb.9465:                             ;   in Loop: Header=BB6_8948 Depth=3
	v_mov_b32_e32 v30, -1
	v_cmp_gt_i16_sdwa vcc, sext(v0), v30 src0_sel:BYTE_0 src1_sel:DWORD
	v_mov_b32_e32 v0, 0xff800000
	v_mov_b32_e32 v30, 0x7f800000
	v_cndmask_b32_e32 v0, v0, v30, vcc
	v_cmp_eq_u32_e32 vcc, 0, v32
	v_mov_b32_e32 v30, 0x7f800001
	v_cndmask_b32_e32 v30, v30, v0, vcc
; %bb.9466:                             ;   in Loop: Header=BB6_8948 Depth=3
	s_or_b64 exec, exec, s[34:35]
.LBB6_9467:                             ;   in Loop: Header=BB6_8948 Depth=3
	s_or_b64 exec, exec, s[30:31]
.LBB6_9468:                             ;   in Loop: Header=BB6_8948 Depth=3
	s_or_b64 exec, exec, s[28:29]
	v_mul_f32_e32 v32, v31, v30
	v_and_b32_e32 v35, 0x7f800000, v32
	v_mov_b32_e32 v36, v34
	v_cmp_ne_u64_e32 vcc, s[76:77], v[35:36]
	v_and_b32_e32 v30, 0x7fffff, v32
	v_mov_b32_e32 v31, v34
                                        ; implicit-def: $vgpr0
                                        ; kill: killed $vgpr0
	s_and_saveexec_b64 s[28:29], vcc
	s_xor_b64 s[30:31], exec, s[28:29]
	s_cbranch_execz .LBB6_9482
; %bb.9469:                             ;   in Loop: Header=BB6_8948 Depth=3
	v_and_b32_e32 v35, 0x7fffffff, v32
	v_mov_b32_e32 v36, v34
	v_cmp_gt_u64_e32 vcc, s[78:79], v[35:36]
	v_and_b32_sdwa v0, v32, s44 dst_sel:DWORD dst_unused:UNUSED_PAD src0_sel:BYTE_3 src1_sel:DWORD
                                        ; implicit-def: $vgpr33
                                        ; kill: killed $vgpr33
	s_and_saveexec_b64 s[28:29], vcc
	s_xor_b64 s[34:35], exec, s[28:29]
	s_cbranch_execz .LBB6_9479
; %bb.9470:                             ;   in Loop: Header=BB6_8948 Depth=3
	v_mov_b32_e32 v33, 0
	v_cmp_ne_u32_e32 vcc, 0, v32
	buffer_store_dword v33, off, s[0:3], s33 offset:200 ; 4-byte Folded Spill
	s_and_saveexec_b64 s[36:37], vcc
	s_cbranch_execz .LBB6_9478
; %bb.9471:                             ;   in Loop: Header=BB6_8948 Depth=3
	v_bfe_u32 v33, v32, 23, 8
	v_cmp_gt_u32_e64 s[28:29], s45, v33
	v_sub_u32_e32 v32, 0x71, v33
	v_cmp_eq_u32_e32 vcc, 0, v33
	v_cndmask_b32_e64 v32, 0, v32, s[28:29]
	v_mov_b32_e32 v35, 0x70
	v_cndmask_b32_e32 v35, v32, v35, vcc
	v_or_b32_e32 v36, 0x800000, v30
	v_add_u32_e32 v32, 21, v35
	v_cndmask_b32_e32 v30, v36, v30, vcc
	v_lshlrev_b64 v[36:37], v32, -1
	v_add_u32_e32 v32, 20, v35
	v_bfi_b32 v36, v36, 0, v30
	v_lshlrev_b64 v[48:49], v32, 1
	v_lshrrev_b64 v[30:31], v35, v[30:31]
	v_bfi_b32 v37, v37, 0, 0
	v_cmp_eq_u64_e64 s[28:29], v[36:37], v[48:49]
	v_mov_b32_e32 v32, v31
	v_mov_b32_e32 v31, v30
	s_and_saveexec_b64 s[38:39], s[28:29]
; %bb.9472:                             ;   in Loop: Header=BB6_8948 Depth=3
	v_bfe_u32 v31, v30, 21, 1
	v_add_co_u32_e64 v31, s[28:29], v30, v31
	v_add_co_u32_e64 v31, s[28:29], -1, v31
; %bb.9473:                             ;   in Loop: Header=BB6_8948 Depth=3
	s_or_b64 exec, exec, s[38:39]
	v_add_u32_e32 v32, 0xffffff81, v33
	v_mov_b32_e32 v33, 0xffffff82
	v_cndmask_b32_e32 v32, v32, v33, vcc
	v_lshrrev_b32_e32 v33, 23, v30
	v_add3_u32 v35, v35, v32, v33
	v_add_u32_e32 v33, 14, v35
	v_and_b32_e32 v31, 0x1fffff, v31
	v_add_u32_e32 v30, v31, v30
	v_mov_b32_e32 v31, v34
	v_cmp_ne_u32_e32 vcc, 0, v33
                                        ; implicit-def: $vgpr32
	s_and_saveexec_b64 s[28:29], vcc
	s_xor_b64 s[28:29], exec, s[28:29]
; %bb.9474:                             ;   in Loop: Header=BB6_8948 Depth=3
	v_cmp_lt_u64_e32 vcc, s[88:89], v[30:31]
	v_add_u32_e32 v32, 15, v35
	v_cndmask_b32_e32 v32, v33, v32, vcc
	v_cndmask_b32_e64 v33, 0, 1, vcc
	v_lshrrev_b64 v[30:31], v33, v[30:31]
; %bb.9475:                             ;   in Loop: Header=BB6_8948 Depth=3
	s_andn2_saveexec_b64 s[28:29], s[28:29]
; %bb.9476:                             ;   in Loop: Header=BB6_8948 Depth=3
	v_bfe_u32 v32, v30, 23, 1
; %bb.9477:                             ;   in Loop: Header=BB6_8948 Depth=3
	s_or_b64 exec, exec, s[28:29]
	v_lshrrev_b64 v[30:31], 21, v[30:31]
	v_cmp_gt_i32_e32 vcc, 32, v32
	v_cndmask_b32_e32 v31, 0, v31, vcc
	v_cndmask_b32_e32 v30, 3, v30, vcc
	v_cmp_eq_u64_e64 s[28:29], 0, v[30:31]
	v_min_i32_e32 v31, 31, v32
	v_lshlrev_b32_e32 v31, 2, v31
	v_cmp_eq_u32_e32 vcc, 0, v32
	v_and_b32_e32 v31, 0xfc, v31
	v_and_or_b32 v30, v30, 3, v31
	s_and_b64 s[28:29], vcc, s[28:29]
	v_cndmask_b32_e64 v30, v30, 0, s[28:29]
	v_or_b32_e32 v0, v30, v0
	buffer_store_dword v0, off, s[0:3], s33 offset:200 ; 4-byte Folded Spill
.LBB6_9478:                             ;   in Loop: Header=BB6_8948 Depth=3
	s_or_b64 exec, exec, s[36:37]
                                        ; implicit-def: $vgpr0
.LBB6_9479:                             ;   in Loop: Header=BB6_8948 Depth=3
	s_andn2_saveexec_b64 s[28:29], s[34:35]
	s_cbranch_execz .LBB6_9481
; %bb.9480:                             ;   in Loop: Header=BB6_8948 Depth=3
	v_or_b32_e32 v0, 0x7b, v0
	buffer_store_dword v0, off, s[0:3], s33 offset:200 ; 4-byte Folded Spill
.LBB6_9481:                             ;   in Loop: Header=BB6_8948 Depth=3
	s_or_b64 exec, exec, s[28:29]
                                        ; implicit-def: $vgpr32
                                        ; implicit-def: $vgpr30_vgpr31
.LBB6_9482:                             ;   in Loop: Header=BB6_8948 Depth=3
	s_andn2_saveexec_b64 s[28:29], s[30:31]
	s_cbranch_execz .LBB6_9488
; %bb.9483:                             ;   in Loop: Header=BB6_8948 Depth=3
	v_cmp_ne_u64_e32 vcc, 0, v[30:31]
                                        ; implicit-def: $vgpr0
                                        ; kill: killed $vgpr0
	s_and_saveexec_b64 s[30:31], vcc
	s_xor_b64 vcc, exec, s[30:31]
	s_cbranch_execz .LBB6_9485
; %bb.9484:                             ;   in Loop: Header=BB6_8948 Depth=3
	v_or_b32_sdwa v0, v32, s83 dst_sel:DWORD dst_unused:UNUSED_PAD src0_sel:BYTE_3 src1_sel:DWORD
	buffer_store_dword v0, off, s[0:3], s33 offset:200 ; 4-byte Folded Spill
                                        ; implicit-def: $vgpr32
.LBB6_9485:                             ;   in Loop: Header=BB6_8948 Depth=3
	s_andn2_saveexec_b64 s[30:31], vcc
	s_cbranch_execz .LBB6_9487
; %bb.9486:                             ;   in Loop: Header=BB6_8948 Depth=3
	v_cmp_lt_i32_e32 vcc, -1, v32
	v_bfrev_b32_e32 v0, 0.5
	v_mov_b32_e32 v30, 0x7c
	v_cndmask_b32_e32 v0, v0, v30, vcc
	buffer_store_dword v0, off, s[0:3], s33 offset:200 ; 4-byte Folded Spill
.LBB6_9487:                             ;   in Loop: Header=BB6_8948 Depth=3
	s_or_b64 exec, exec, s[30:31]
.LBB6_9488:                             ;   in Loop: Header=BB6_8948 Depth=3
	s_or_b64 exec, exec, s[28:29]
	v_cmp_lt_u64_e32 vcc, s[56:57], v[50:51]
	v_mov_b32_e32 v30, 0
	v_mov_b32_e32 v31, 0
	s_and_saveexec_b64 s[28:29], vcc
	s_cbranch_execz .LBB6_9496
; %bb.9489:                             ;   in Loop: Header=BB6_8948 Depth=3
	v_lshrrev_b32_e32 v0, 24, v51
	v_cmp_ne_u32_e32 vcc, s44, v0
	v_bfrev_b32_e32 v31, 1
	s_and_saveexec_b64 s[30:31], vcc
	s_cbranch_execz .LBB6_9495
; %bb.9490:                             ;   in Loop: Header=BB6_8948 Depth=3
	v_and_b32_e32 v31, 0x7c000000, v51
	v_bfe_u32 v32, v51, 24, 2
	v_cmp_ne_u32_e32 vcc, s8, v31
                                        ; implicit-def: $vgpr31
	s_and_saveexec_b64 s[34:35], vcc
	s_xor_b64 s[34:35], exec, s[34:35]
	s_cbranch_execz .LBB6_9492
; %bb.9491:                             ;   in Loop: Header=BB6_8948 Depth=3
	v_ffbh_u32_e32 v33, v32
	v_min_u32_e32 v33, 32, v33
	v_subrev_u32_e32 v35, 29, v33
	v_lshlrev_b64 v[35:36], v35, v[0:1]
	v_bfe_u32 v31, v51, 26, 5
	v_sub_u32_e32 v0, 30, v33
	v_and_b32_e32 v33, 3, v35
	v_cmp_eq_u32_e32 vcc, 0, v31
	v_cndmask_b32_e32 v0, v31, v0, vcc
	v_cndmask_b32_e32 v31, v32, v33, vcc
	v_and_b32_e32 v32, 0x80000000, v51
	v_lshl_add_u32 v0, v0, 23, v32
	v_lshl_or_b32 v0, v31, 21, v0
	v_add_u32_e32 v31, 0x38000000, v0
                                        ; implicit-def: $vgpr32
                                        ; implicit-def: $vgpr50_vgpr51
.LBB6_9492:                             ;   in Loop: Header=BB6_8948 Depth=3
	s_andn2_saveexec_b64 s[34:35], s[34:35]
; %bb.9493:                             ;   in Loop: Header=BB6_8948 Depth=3
	v_cmp_lt_i64_e32 vcc, -1, v[50:51]
	v_mov_b32_e32 v0, 0xff800000
	v_mov_b32_e32 v31, 0x7f800000
	v_cndmask_b32_e32 v0, v0, v31, vcc
	v_cmp_eq_u32_e32 vcc, 0, v32
	v_mov_b32_e32 v31, 0x7f800001
	v_cndmask_b32_e32 v31, v31, v0, vcc
; %bb.9494:                             ;   in Loop: Header=BB6_8948 Depth=3
	s_or_b64 exec, exec, s[34:35]
.LBB6_9495:                             ;   in Loop: Header=BB6_8948 Depth=3
	s_or_b64 exec, exec, s[30:31]
.LBB6_9496:                             ;   in Loop: Header=BB6_8948 Depth=3
	s_or_b64 exec, exec, s[28:29]
	v_cmp_lt_u64_e32 vcc, s[56:57], v[38:39]
	s_and_saveexec_b64 s[28:29], vcc
	s_cbranch_execz .LBB6_9504
; %bb.9497:                             ;   in Loop: Header=BB6_8948 Depth=3
	v_lshrrev_b32_e32 v0, 24, v39
	v_cmp_ne_u32_e32 vcc, s44, v0
	v_bfrev_b32_e32 v30, 1
	s_and_saveexec_b64 s[30:31], vcc
	s_cbranch_execz .LBB6_9503
; %bb.9498:                             ;   in Loop: Header=BB6_8948 Depth=3
	v_and_b32_e32 v30, 0x7c000000, v39
	v_bfe_u32 v32, v39, 24, 2
	v_cmp_ne_u32_e32 vcc, s8, v30
                                        ; implicit-def: $vgpr30
	s_and_saveexec_b64 s[34:35], vcc
	s_xor_b64 s[34:35], exec, s[34:35]
	s_cbranch_execz .LBB6_9500
; %bb.9499:                             ;   in Loop: Header=BB6_8948 Depth=3
	v_ffbh_u32_e32 v33, v32
	v_min_u32_e32 v33, 32, v33
	v_subrev_u32_e32 v35, 29, v33
	v_lshlrev_b64 v[35:36], v35, v[0:1]
	v_bfe_u32 v30, v39, 26, 5
	v_sub_u32_e32 v0, 30, v33
	v_and_b32_e32 v33, 3, v35
	v_cmp_eq_u32_e32 vcc, 0, v30
	v_cndmask_b32_e32 v0, v30, v0, vcc
	v_cndmask_b32_e32 v30, v32, v33, vcc
	v_and_b32_e32 v32, 0x80000000, v39
	v_lshl_add_u32 v0, v0, 23, v32
	v_lshl_or_b32 v0, v30, 21, v0
	v_add_u32_e32 v30, 0x38000000, v0
                                        ; implicit-def: $vgpr32
                                        ; implicit-def: $vgpr38_vgpr39
.LBB6_9500:                             ;   in Loop: Header=BB6_8948 Depth=3
	s_andn2_saveexec_b64 s[34:35], s[34:35]
; %bb.9501:                             ;   in Loop: Header=BB6_8948 Depth=3
	v_cmp_lt_i64_e32 vcc, -1, v[38:39]
	v_mov_b32_e32 v0, 0xff800000
	v_mov_b32_e32 v30, 0x7f800000
	v_cndmask_b32_e32 v0, v0, v30, vcc
	v_cmp_eq_u32_e32 vcc, 0, v32
	v_mov_b32_e32 v30, 0x7f800001
	v_cndmask_b32_e32 v30, v30, v0, vcc
; %bb.9502:                             ;   in Loop: Header=BB6_8948 Depth=3
	s_or_b64 exec, exec, s[34:35]
.LBB6_9503:                             ;   in Loop: Header=BB6_8948 Depth=3
	s_or_b64 exec, exec, s[30:31]
.LBB6_9504:                             ;   in Loop: Header=BB6_8948 Depth=3
	s_or_b64 exec, exec, s[28:29]
	v_mul_f32_e32 v32, v31, v30
	v_and_b32_e32 v35, 0x7f800000, v32
	v_mov_b32_e32 v36, v34
	v_cmp_ne_u64_e32 vcc, s[76:77], v[35:36]
	v_and_b32_e32 v30, 0x7fffff, v32
	v_mov_b32_e32 v31, v34
                                        ; implicit-def: $vgpr0
                                        ; kill: killed $vgpr0
	s_and_saveexec_b64 s[28:29], vcc
	s_xor_b64 s[30:31], exec, s[28:29]
	s_cbranch_execz .LBB6_9518
; %bb.9505:                             ;   in Loop: Header=BB6_8948 Depth=3
	v_and_b32_e32 v35, 0x7fffffff, v32
	v_mov_b32_e32 v36, v34
	v_cmp_gt_u64_e32 vcc, s[78:79], v[35:36]
	v_and_b32_sdwa v0, v32, s44 dst_sel:DWORD dst_unused:UNUSED_PAD src0_sel:BYTE_3 src1_sel:DWORD
                                        ; implicit-def: $vgpr33
                                        ; kill: killed $vgpr33
	s_and_saveexec_b64 s[28:29], vcc
	s_xor_b64 s[34:35], exec, s[28:29]
	s_cbranch_execz .LBB6_9515
; %bb.9506:                             ;   in Loop: Header=BB6_8948 Depth=3
	v_mov_b32_e32 v33, 0
	v_cmp_ne_u32_e32 vcc, 0, v32
	buffer_store_dword v33, off, s[0:3], s33 offset:208 ; 4-byte Folded Spill
	s_and_saveexec_b64 s[36:37], vcc
	s_cbranch_execz .LBB6_9514
; %bb.9507:                             ;   in Loop: Header=BB6_8948 Depth=3
	v_bfe_u32 v33, v32, 23, 8
	v_cmp_gt_u32_e64 s[28:29], s45, v33
	v_sub_u32_e32 v32, 0x71, v33
	v_cmp_eq_u32_e32 vcc, 0, v33
	v_cndmask_b32_e64 v32, 0, v32, s[28:29]
	v_mov_b32_e32 v35, 0x70
	v_cndmask_b32_e32 v35, v32, v35, vcc
	v_or_b32_e32 v36, 0x800000, v30
	v_add_u32_e32 v32, 21, v35
	v_cndmask_b32_e32 v30, v36, v30, vcc
	v_lshlrev_b64 v[36:37], v32, -1
	v_add_u32_e32 v32, 20, v35
	v_bfi_b32 v36, v36, 0, v30
	v_lshlrev_b64 v[38:39], v32, 1
	v_lshrrev_b64 v[30:31], v35, v[30:31]
	v_bfi_b32 v37, v37, 0, 0
	v_cmp_eq_u64_e64 s[28:29], v[36:37], v[38:39]
	v_mov_b32_e32 v32, v31
	v_mov_b32_e32 v31, v30
	s_and_saveexec_b64 s[38:39], s[28:29]
; %bb.9508:                             ;   in Loop: Header=BB6_8948 Depth=3
	v_bfe_u32 v31, v30, 21, 1
	v_add_co_u32_e64 v31, s[28:29], v30, v31
	v_add_co_u32_e64 v31, s[28:29], -1, v31
; %bb.9509:                             ;   in Loop: Header=BB6_8948 Depth=3
	s_or_b64 exec, exec, s[38:39]
	v_add_u32_e32 v32, 0xffffff81, v33
	v_mov_b32_e32 v33, 0xffffff82
	v_cndmask_b32_e32 v32, v32, v33, vcc
	v_lshrrev_b32_e32 v33, 23, v30
	v_add3_u32 v35, v35, v32, v33
	v_add_u32_e32 v33, 14, v35
	v_and_b32_e32 v31, 0x1fffff, v31
	v_add_u32_e32 v30, v31, v30
	v_mov_b32_e32 v31, v34
	v_cmp_ne_u32_e32 vcc, 0, v33
                                        ; implicit-def: $vgpr32
	s_and_saveexec_b64 s[28:29], vcc
	s_xor_b64 s[28:29], exec, s[28:29]
; %bb.9510:                             ;   in Loop: Header=BB6_8948 Depth=3
	v_cmp_lt_u64_e32 vcc, s[88:89], v[30:31]
	v_add_u32_e32 v32, 15, v35
	v_cndmask_b32_e32 v32, v33, v32, vcc
	v_cndmask_b32_e64 v33, 0, 1, vcc
	v_lshrrev_b64 v[30:31], v33, v[30:31]
; %bb.9511:                             ;   in Loop: Header=BB6_8948 Depth=3
	s_andn2_saveexec_b64 s[28:29], s[28:29]
; %bb.9512:                             ;   in Loop: Header=BB6_8948 Depth=3
	v_bfe_u32 v32, v30, 23, 1
; %bb.9513:                             ;   in Loop: Header=BB6_8948 Depth=3
	s_or_b64 exec, exec, s[28:29]
	v_lshrrev_b64 v[30:31], 21, v[30:31]
	v_cmp_gt_i32_e32 vcc, 32, v32
	v_cndmask_b32_e32 v31, 0, v31, vcc
	v_cndmask_b32_e32 v30, 3, v30, vcc
	v_cmp_eq_u64_e64 s[28:29], 0, v[30:31]
	v_min_i32_e32 v31, 31, v32
	v_lshlrev_b32_e32 v31, 2, v31
	v_cmp_eq_u32_e32 vcc, 0, v32
	v_and_b32_e32 v31, 0xfc, v31
	v_and_or_b32 v30, v30, 3, v31
	s_and_b64 s[28:29], vcc, s[28:29]
	v_cndmask_b32_e64 v30, v30, 0, s[28:29]
	v_or_b32_e32 v0, v30, v0
	buffer_store_dword v0, off, s[0:3], s33 offset:208 ; 4-byte Folded Spill
.LBB6_9514:                             ;   in Loop: Header=BB6_8948 Depth=3
	s_or_b64 exec, exec, s[36:37]
                                        ; implicit-def: $vgpr0
.LBB6_9515:                             ;   in Loop: Header=BB6_8948 Depth=3
	s_andn2_saveexec_b64 s[28:29], s[34:35]
	s_cbranch_execz .LBB6_9517
; %bb.9516:                             ;   in Loop: Header=BB6_8948 Depth=3
	v_or_b32_e32 v0, 0x7b, v0
	buffer_store_dword v0, off, s[0:3], s33 offset:208 ; 4-byte Folded Spill
.LBB6_9517:                             ;   in Loop: Header=BB6_8948 Depth=3
	s_or_b64 exec, exec, s[28:29]
                                        ; implicit-def: $vgpr32
                                        ; implicit-def: $vgpr30_vgpr31
.LBB6_9518:                             ;   in Loop: Header=BB6_8948 Depth=3
	s_andn2_saveexec_b64 s[28:29], s[30:31]
	s_cbranch_execz .LBB6_9524
; %bb.9519:                             ;   in Loop: Header=BB6_8948 Depth=3
	v_cmp_ne_u64_e32 vcc, 0, v[30:31]
                                        ; implicit-def: $vgpr0
                                        ; kill: killed $vgpr0
	s_and_saveexec_b64 s[30:31], vcc
	s_xor_b64 vcc, exec, s[30:31]
	s_cbranch_execz .LBB6_9521
; %bb.9520:                             ;   in Loop: Header=BB6_8948 Depth=3
	v_or_b32_sdwa v0, v32, s83 dst_sel:DWORD dst_unused:UNUSED_PAD src0_sel:BYTE_3 src1_sel:DWORD
	buffer_store_dword v0, off, s[0:3], s33 offset:208 ; 4-byte Folded Spill
                                        ; implicit-def: $vgpr32
.LBB6_9521:                             ;   in Loop: Header=BB6_8948 Depth=3
	s_andn2_saveexec_b64 s[30:31], vcc
	s_cbranch_execz .LBB6_9523
; %bb.9522:                             ;   in Loop: Header=BB6_8948 Depth=3
	v_cmp_lt_i32_e32 vcc, -1, v32
	v_bfrev_b32_e32 v0, 0.5
	v_mov_b32_e32 v30, 0x7c
	v_cndmask_b32_e32 v0, v0, v30, vcc
	buffer_store_dword v0, off, s[0:3], s33 offset:208 ; 4-byte Folded Spill
.LBB6_9523:                             ;   in Loop: Header=BB6_8948 Depth=3
	s_or_b64 exec, exec, s[30:31]
.LBB6_9524:                             ;   in Loop: Header=BB6_8948 Depth=3
	s_or_b64 exec, exec, s[28:29]
	v_cmp_ne_u16_sdwa vcc, v26, v34 src0_sel:BYTE_0 src1_sel:DWORD
	v_mov_b32_e32 v0, 0
	v_mov_b32_e32 v30, 0
	s_and_saveexec_b64 s[28:29], vcc
	s_cbranch_execz .LBB6_9532
; %bb.9525:                             ;   in Loop: Header=BB6_8948 Depth=3
	v_cmp_ne_u16_sdwa vcc, sext(v26), s80 src0_sel:BYTE_0 src1_sel:DWORD
	v_bfrev_b32_e32 v30, 1
	s_and_saveexec_b64 s[30:31], vcc
	s_cbranch_execz .LBB6_9531
; %bb.9526:                             ;   in Loop: Header=BB6_8948 Depth=3
	v_and_b32_e32 v30, 0x7c, v26
	v_and_b32_e32 v31, 3, v26
	v_cmp_ne_u32_e32 vcc, s81, v30
                                        ; implicit-def: $vgpr30
	s_and_saveexec_b64 s[34:35], vcc
	s_xor_b64 s[34:35], exec, s[34:35]
	s_cbranch_execz .LBB6_9528
; %bb.9527:                             ;   in Loop: Header=BB6_8948 Depth=3
	v_ffbh_u32_e32 v32, v31
	v_min_u32_e32 v35, 32, v32
	v_subrev_u32_e32 v32, 29, v35
	v_lshlrev_b64 v[32:33], v32, v[26:27]
	v_bfe_u32 v30, v26, 2, 5
	v_and_b32_e32 v32, 3, v32
	v_cmp_eq_u32_e32 vcc, 0, v30
	v_sub_u32_e32 v33, 30, v35
	v_cndmask_b32_e32 v31, v31, v32, vcc
	v_lshlrev_b32_e32 v32, 24, v26
	v_cndmask_b32_e32 v30, v30, v33, vcc
	v_and_b32_e32 v32, 0x80000000, v32
	v_lshl_add_u32 v30, v30, 23, v32
	v_lshl_or_b32 v30, v31, 21, v30
	v_add_u32_e32 v30, 0x38000000, v30
                                        ; implicit-def: $vgpr31
.LBB6_9528:                             ;   in Loop: Header=BB6_8948 Depth=3
	s_andn2_saveexec_b64 s[34:35], s[34:35]
; %bb.9529:                             ;   in Loop: Header=BB6_8948 Depth=3
	v_mov_b32_e32 v30, -1
	v_cmp_gt_i16_sdwa vcc, sext(v26), v30 src0_sel:BYTE_0 src1_sel:DWORD
	v_mov_b32_e32 v30, 0xff800000
	v_mov_b32_e32 v32, 0x7f800000
	v_cndmask_b32_e32 v30, v30, v32, vcc
	v_cmp_eq_u32_e32 vcc, 0, v31
	v_mov_b32_e32 v31, 0x7f800001
	v_cndmask_b32_e32 v30, v31, v30, vcc
; %bb.9530:                             ;   in Loop: Header=BB6_8948 Depth=3
	s_or_b64 exec, exec, s[34:35]
.LBB6_9531:                             ;   in Loop: Header=BB6_8948 Depth=3
	s_or_b64 exec, exec, s[30:31]
.LBB6_9532:                             ;   in Loop: Header=BB6_8948 Depth=3
	s_or_b64 exec, exec, s[28:29]
	s_waitcnt vmcnt(2)
	v_cmp_ne_u16_sdwa vcc, v3, v34 src0_sel:BYTE_0 src1_sel:DWORD
	s_and_saveexec_b64 s[28:29], vcc
	s_cbranch_execz .LBB6_9540
; %bb.9533:                             ;   in Loop: Header=BB6_8948 Depth=3
	v_cmp_ne_u16_sdwa vcc, sext(v3), s80 src0_sel:BYTE_0 src1_sel:DWORD
	v_bfrev_b32_e32 v0, 1
	s_and_saveexec_b64 s[30:31], vcc
	s_cbranch_execz .LBB6_9539
; %bb.9534:                             ;   in Loop: Header=BB6_8948 Depth=3
	v_and_b32_e32 v0, 0x7c, v3
	v_and_b32_e32 v31, 3, v3
	v_cmp_ne_u32_e32 vcc, s81, v0
                                        ; implicit-def: $vgpr0
	s_and_saveexec_b64 s[34:35], vcc
	s_xor_b64 s[34:35], exec, s[34:35]
	s_cbranch_execz .LBB6_9536
; %bb.9535:                             ;   in Loop: Header=BB6_8948 Depth=3
	v_ffbh_u32_e32 v32, v31
	v_min_u32_e32 v35, 32, v32
	v_subrev_u32_e32 v32, 29, v35
	v_lshlrev_b64 v[32:33], v32, v[3:4]
	v_bfe_u32 v0, v3, 2, 5
	v_and_b32_e32 v32, 3, v32
	v_cmp_eq_u32_e32 vcc, 0, v0
	v_sub_u32_e32 v33, 30, v35
	v_cndmask_b32_e32 v31, v31, v32, vcc
	v_lshlrev_b32_e32 v32, 24, v3
	v_cndmask_b32_e32 v0, v0, v33, vcc
	v_and_b32_e32 v32, 0x80000000, v32
	v_lshl_add_u32 v0, v0, 23, v32
	v_lshl_or_b32 v0, v31, 21, v0
	v_add_u32_e32 v0, 0x38000000, v0
                                        ; implicit-def: $vgpr31
.LBB6_9536:                             ;   in Loop: Header=BB6_8948 Depth=3
	s_andn2_saveexec_b64 s[34:35], s[34:35]
; %bb.9537:                             ;   in Loop: Header=BB6_8948 Depth=3
	v_mov_b32_e32 v0, -1
	v_cmp_gt_i16_sdwa vcc, sext(v3), v0 src0_sel:BYTE_0 src1_sel:DWORD
	v_mov_b32_e32 v0, 0xff800000
	v_mov_b32_e32 v32, 0x7f800000
	v_cndmask_b32_e32 v0, v0, v32, vcc
	v_cmp_eq_u32_e32 vcc, 0, v31
	v_mov_b32_e32 v31, 0x7f800001
	v_cndmask_b32_e32 v0, v31, v0, vcc
; %bb.9538:                             ;   in Loop: Header=BB6_8948 Depth=3
	s_or_b64 exec, exec, s[34:35]
.LBB6_9539:                             ;   in Loop: Header=BB6_8948 Depth=3
	s_or_b64 exec, exec, s[30:31]
.LBB6_9540:                             ;   in Loop: Header=BB6_8948 Depth=3
	s_or_b64 exec, exec, s[28:29]
	v_mul_f32_e32 v32, v30, v0
	v_and_b32_e32 v35, 0x7f800000, v32
	v_mov_b32_e32 v36, v34
	v_cmp_ne_u64_e32 vcc, s[76:77], v[35:36]
	v_and_b32_e32 v30, 0x7fffff, v32
	v_mov_b32_e32 v31, v34
                                        ; implicit-def: $vgpr0
                                        ; kill: killed $vgpr0
	s_and_saveexec_b64 s[28:29], vcc
	s_xor_b64 s[30:31], exec, s[28:29]
	s_cbranch_execz .LBB6_9554
; %bb.9541:                             ;   in Loop: Header=BB6_8948 Depth=3
	v_and_b32_e32 v35, 0x7fffffff, v32
	v_mov_b32_e32 v36, v34
	v_cmp_gt_u64_e32 vcc, s[78:79], v[35:36]
	v_and_b32_sdwa v0, v32, s44 dst_sel:DWORD dst_unused:UNUSED_PAD src0_sel:BYTE_3 src1_sel:DWORD
                                        ; implicit-def: $vgpr33
                                        ; kill: killed $vgpr33
	s_and_saveexec_b64 s[28:29], vcc
	s_xor_b64 s[34:35], exec, s[28:29]
	s_cbranch_execz .LBB6_9551
; %bb.9542:                             ;   in Loop: Header=BB6_8948 Depth=3
	v_mov_b32_e32 v33, 0
	v_cmp_ne_u32_e32 vcc, 0, v32
	buffer_store_dword v33, off, s[0:3], s33 offset:216 ; 4-byte Folded Spill
	s_and_saveexec_b64 s[36:37], vcc
	s_cbranch_execz .LBB6_9550
; %bb.9543:                             ;   in Loop: Header=BB6_8948 Depth=3
	v_bfe_u32 v33, v32, 23, 8
	v_cmp_gt_u32_e64 s[28:29], s45, v33
	v_sub_u32_e32 v32, 0x71, v33
	v_cmp_eq_u32_e32 vcc, 0, v33
	v_cndmask_b32_e64 v32, 0, v32, s[28:29]
	v_mov_b32_e32 v35, 0x70
	v_cndmask_b32_e32 v35, v32, v35, vcc
	v_or_b32_e32 v36, 0x800000, v30
	v_add_u32_e32 v32, 21, v35
	v_cndmask_b32_e32 v30, v36, v30, vcc
	v_lshlrev_b64 v[36:37], v32, -1
	v_add_u32_e32 v32, 20, v35
	v_bfi_b32 v36, v36, 0, v30
	v_lshlrev_b64 v[38:39], v32, 1
	v_lshrrev_b64 v[30:31], v35, v[30:31]
	v_bfi_b32 v37, v37, 0, 0
	v_cmp_eq_u64_e64 s[28:29], v[36:37], v[38:39]
	v_mov_b32_e32 v32, v31
	v_mov_b32_e32 v31, v30
	s_and_saveexec_b64 s[38:39], s[28:29]
; %bb.9544:                             ;   in Loop: Header=BB6_8948 Depth=3
	v_bfe_u32 v31, v30, 21, 1
	v_add_co_u32_e64 v31, s[28:29], v30, v31
	v_add_co_u32_e64 v31, s[28:29], -1, v31
; %bb.9545:                             ;   in Loop: Header=BB6_8948 Depth=3
	s_or_b64 exec, exec, s[38:39]
	v_add_u32_e32 v32, 0xffffff81, v33
	v_mov_b32_e32 v33, 0xffffff82
	v_cndmask_b32_e32 v32, v32, v33, vcc
	v_lshrrev_b32_e32 v33, 23, v30
	v_add3_u32 v35, v35, v32, v33
	v_add_u32_e32 v33, 14, v35
	v_and_b32_e32 v31, 0x1fffff, v31
	v_add_u32_e32 v30, v31, v30
	v_mov_b32_e32 v31, v34
	v_cmp_ne_u32_e32 vcc, 0, v33
                                        ; implicit-def: $vgpr32
	s_and_saveexec_b64 s[28:29], vcc
	s_xor_b64 s[28:29], exec, s[28:29]
; %bb.9546:                             ;   in Loop: Header=BB6_8948 Depth=3
	v_cmp_lt_u64_e32 vcc, s[88:89], v[30:31]
	v_add_u32_e32 v32, 15, v35
	v_cndmask_b32_e32 v32, v33, v32, vcc
	v_cndmask_b32_e64 v33, 0, 1, vcc
	v_lshrrev_b64 v[30:31], v33, v[30:31]
; %bb.9547:                             ;   in Loop: Header=BB6_8948 Depth=3
	s_andn2_saveexec_b64 s[28:29], s[28:29]
; %bb.9548:                             ;   in Loop: Header=BB6_8948 Depth=3
	v_bfe_u32 v32, v30, 23, 1
; %bb.9549:                             ;   in Loop: Header=BB6_8948 Depth=3
	s_or_b64 exec, exec, s[28:29]
	v_lshrrev_b64 v[30:31], 21, v[30:31]
	v_cmp_gt_i32_e32 vcc, 32, v32
	v_cndmask_b32_e32 v31, 0, v31, vcc
	v_cndmask_b32_e32 v30, 3, v30, vcc
	v_cmp_eq_u64_e64 s[28:29], 0, v[30:31]
	v_min_i32_e32 v31, 31, v32
	v_lshlrev_b32_e32 v31, 2, v31
	v_cmp_eq_u32_e32 vcc, 0, v32
	v_and_b32_e32 v31, 0xfc, v31
	v_and_or_b32 v30, v30, 3, v31
	s_and_b64 s[28:29], vcc, s[28:29]
	v_cndmask_b32_e64 v30, v30, 0, s[28:29]
	v_or_b32_e32 v0, v30, v0
	buffer_store_dword v0, off, s[0:3], s33 offset:216 ; 4-byte Folded Spill
.LBB6_9550:                             ;   in Loop: Header=BB6_8948 Depth=3
	s_or_b64 exec, exec, s[36:37]
                                        ; implicit-def: $vgpr0
.LBB6_9551:                             ;   in Loop: Header=BB6_8948 Depth=3
	s_andn2_saveexec_b64 s[28:29], s[34:35]
	s_cbranch_execz .LBB6_9553
; %bb.9552:                             ;   in Loop: Header=BB6_8948 Depth=3
	v_or_b32_e32 v0, 0x7b, v0
	buffer_store_dword v0, off, s[0:3], s33 offset:216 ; 4-byte Folded Spill
.LBB6_9553:                             ;   in Loop: Header=BB6_8948 Depth=3
	s_or_b64 exec, exec, s[28:29]
                                        ; implicit-def: $vgpr32
                                        ; implicit-def: $vgpr30_vgpr31
.LBB6_9554:                             ;   in Loop: Header=BB6_8948 Depth=3
	s_andn2_saveexec_b64 s[28:29], s[30:31]
	s_cbranch_execz .LBB6_9560
; %bb.9555:                             ;   in Loop: Header=BB6_8948 Depth=3
	v_cmp_ne_u64_e32 vcc, 0, v[30:31]
                                        ; implicit-def: $vgpr0
                                        ; kill: killed $vgpr0
	s_and_saveexec_b64 s[30:31], vcc
	s_xor_b64 vcc, exec, s[30:31]
	s_cbranch_execz .LBB6_9557
; %bb.9556:                             ;   in Loop: Header=BB6_8948 Depth=3
	v_or_b32_sdwa v0, v32, s83 dst_sel:DWORD dst_unused:UNUSED_PAD src0_sel:BYTE_3 src1_sel:DWORD
	buffer_store_dword v0, off, s[0:3], s33 offset:216 ; 4-byte Folded Spill
                                        ; implicit-def: $vgpr32
.LBB6_9557:                             ;   in Loop: Header=BB6_8948 Depth=3
	s_andn2_saveexec_b64 s[30:31], vcc
	s_cbranch_execz .LBB6_9559
; %bb.9558:                             ;   in Loop: Header=BB6_8948 Depth=3
	v_cmp_lt_i32_e32 vcc, -1, v32
	v_bfrev_b32_e32 v0, 0.5
	v_mov_b32_e32 v30, 0x7c
	v_cndmask_b32_e32 v0, v0, v30, vcc
	buffer_store_dword v0, off, s[0:3], s33 offset:216 ; 4-byte Folded Spill
.LBB6_9559:                             ;   in Loop: Header=BB6_8948 Depth=3
	s_or_b64 exec, exec, s[30:31]
.LBB6_9560:                             ;   in Loop: Header=BB6_8948 Depth=3
	s_or_b64 exec, exec, s[28:29]
	v_lshrrev_b16_e32 v30, 8, v26
	v_cmp_ne_u16_e32 vcc, 0, v30
	v_mov_b32_e32 v0, 0
	v_mov_b32_e32 v32, 0
	s_and_saveexec_b64 s[28:29], vcc
	s_cbranch_execz .LBB6_9568
; %bb.9561:                             ;   in Loop: Header=BB6_8948 Depth=3
	v_cmp_ne_u16_e32 vcc, s44, v30
	v_bfrev_b32_e32 v32, 1
	s_and_saveexec_b64 s[30:31], vcc
	s_cbranch_execz .LBB6_9567
; %bb.9562:                             ;   in Loop: Header=BB6_8948 Depth=3
	v_and_b32_e32 v31, 0x7c, v30
	v_and_b32_e32 v33, 3, v30
	v_cmp_ne_u32_e32 vcc, s81, v31
                                        ; implicit-def: $vgpr32
	s_and_saveexec_b64 s[34:35], vcc
	s_xor_b64 s[34:35], exec, s[34:35]
	s_cbranch_execz .LBB6_9564
; %bb.9563:                             ;   in Loop: Header=BB6_8948 Depth=3
	v_ffbh_u32_e32 v35, v33
	v_min_u32_e32 v35, 32, v35
	v_mov_b32_e32 v31, v34
	v_subrev_u32_e32 v36, 29, v35
	v_bfe_u32 v32, v30, 2, 5
	v_lshlrev_b64 v[30:31], v36, v[30:31]
	v_sub_u32_e32 v31, 30, v35
	v_cmp_eq_u32_e32 vcc, 0, v32
	v_cndmask_b32_e32 v31, v32, v31, vcc
	v_lshlrev_b32_e32 v32, 16, v26
	v_and_b32_e32 v30, 3, v30
	v_and_b32_e32 v32, 0x80000000, v32
	v_cndmask_b32_e32 v30, v33, v30, vcc
	v_lshl_add_u32 v31, v31, 23, v32
	v_lshl_or_b32 v30, v30, 21, v31
	v_add_u32_e32 v32, 0x38000000, v30
                                        ; implicit-def: $vgpr33
.LBB6_9564:                             ;   in Loop: Header=BB6_8948 Depth=3
	s_andn2_saveexec_b64 s[34:35], s[34:35]
; %bb.9565:                             ;   in Loop: Header=BB6_8948 Depth=3
	v_cmp_lt_i16_e32 vcc, -1, v26
	v_mov_b32_e32 v30, 0xff800000
	v_mov_b32_e32 v31, 0x7f800000
	v_cndmask_b32_e32 v30, v30, v31, vcc
	v_cmp_eq_u32_e32 vcc, 0, v33
	v_mov_b32_e32 v31, 0x7f800001
	v_cndmask_b32_e32 v32, v31, v30, vcc
; %bb.9566:                             ;   in Loop: Header=BB6_8948 Depth=3
	s_or_b64 exec, exec, s[34:35]
.LBB6_9567:                             ;   in Loop: Header=BB6_8948 Depth=3
	s_or_b64 exec, exec, s[30:31]
.LBB6_9568:                             ;   in Loop: Header=BB6_8948 Depth=3
	s_or_b64 exec, exec, s[28:29]
	v_lshrrev_b16_e32 v30, 8, v3
	v_cmp_ne_u16_e32 vcc, 0, v30
	s_and_saveexec_b64 s[28:29], vcc
	s_cbranch_execz .LBB6_9576
; %bb.9569:                             ;   in Loop: Header=BB6_8948 Depth=3
	v_cmp_ne_u16_e32 vcc, s44, v30
	v_bfrev_b32_e32 v0, 1
	s_and_saveexec_b64 s[30:31], vcc
	s_cbranch_execz .LBB6_9575
; %bb.9570:                             ;   in Loop: Header=BB6_8948 Depth=3
	v_and_b32_e32 v0, 0x7c, v30
	v_and_b32_e32 v33, 3, v30
	v_cmp_ne_u32_e32 vcc, s81, v0
                                        ; implicit-def: $vgpr0
	s_and_saveexec_b64 s[34:35], vcc
	s_xor_b64 s[34:35], exec, s[34:35]
	s_cbranch_execz .LBB6_9572
; %bb.9571:                             ;   in Loop: Header=BB6_8948 Depth=3
	v_ffbh_u32_e32 v35, v33
	v_min_u32_e32 v35, 32, v35
	v_mov_b32_e32 v31, v34
	v_subrev_u32_e32 v36, 29, v35
	v_bfe_u32 v0, v30, 2, 5
	v_lshlrev_b64 v[30:31], v36, v[30:31]
	v_sub_u32_e32 v31, 30, v35
	v_cmp_eq_u32_e32 vcc, 0, v0
	v_cndmask_b32_e32 v0, v0, v31, vcc
	v_lshlrev_b32_e32 v31, 16, v3
	v_and_b32_e32 v30, 3, v30
	v_and_b32_e32 v31, 0x80000000, v31
	v_cndmask_b32_e32 v30, v33, v30, vcc
	v_lshl_add_u32 v0, v0, 23, v31
	v_lshl_or_b32 v0, v30, 21, v0
	v_add_u32_e32 v0, 0x38000000, v0
                                        ; implicit-def: $vgpr33
.LBB6_9572:                             ;   in Loop: Header=BB6_8948 Depth=3
	s_andn2_saveexec_b64 s[34:35], s[34:35]
; %bb.9573:                             ;   in Loop: Header=BB6_8948 Depth=3
	v_cmp_lt_i16_e32 vcc, -1, v3
	v_mov_b32_e32 v0, 0xff800000
	v_mov_b32_e32 v30, 0x7f800000
	v_cndmask_b32_e32 v0, v0, v30, vcc
	v_cmp_eq_u32_e32 vcc, 0, v33
	v_mov_b32_e32 v30, 0x7f800001
	v_cndmask_b32_e32 v0, v30, v0, vcc
; %bb.9574:                             ;   in Loop: Header=BB6_8948 Depth=3
	s_or_b64 exec, exec, s[34:35]
.LBB6_9575:                             ;   in Loop: Header=BB6_8948 Depth=3
	s_or_b64 exec, exec, s[30:31]
.LBB6_9576:                             ;   in Loop: Header=BB6_8948 Depth=3
	s_or_b64 exec, exec, s[28:29]
	v_mul_f32_e32 v32, v32, v0
	v_and_b32_e32 v35, 0x7f800000, v32
	v_mov_b32_e32 v36, v34
	v_cmp_ne_u64_e32 vcc, s[76:77], v[35:36]
	v_and_b32_e32 v30, 0x7fffff, v32
	v_mov_b32_e32 v31, v34
                                        ; implicit-def: $vgpr0
                                        ; kill: killed $vgpr0
	s_and_saveexec_b64 s[28:29], vcc
	s_xor_b64 s[30:31], exec, s[28:29]
	s_cbranch_execz .LBB6_9590
; %bb.9577:                             ;   in Loop: Header=BB6_8948 Depth=3
	v_and_b32_e32 v35, 0x7fffffff, v32
	v_mov_b32_e32 v36, v34
	v_cmp_gt_u64_e32 vcc, s[78:79], v[35:36]
	v_and_b32_sdwa v0, v32, s44 dst_sel:DWORD dst_unused:UNUSED_PAD src0_sel:BYTE_3 src1_sel:DWORD
                                        ; implicit-def: $vgpr33
                                        ; kill: killed $vgpr33
	s_and_saveexec_b64 s[28:29], vcc
	s_xor_b64 s[34:35], exec, s[28:29]
	s_cbranch_execz .LBB6_9587
; %bb.9578:                             ;   in Loop: Header=BB6_8948 Depth=3
	v_mov_b32_e32 v33, 0
	v_cmp_ne_u32_e32 vcc, 0, v32
	buffer_store_dword v33, off, s[0:3], s33 offset:224 ; 4-byte Folded Spill
	s_and_saveexec_b64 s[36:37], vcc
	s_cbranch_execz .LBB6_9586
; %bb.9579:                             ;   in Loop: Header=BB6_8948 Depth=3
	v_bfe_u32 v33, v32, 23, 8
	v_cmp_gt_u32_e64 s[28:29], s45, v33
	v_sub_u32_e32 v32, 0x71, v33
	v_cmp_eq_u32_e32 vcc, 0, v33
	v_cndmask_b32_e64 v32, 0, v32, s[28:29]
	v_mov_b32_e32 v35, 0x70
	v_cndmask_b32_e32 v35, v32, v35, vcc
	v_or_b32_e32 v36, 0x800000, v30
	v_add_u32_e32 v32, 21, v35
	v_cndmask_b32_e32 v30, v36, v30, vcc
	v_lshlrev_b64 v[36:37], v32, -1
	v_add_u32_e32 v32, 20, v35
	v_bfi_b32 v36, v36, 0, v30
	v_lshlrev_b64 v[38:39], v32, 1
	v_lshrrev_b64 v[30:31], v35, v[30:31]
	v_bfi_b32 v37, v37, 0, 0
	v_cmp_eq_u64_e64 s[28:29], v[36:37], v[38:39]
	v_mov_b32_e32 v32, v31
	v_mov_b32_e32 v31, v30
	s_and_saveexec_b64 s[38:39], s[28:29]
; %bb.9580:                             ;   in Loop: Header=BB6_8948 Depth=3
	v_bfe_u32 v31, v30, 21, 1
	v_add_co_u32_e64 v31, s[28:29], v30, v31
	v_add_co_u32_e64 v31, s[28:29], -1, v31
; %bb.9581:                             ;   in Loop: Header=BB6_8948 Depth=3
	s_or_b64 exec, exec, s[38:39]
	v_add_u32_e32 v32, 0xffffff81, v33
	v_mov_b32_e32 v33, 0xffffff82
	v_cndmask_b32_e32 v32, v32, v33, vcc
	v_lshrrev_b32_e32 v33, 23, v30
	v_add3_u32 v35, v35, v32, v33
	v_add_u32_e32 v33, 14, v35
	v_and_b32_e32 v31, 0x1fffff, v31
	v_add_u32_e32 v30, v31, v30
	v_mov_b32_e32 v31, v34
	v_cmp_ne_u32_e32 vcc, 0, v33
                                        ; implicit-def: $vgpr32
	s_and_saveexec_b64 s[28:29], vcc
	s_xor_b64 s[28:29], exec, s[28:29]
; %bb.9582:                             ;   in Loop: Header=BB6_8948 Depth=3
	v_cmp_lt_u64_e32 vcc, s[88:89], v[30:31]
	v_add_u32_e32 v32, 15, v35
	v_cndmask_b32_e32 v32, v33, v32, vcc
	v_cndmask_b32_e64 v33, 0, 1, vcc
	v_lshrrev_b64 v[30:31], v33, v[30:31]
; %bb.9583:                             ;   in Loop: Header=BB6_8948 Depth=3
	s_andn2_saveexec_b64 s[28:29], s[28:29]
; %bb.9584:                             ;   in Loop: Header=BB6_8948 Depth=3
	v_bfe_u32 v32, v30, 23, 1
; %bb.9585:                             ;   in Loop: Header=BB6_8948 Depth=3
	s_or_b64 exec, exec, s[28:29]
	v_lshrrev_b64 v[30:31], 21, v[30:31]
	v_cmp_gt_i32_e32 vcc, 32, v32
	v_cndmask_b32_e32 v31, 0, v31, vcc
	v_cndmask_b32_e32 v30, 3, v30, vcc
	v_cmp_eq_u64_e64 s[28:29], 0, v[30:31]
	v_min_i32_e32 v31, 31, v32
	v_lshlrev_b32_e32 v31, 2, v31
	v_cmp_eq_u32_e32 vcc, 0, v32
	v_and_b32_e32 v31, 0xfc, v31
	v_and_or_b32 v30, v30, 3, v31
	s_and_b64 s[28:29], vcc, s[28:29]
	v_cndmask_b32_e64 v30, v30, 0, s[28:29]
	v_or_b32_e32 v0, v30, v0
	buffer_store_dword v0, off, s[0:3], s33 offset:224 ; 4-byte Folded Spill
.LBB6_9586:                             ;   in Loop: Header=BB6_8948 Depth=3
	s_or_b64 exec, exec, s[36:37]
                                        ; implicit-def: $vgpr0
.LBB6_9587:                             ;   in Loop: Header=BB6_8948 Depth=3
	s_andn2_saveexec_b64 s[28:29], s[34:35]
	s_cbranch_execz .LBB6_9589
; %bb.9588:                             ;   in Loop: Header=BB6_8948 Depth=3
	v_or_b32_e32 v0, 0x7b, v0
	buffer_store_dword v0, off, s[0:3], s33 offset:224 ; 4-byte Folded Spill
.LBB6_9589:                             ;   in Loop: Header=BB6_8948 Depth=3
	s_or_b64 exec, exec, s[28:29]
                                        ; implicit-def: $vgpr32
                                        ; implicit-def: $vgpr30_vgpr31
.LBB6_9590:                             ;   in Loop: Header=BB6_8948 Depth=3
	s_andn2_saveexec_b64 s[28:29], s[30:31]
	s_cbranch_execz .LBB6_9596
; %bb.9591:                             ;   in Loop: Header=BB6_8948 Depth=3
	v_cmp_ne_u64_e32 vcc, 0, v[30:31]
                                        ; implicit-def: $vgpr0
                                        ; kill: killed $vgpr0
	s_and_saveexec_b64 s[30:31], vcc
	s_xor_b64 vcc, exec, s[30:31]
	s_cbranch_execz .LBB6_9593
; %bb.9592:                             ;   in Loop: Header=BB6_8948 Depth=3
	v_or_b32_sdwa v0, v32, s83 dst_sel:DWORD dst_unused:UNUSED_PAD src0_sel:BYTE_3 src1_sel:DWORD
	buffer_store_dword v0, off, s[0:3], s33 offset:224 ; 4-byte Folded Spill
                                        ; implicit-def: $vgpr32
.LBB6_9593:                             ;   in Loop: Header=BB6_8948 Depth=3
	s_andn2_saveexec_b64 s[30:31], vcc
	s_cbranch_execz .LBB6_9595
; %bb.9594:                             ;   in Loop: Header=BB6_8948 Depth=3
	v_cmp_lt_i32_e32 vcc, -1, v32
	v_bfrev_b32_e32 v0, 0.5
	v_mov_b32_e32 v30, 0x7c
	v_cndmask_b32_e32 v0, v0, v30, vcc
	buffer_store_dword v0, off, s[0:3], s33 offset:224 ; 4-byte Folded Spill
.LBB6_9595:                             ;   in Loop: Header=BB6_8948 Depth=3
	s_or_b64 exec, exec, s[30:31]
.LBB6_9596:                             ;   in Loop: Header=BB6_8948 Depth=3
	s_or_b64 exec, exec, s[28:29]
	v_lshrrev_b32_e32 v0, 16, v26
	v_cmp_ne_u16_sdwa vcc, v0, v34 src0_sel:BYTE_0 src1_sel:DWORD
	v_mov_b32_e32 v30, 0
	v_mov_b32_e32 v31, 0
	s_and_saveexec_b64 s[28:29], vcc
	s_cbranch_execz .LBB6_9604
; %bb.9597:                             ;   in Loop: Header=BB6_8948 Depth=3
	v_cmp_ne_u16_sdwa vcc, v0, s44 src0_sel:BYTE_0 src1_sel:DWORD
	v_bfrev_b32_e32 v31, 1
	s_and_saveexec_b64 s[30:31], vcc
	s_cbranch_execz .LBB6_9603
; %bb.9598:                             ;   in Loop: Header=BB6_8948 Depth=3
	v_and_b32_e32 v31, 0x7c0000, v26
	v_bfe_u32 v32, v26, 16, 2
	v_cmp_ne_u32_e32 vcc, s9, v31
                                        ; implicit-def: $vgpr31
	s_and_saveexec_b64 s[34:35], vcc
	s_xor_b64 s[34:35], exec, s[34:35]
	s_cbranch_execz .LBB6_9600
; %bb.9599:                             ;   in Loop: Header=BB6_8948 Depth=3
	v_ffbh_u32_e32 v33, v32
	v_min_u32_e32 v33, 32, v33
	v_subrev_u32_e32 v35, 29, v33
	v_lshlrev_b64 v[35:36], v35, v[0:1]
	v_bfe_u32 v31, v26, 18, 5
	v_sub_u32_e32 v0, 30, v33
	v_and_b32_e32 v33, 3, v35
	v_cmp_eq_u32_e32 vcc, 0, v31
	v_cndmask_b32_e32 v0, v31, v0, vcc
	v_cndmask_b32_e32 v31, v32, v33, vcc
	v_lshlrev_b32_e32 v32, 8, v26
	v_and_b32_e32 v32, 0x80000000, v32
	v_lshl_add_u32 v0, v0, 23, v32
	v_lshl_or_b32 v0, v31, 21, v0
	v_add_u32_e32 v31, 0x38000000, v0
                                        ; implicit-def: $vgpr32
                                        ; implicit-def: $vgpr0
.LBB6_9600:                             ;   in Loop: Header=BB6_8948 Depth=3
	s_andn2_saveexec_b64 s[34:35], s[34:35]
; %bb.9601:                             ;   in Loop: Header=BB6_8948 Depth=3
	v_mov_b32_e32 v31, -1
	v_cmp_gt_i16_sdwa vcc, sext(v0), v31 src0_sel:BYTE_0 src1_sel:DWORD
	v_mov_b32_e32 v0, 0xff800000
	v_mov_b32_e32 v31, 0x7f800000
	v_cndmask_b32_e32 v0, v0, v31, vcc
	v_cmp_eq_u32_e32 vcc, 0, v32
	v_mov_b32_e32 v31, 0x7f800001
	v_cndmask_b32_e32 v31, v31, v0, vcc
; %bb.9602:                             ;   in Loop: Header=BB6_8948 Depth=3
	s_or_b64 exec, exec, s[34:35]
.LBB6_9603:                             ;   in Loop: Header=BB6_8948 Depth=3
	s_or_b64 exec, exec, s[30:31]
.LBB6_9604:                             ;   in Loop: Header=BB6_8948 Depth=3
	s_or_b64 exec, exec, s[28:29]
	v_lshrrev_b32_e32 v0, 16, v3
	v_cmp_ne_u16_sdwa vcc, v0, v34 src0_sel:BYTE_0 src1_sel:DWORD
	s_and_saveexec_b64 s[28:29], vcc
	s_cbranch_execz .LBB6_9612
; %bb.9605:                             ;   in Loop: Header=BB6_8948 Depth=3
	v_cmp_ne_u16_sdwa vcc, v0, s44 src0_sel:BYTE_0 src1_sel:DWORD
	v_bfrev_b32_e32 v30, 1
	s_and_saveexec_b64 s[30:31], vcc
	s_cbranch_execz .LBB6_9611
; %bb.9606:                             ;   in Loop: Header=BB6_8948 Depth=3
	v_and_b32_e32 v30, 0x7c0000, v3
	v_bfe_u32 v32, v3, 16, 2
	v_cmp_ne_u32_e32 vcc, s9, v30
                                        ; implicit-def: $vgpr30
	s_and_saveexec_b64 s[34:35], vcc
	s_xor_b64 s[34:35], exec, s[34:35]
	s_cbranch_execz .LBB6_9608
; %bb.9607:                             ;   in Loop: Header=BB6_8948 Depth=3
	v_ffbh_u32_e32 v33, v32
	v_min_u32_e32 v33, 32, v33
	v_subrev_u32_e32 v35, 29, v33
	v_lshlrev_b64 v[35:36], v35, v[0:1]
	v_bfe_u32 v30, v3, 18, 5
	v_sub_u32_e32 v0, 30, v33
	v_and_b32_e32 v33, 3, v35
	v_cmp_eq_u32_e32 vcc, 0, v30
	v_cndmask_b32_e32 v0, v30, v0, vcc
	v_cndmask_b32_e32 v30, v32, v33, vcc
	v_lshlrev_b32_e32 v32, 8, v3
	v_and_b32_e32 v32, 0x80000000, v32
	v_lshl_add_u32 v0, v0, 23, v32
	v_lshl_or_b32 v0, v30, 21, v0
	v_add_u32_e32 v30, 0x38000000, v0
                                        ; implicit-def: $vgpr32
                                        ; implicit-def: $vgpr0
.LBB6_9608:                             ;   in Loop: Header=BB6_8948 Depth=3
	s_andn2_saveexec_b64 s[34:35], s[34:35]
; %bb.9609:                             ;   in Loop: Header=BB6_8948 Depth=3
	v_mov_b32_e32 v30, -1
	v_cmp_gt_i16_sdwa vcc, sext(v0), v30 src0_sel:BYTE_0 src1_sel:DWORD
	v_mov_b32_e32 v0, 0xff800000
	v_mov_b32_e32 v30, 0x7f800000
	v_cndmask_b32_e32 v0, v0, v30, vcc
	v_cmp_eq_u32_e32 vcc, 0, v32
	v_mov_b32_e32 v30, 0x7f800001
	v_cndmask_b32_e32 v30, v30, v0, vcc
; %bb.9610:                             ;   in Loop: Header=BB6_8948 Depth=3
	s_or_b64 exec, exec, s[34:35]
.LBB6_9611:                             ;   in Loop: Header=BB6_8948 Depth=3
	s_or_b64 exec, exec, s[30:31]
.LBB6_9612:                             ;   in Loop: Header=BB6_8948 Depth=3
	s_or_b64 exec, exec, s[28:29]
	v_mul_f32_e32 v32, v31, v30
	v_and_b32_e32 v35, 0x7f800000, v32
	v_mov_b32_e32 v36, v34
	v_cmp_ne_u64_e32 vcc, s[76:77], v[35:36]
	v_and_b32_e32 v30, 0x7fffff, v32
	v_mov_b32_e32 v31, v34
                                        ; implicit-def: $vgpr0
                                        ; kill: killed $vgpr0
	s_and_saveexec_b64 s[28:29], vcc
	s_xor_b64 s[30:31], exec, s[28:29]
	s_cbranch_execz .LBB6_9626
; %bb.9613:                             ;   in Loop: Header=BB6_8948 Depth=3
	v_and_b32_e32 v35, 0x7fffffff, v32
	v_mov_b32_e32 v36, v34
	v_cmp_gt_u64_e32 vcc, s[78:79], v[35:36]
	v_and_b32_sdwa v0, v32, s44 dst_sel:DWORD dst_unused:UNUSED_PAD src0_sel:BYTE_3 src1_sel:DWORD
                                        ; implicit-def: $vgpr33
                                        ; kill: killed $vgpr33
	s_and_saveexec_b64 s[28:29], vcc
	s_xor_b64 s[34:35], exec, s[28:29]
	s_cbranch_execz .LBB6_9623
; %bb.9614:                             ;   in Loop: Header=BB6_8948 Depth=3
	v_mov_b32_e32 v33, 0
	v_cmp_ne_u32_e32 vcc, 0, v32
	buffer_store_dword v33, off, s[0:3], s33 offset:232 ; 4-byte Folded Spill
	s_and_saveexec_b64 s[36:37], vcc
	s_cbranch_execz .LBB6_9622
; %bb.9615:                             ;   in Loop: Header=BB6_8948 Depth=3
	v_bfe_u32 v33, v32, 23, 8
	v_cmp_gt_u32_e64 s[28:29], s45, v33
	v_sub_u32_e32 v32, 0x71, v33
	v_cmp_eq_u32_e32 vcc, 0, v33
	v_cndmask_b32_e64 v32, 0, v32, s[28:29]
	v_mov_b32_e32 v35, 0x70
	v_cndmask_b32_e32 v35, v32, v35, vcc
	v_or_b32_e32 v36, 0x800000, v30
	v_add_u32_e32 v32, 21, v35
	v_cndmask_b32_e32 v30, v36, v30, vcc
	v_lshlrev_b64 v[36:37], v32, -1
	v_add_u32_e32 v32, 20, v35
	v_bfi_b32 v36, v36, 0, v30
	v_lshlrev_b64 v[38:39], v32, 1
	v_lshrrev_b64 v[30:31], v35, v[30:31]
	v_bfi_b32 v37, v37, 0, 0
	v_cmp_eq_u64_e64 s[28:29], v[36:37], v[38:39]
	v_mov_b32_e32 v32, v31
	v_mov_b32_e32 v31, v30
	s_and_saveexec_b64 s[38:39], s[28:29]
; %bb.9616:                             ;   in Loop: Header=BB6_8948 Depth=3
	v_bfe_u32 v31, v30, 21, 1
	v_add_co_u32_e64 v31, s[28:29], v30, v31
	v_add_co_u32_e64 v31, s[28:29], -1, v31
; %bb.9617:                             ;   in Loop: Header=BB6_8948 Depth=3
	s_or_b64 exec, exec, s[38:39]
	v_add_u32_e32 v32, 0xffffff81, v33
	v_mov_b32_e32 v33, 0xffffff82
	v_cndmask_b32_e32 v32, v32, v33, vcc
	v_lshrrev_b32_e32 v33, 23, v30
	v_add3_u32 v35, v35, v32, v33
	v_add_u32_e32 v33, 14, v35
	v_and_b32_e32 v31, 0x1fffff, v31
	v_add_u32_e32 v30, v31, v30
	v_mov_b32_e32 v31, v34
	v_cmp_ne_u32_e32 vcc, 0, v33
                                        ; implicit-def: $vgpr32
	s_and_saveexec_b64 s[28:29], vcc
	s_xor_b64 s[28:29], exec, s[28:29]
; %bb.9618:                             ;   in Loop: Header=BB6_8948 Depth=3
	v_cmp_lt_u64_e32 vcc, s[88:89], v[30:31]
	v_add_u32_e32 v32, 15, v35
	v_cndmask_b32_e32 v32, v33, v32, vcc
	v_cndmask_b32_e64 v33, 0, 1, vcc
	v_lshrrev_b64 v[30:31], v33, v[30:31]
; %bb.9619:                             ;   in Loop: Header=BB6_8948 Depth=3
	s_andn2_saveexec_b64 s[28:29], s[28:29]
; %bb.9620:                             ;   in Loop: Header=BB6_8948 Depth=3
	v_bfe_u32 v32, v30, 23, 1
; %bb.9621:                             ;   in Loop: Header=BB6_8948 Depth=3
	s_or_b64 exec, exec, s[28:29]
	v_lshrrev_b64 v[30:31], 21, v[30:31]
	v_cmp_gt_i32_e32 vcc, 32, v32
	v_cndmask_b32_e32 v31, 0, v31, vcc
	v_cndmask_b32_e32 v30, 3, v30, vcc
	v_cmp_eq_u64_e64 s[28:29], 0, v[30:31]
	v_min_i32_e32 v31, 31, v32
	v_lshlrev_b32_e32 v31, 2, v31
	v_cmp_eq_u32_e32 vcc, 0, v32
	v_and_b32_e32 v31, 0xfc, v31
	v_and_or_b32 v30, v30, 3, v31
	s_and_b64 s[28:29], vcc, s[28:29]
	v_cndmask_b32_e64 v30, v30, 0, s[28:29]
	v_or_b32_e32 v0, v30, v0
	buffer_store_dword v0, off, s[0:3], s33 offset:232 ; 4-byte Folded Spill
.LBB6_9622:                             ;   in Loop: Header=BB6_8948 Depth=3
	s_or_b64 exec, exec, s[36:37]
                                        ; implicit-def: $vgpr0
.LBB6_9623:                             ;   in Loop: Header=BB6_8948 Depth=3
	s_andn2_saveexec_b64 s[28:29], s[34:35]
	s_cbranch_execz .LBB6_9625
; %bb.9624:                             ;   in Loop: Header=BB6_8948 Depth=3
	v_or_b32_e32 v0, 0x7b, v0
	buffer_store_dword v0, off, s[0:3], s33 offset:232 ; 4-byte Folded Spill
.LBB6_9625:                             ;   in Loop: Header=BB6_8948 Depth=3
	s_or_b64 exec, exec, s[28:29]
                                        ; implicit-def: $vgpr32
                                        ; implicit-def: $vgpr30_vgpr31
.LBB6_9626:                             ;   in Loop: Header=BB6_8948 Depth=3
	s_andn2_saveexec_b64 s[28:29], s[30:31]
	s_cbranch_execz .LBB6_9632
; %bb.9627:                             ;   in Loop: Header=BB6_8948 Depth=3
	v_cmp_ne_u64_e32 vcc, 0, v[30:31]
                                        ; implicit-def: $vgpr0
                                        ; kill: killed $vgpr0
	s_and_saveexec_b64 s[30:31], vcc
	s_xor_b64 vcc, exec, s[30:31]
	s_cbranch_execz .LBB6_9629
; %bb.9628:                             ;   in Loop: Header=BB6_8948 Depth=3
	v_or_b32_sdwa v0, v32, s83 dst_sel:DWORD dst_unused:UNUSED_PAD src0_sel:BYTE_3 src1_sel:DWORD
	buffer_store_dword v0, off, s[0:3], s33 offset:232 ; 4-byte Folded Spill
                                        ; implicit-def: $vgpr32
.LBB6_9629:                             ;   in Loop: Header=BB6_8948 Depth=3
	s_andn2_saveexec_b64 s[30:31], vcc
	s_cbranch_execz .LBB6_9631
; %bb.9630:                             ;   in Loop: Header=BB6_8948 Depth=3
	v_cmp_lt_i32_e32 vcc, -1, v32
	v_bfrev_b32_e32 v0, 0.5
	v_mov_b32_e32 v30, 0x7c
	v_cndmask_b32_e32 v0, v0, v30, vcc
	buffer_store_dword v0, off, s[0:3], s33 offset:232 ; 4-byte Folded Spill
.LBB6_9631:                             ;   in Loop: Header=BB6_8948 Depth=3
	s_or_b64 exec, exec, s[30:31]
.LBB6_9632:                             ;   in Loop: Header=BB6_8948 Depth=3
	s_or_b64 exec, exec, s[28:29]
	v_cmp_lt_u32_e32 vcc, s57, v26
	v_mov_b32_e32 v30, 0
	v_mov_b32_e32 v31, 0
	s_and_saveexec_b64 s[28:29], vcc
	s_cbranch_execz .LBB6_9640
; %bb.9633:                             ;   in Loop: Header=BB6_8948 Depth=3
	v_lshrrev_b32_e32 v0, 24, v26
	v_cmp_ne_u32_e32 vcc, s44, v0
	v_bfrev_b32_e32 v31, 1
	s_and_saveexec_b64 s[30:31], vcc
	s_cbranch_execz .LBB6_9639
; %bb.9634:                             ;   in Loop: Header=BB6_8948 Depth=3
	v_and_b32_e32 v31, 0x7c000000, v26
	v_bfe_u32 v32, v26, 24, 2
	v_cmp_ne_u32_e32 vcc, s8, v31
                                        ; implicit-def: $vgpr31
	s_and_saveexec_b64 s[34:35], vcc
	s_xor_b64 s[34:35], exec, s[34:35]
	s_cbranch_execz .LBB6_9636
; %bb.9635:                             ;   in Loop: Header=BB6_8948 Depth=3
	v_ffbh_u32_e32 v33, v32
	v_min_u32_e32 v33, 32, v33
	v_subrev_u32_e32 v35, 29, v33
	v_lshlrev_b64 v[35:36], v35, v[0:1]
	v_bfe_u32 v31, v26, 26, 5
	v_sub_u32_e32 v0, 30, v33
	v_and_b32_e32 v33, 3, v35
	v_cmp_eq_u32_e32 vcc, 0, v31
	v_cndmask_b32_e32 v0, v31, v0, vcc
	v_cndmask_b32_e32 v31, v32, v33, vcc
	v_and_b32_e32 v32, 0x80000000, v26
	v_lshl_add_u32 v0, v0, 23, v32
	v_lshl_or_b32 v0, v31, 21, v0
	v_add_u32_e32 v31, 0x38000000, v0
                                        ; implicit-def: $vgpr32
.LBB6_9636:                             ;   in Loop: Header=BB6_8948 Depth=3
	s_andn2_saveexec_b64 s[34:35], s[34:35]
; %bb.9637:                             ;   in Loop: Header=BB6_8948 Depth=3
	v_cmp_lt_i32_e32 vcc, -1, v26
	v_mov_b32_e32 v0, 0xff800000
	v_mov_b32_e32 v31, 0x7f800000
	v_cndmask_b32_e32 v0, v0, v31, vcc
	v_cmp_eq_u32_e32 vcc, 0, v32
	v_mov_b32_e32 v31, 0x7f800001
	v_cndmask_b32_e32 v31, v31, v0, vcc
; %bb.9638:                             ;   in Loop: Header=BB6_8948 Depth=3
	s_or_b64 exec, exec, s[34:35]
.LBB6_9639:                             ;   in Loop: Header=BB6_8948 Depth=3
	s_or_b64 exec, exec, s[30:31]
.LBB6_9640:                             ;   in Loop: Header=BB6_8948 Depth=3
	s_or_b64 exec, exec, s[28:29]
	v_cmp_lt_u32_e32 vcc, s57, v3
	s_and_saveexec_b64 s[28:29], vcc
	s_cbranch_execz .LBB6_9648
; %bb.9641:                             ;   in Loop: Header=BB6_8948 Depth=3
	v_lshrrev_b32_e32 v0, 24, v3
	v_cmp_ne_u32_e32 vcc, s44, v0
	v_bfrev_b32_e32 v30, 1
	s_and_saveexec_b64 s[30:31], vcc
	s_cbranch_execz .LBB6_9647
; %bb.9642:                             ;   in Loop: Header=BB6_8948 Depth=3
	v_and_b32_e32 v30, 0x7c000000, v3
	v_bfe_u32 v32, v3, 24, 2
	v_cmp_ne_u32_e32 vcc, s8, v30
                                        ; implicit-def: $vgpr30
	s_and_saveexec_b64 s[34:35], vcc
	s_xor_b64 s[34:35], exec, s[34:35]
	s_cbranch_execz .LBB6_9644
; %bb.9643:                             ;   in Loop: Header=BB6_8948 Depth=3
	v_ffbh_u32_e32 v33, v32
	v_min_u32_e32 v33, 32, v33
	v_subrev_u32_e32 v35, 29, v33
	v_lshlrev_b64 v[35:36], v35, v[0:1]
	v_bfe_u32 v30, v3, 26, 5
	v_sub_u32_e32 v0, 30, v33
	v_and_b32_e32 v33, 3, v35
	v_cmp_eq_u32_e32 vcc, 0, v30
	v_cndmask_b32_e32 v0, v30, v0, vcc
	v_cndmask_b32_e32 v30, v32, v33, vcc
	v_and_b32_e32 v32, 0x80000000, v3
	v_lshl_add_u32 v0, v0, 23, v32
	v_lshl_or_b32 v0, v30, 21, v0
	v_add_u32_e32 v30, 0x38000000, v0
                                        ; implicit-def: $vgpr32
.LBB6_9644:                             ;   in Loop: Header=BB6_8948 Depth=3
	s_andn2_saveexec_b64 s[34:35], s[34:35]
; %bb.9645:                             ;   in Loop: Header=BB6_8948 Depth=3
	v_cmp_lt_i32_e32 vcc, -1, v3
	v_mov_b32_e32 v0, 0xff800000
	v_mov_b32_e32 v30, 0x7f800000
	v_cndmask_b32_e32 v0, v0, v30, vcc
	v_cmp_eq_u32_e32 vcc, 0, v32
	v_mov_b32_e32 v30, 0x7f800001
	v_cndmask_b32_e32 v30, v30, v0, vcc
; %bb.9646:                             ;   in Loop: Header=BB6_8948 Depth=3
	s_or_b64 exec, exec, s[34:35]
.LBB6_9647:                             ;   in Loop: Header=BB6_8948 Depth=3
	s_or_b64 exec, exec, s[30:31]
.LBB6_9648:                             ;   in Loop: Header=BB6_8948 Depth=3
	s_or_b64 exec, exec, s[28:29]
	v_mul_f32_e32 v32, v31, v30
	v_and_b32_e32 v35, 0x7f800000, v32
	v_mov_b32_e32 v36, v34
	v_cmp_ne_u64_e32 vcc, s[76:77], v[35:36]
	v_and_b32_e32 v30, 0x7fffff, v32
	v_mov_b32_e32 v31, v34
                                        ; implicit-def: $vgpr0
                                        ; kill: killed $vgpr0
	s_and_saveexec_b64 s[28:29], vcc
	s_xor_b64 s[30:31], exec, s[28:29]
	s_cbranch_execz .LBB6_9662
; %bb.9649:                             ;   in Loop: Header=BB6_8948 Depth=3
	v_and_b32_e32 v35, 0x7fffffff, v32
	v_mov_b32_e32 v36, v34
	v_cmp_gt_u64_e32 vcc, s[78:79], v[35:36]
	v_and_b32_sdwa v0, v32, s44 dst_sel:DWORD dst_unused:UNUSED_PAD src0_sel:BYTE_3 src1_sel:DWORD
                                        ; implicit-def: $vgpr33
                                        ; kill: killed $vgpr33
	s_and_saveexec_b64 s[28:29], vcc
	s_xor_b64 s[34:35], exec, s[28:29]
	s_cbranch_execz .LBB6_9659
; %bb.9650:                             ;   in Loop: Header=BB6_8948 Depth=3
	v_mov_b32_e32 v33, 0
	v_cmp_ne_u32_e32 vcc, 0, v32
	buffer_store_dword v33, off, s[0:3], s33 offset:240 ; 4-byte Folded Spill
	s_and_saveexec_b64 s[36:37], vcc
	s_cbranch_execz .LBB6_9658
; %bb.9651:                             ;   in Loop: Header=BB6_8948 Depth=3
	v_bfe_u32 v33, v32, 23, 8
	v_cmp_gt_u32_e64 s[28:29], s45, v33
	v_sub_u32_e32 v32, 0x71, v33
	v_cmp_eq_u32_e32 vcc, 0, v33
	v_cndmask_b32_e64 v32, 0, v32, s[28:29]
	v_mov_b32_e32 v35, 0x70
	v_cndmask_b32_e32 v35, v32, v35, vcc
	v_or_b32_e32 v36, 0x800000, v30
	v_add_u32_e32 v32, 21, v35
	v_cndmask_b32_e32 v30, v36, v30, vcc
	v_lshlrev_b64 v[36:37], v32, -1
	v_add_u32_e32 v32, 20, v35
	v_bfi_b32 v36, v36, 0, v30
	v_lshlrev_b64 v[38:39], v32, 1
	v_lshrrev_b64 v[30:31], v35, v[30:31]
	v_bfi_b32 v37, v37, 0, 0
	v_cmp_eq_u64_e64 s[28:29], v[36:37], v[38:39]
	v_mov_b32_e32 v32, v31
	v_mov_b32_e32 v31, v30
	s_and_saveexec_b64 s[38:39], s[28:29]
; %bb.9652:                             ;   in Loop: Header=BB6_8948 Depth=3
	v_bfe_u32 v31, v30, 21, 1
	v_add_co_u32_e64 v31, s[28:29], v30, v31
	v_add_co_u32_e64 v31, s[28:29], -1, v31
; %bb.9653:                             ;   in Loop: Header=BB6_8948 Depth=3
	s_or_b64 exec, exec, s[38:39]
	v_add_u32_e32 v32, 0xffffff81, v33
	v_mov_b32_e32 v33, 0xffffff82
	v_cndmask_b32_e32 v32, v32, v33, vcc
	v_lshrrev_b32_e32 v33, 23, v30
	v_add3_u32 v35, v35, v32, v33
	v_add_u32_e32 v33, 14, v35
	v_and_b32_e32 v31, 0x1fffff, v31
	v_add_u32_e32 v30, v31, v30
	v_mov_b32_e32 v31, v34
	v_cmp_ne_u32_e32 vcc, 0, v33
                                        ; implicit-def: $vgpr32
	s_and_saveexec_b64 s[28:29], vcc
	s_xor_b64 s[28:29], exec, s[28:29]
; %bb.9654:                             ;   in Loop: Header=BB6_8948 Depth=3
	v_cmp_lt_u64_e32 vcc, s[88:89], v[30:31]
	v_add_u32_e32 v32, 15, v35
	v_cndmask_b32_e32 v32, v33, v32, vcc
	v_cndmask_b32_e64 v33, 0, 1, vcc
	v_lshrrev_b64 v[30:31], v33, v[30:31]
; %bb.9655:                             ;   in Loop: Header=BB6_8948 Depth=3
	s_andn2_saveexec_b64 s[28:29], s[28:29]
; %bb.9656:                             ;   in Loop: Header=BB6_8948 Depth=3
	v_bfe_u32 v32, v30, 23, 1
; %bb.9657:                             ;   in Loop: Header=BB6_8948 Depth=3
	s_or_b64 exec, exec, s[28:29]
	v_lshrrev_b64 v[30:31], 21, v[30:31]
	v_cmp_gt_i32_e32 vcc, 32, v32
	v_cndmask_b32_e32 v31, 0, v31, vcc
	v_cndmask_b32_e32 v30, 3, v30, vcc
	v_cmp_eq_u64_e64 s[28:29], 0, v[30:31]
	v_min_i32_e32 v31, 31, v32
	v_lshlrev_b32_e32 v31, 2, v31
	v_cmp_eq_u32_e32 vcc, 0, v32
	v_and_b32_e32 v31, 0xfc, v31
	v_and_or_b32 v30, v30, 3, v31
	s_and_b64 s[28:29], vcc, s[28:29]
	v_cndmask_b32_e64 v30, v30, 0, s[28:29]
	v_or_b32_e32 v0, v30, v0
	buffer_store_dword v0, off, s[0:3], s33 offset:240 ; 4-byte Folded Spill
.LBB6_9658:                             ;   in Loop: Header=BB6_8948 Depth=3
	s_or_b64 exec, exec, s[36:37]
                                        ; implicit-def: $vgpr0
.LBB6_9659:                             ;   in Loop: Header=BB6_8948 Depth=3
	s_andn2_saveexec_b64 s[28:29], s[34:35]
	s_cbranch_execz .LBB6_9661
; %bb.9660:                             ;   in Loop: Header=BB6_8948 Depth=3
	v_or_b32_e32 v0, 0x7b, v0
	buffer_store_dword v0, off, s[0:3], s33 offset:240 ; 4-byte Folded Spill
.LBB6_9661:                             ;   in Loop: Header=BB6_8948 Depth=3
	s_or_b64 exec, exec, s[28:29]
                                        ; implicit-def: $vgpr32
                                        ; implicit-def: $vgpr30_vgpr31
.LBB6_9662:                             ;   in Loop: Header=BB6_8948 Depth=3
	s_andn2_saveexec_b64 s[28:29], s[30:31]
	s_cbranch_execz .LBB6_9668
; %bb.9663:                             ;   in Loop: Header=BB6_8948 Depth=3
	v_cmp_ne_u64_e32 vcc, 0, v[30:31]
                                        ; implicit-def: $vgpr0
                                        ; kill: killed $vgpr0
	s_and_saveexec_b64 s[30:31], vcc
	s_xor_b64 vcc, exec, s[30:31]
	s_cbranch_execz .LBB6_9665
; %bb.9664:                             ;   in Loop: Header=BB6_8948 Depth=3
	v_or_b32_sdwa v0, v32, s83 dst_sel:DWORD dst_unused:UNUSED_PAD src0_sel:BYTE_3 src1_sel:DWORD
	buffer_store_dword v0, off, s[0:3], s33 offset:240 ; 4-byte Folded Spill
                                        ; implicit-def: $vgpr32
.LBB6_9665:                             ;   in Loop: Header=BB6_8948 Depth=3
	s_andn2_saveexec_b64 s[30:31], vcc
	s_cbranch_execz .LBB6_9667
; %bb.9666:                             ;   in Loop: Header=BB6_8948 Depth=3
	v_cmp_lt_i32_e32 vcc, -1, v32
	v_bfrev_b32_e32 v0, 0.5
	v_mov_b32_e32 v30, 0x7c
	v_cndmask_b32_e32 v0, v0, v30, vcc
	buffer_store_dword v0, off, s[0:3], s33 offset:240 ; 4-byte Folded Spill
.LBB6_9667:                             ;   in Loop: Header=BB6_8948 Depth=3
	s_or_b64 exec, exec, s[30:31]
.LBB6_9668:                             ;   in Loop: Header=BB6_8948 Depth=3
	s_or_b64 exec, exec, s[28:29]
	v_mov_b32_e32 v30, v27
	v_mov_b32_e32 v31, v34
	v_cmp_ne_u16_sdwa vcc, v27, v34 src0_sel:BYTE_0 src1_sel:DWORD
	v_mov_b32_e32 v32, 0
	v_mov_b32_e32 v0, 0
	s_and_saveexec_b64 s[28:29], vcc
	s_cbranch_execz .LBB6_9676
; %bb.9669:                             ;   in Loop: Header=BB6_8948 Depth=3
	v_cmp_ne_u16_sdwa vcc, v27, s44 src0_sel:BYTE_0 src1_sel:DWORD
	v_bfrev_b32_e32 v0, 1
	s_and_saveexec_b64 s[30:31], vcc
	s_cbranch_execz .LBB6_9675
; %bb.9670:                             ;   in Loop: Header=BB6_8948 Depth=3
	v_and_b32_e32 v0, 0x7c, v27
	v_and_b32_e32 v33, 3, v27
	v_cmp_ne_u32_e32 vcc, s81, v0
                                        ; implicit-def: $vgpr0
	s_and_saveexec_b64 s[34:35], vcc
	s_xor_b64 s[34:35], exec, s[34:35]
	s_cbranch_execz .LBB6_9672
; %bb.9671:                             ;   in Loop: Header=BB6_8948 Depth=3
	v_ffbh_u32_e32 v35, v33
	v_min_u32_e32 v37, 32, v35
	v_subrev_u32_e32 v35, 29, v37
	v_lshlrev_b64 v[35:36], v35, v[30:31]
	v_bfe_u32 v0, v27, 2, 5
	v_sub_u32_e32 v31, 30, v37
	v_and_b32_e32 v35, 3, v35
	v_cmp_eq_u32_e32 vcc, 0, v0
	v_cndmask_b32_e32 v0, v0, v31, vcc
	v_cndmask_b32_e32 v31, v33, v35, vcc
	v_lshlrev_b32_e32 v33, 24, v27
	v_and_b32_e32 v33, 0x80000000, v33
	v_lshl_add_u32 v0, v0, 23, v33
	v_lshl_or_b32 v0, v31, 21, v0
	v_add_u32_e32 v0, 0x38000000, v0
                                        ; implicit-def: $vgpr33
.LBB6_9672:                             ;   in Loop: Header=BB6_8948 Depth=3
	s_andn2_saveexec_b64 s[34:35], s[34:35]
; %bb.9673:                             ;   in Loop: Header=BB6_8948 Depth=3
	v_mov_b32_e32 v0, -1
	v_cmp_gt_i16_sdwa vcc, sext(v27), v0 src0_sel:BYTE_0 src1_sel:DWORD
	v_mov_b32_e32 v0, 0xff800000
	v_mov_b32_e32 v31, 0x7f800000
	v_cndmask_b32_e32 v0, v0, v31, vcc
	v_cmp_eq_u32_e32 vcc, 0, v33
	v_mov_b32_e32 v31, 0x7f800001
	v_cndmask_b32_e32 v0, v31, v0, vcc
; %bb.9674:                             ;   in Loop: Header=BB6_8948 Depth=3
	s_or_b64 exec, exec, s[34:35]
.LBB6_9675:                             ;   in Loop: Header=BB6_8948 Depth=3
	s_or_b64 exec, exec, s[30:31]
.LBB6_9676:                             ;   in Loop: Header=BB6_8948 Depth=3
	s_or_b64 exec, exec, s[28:29]
	v_cmp_ne_u16_sdwa vcc, v4, v34 src0_sel:BYTE_0 src1_sel:DWORD
	s_and_saveexec_b64 s[28:29], vcc
	s_cbranch_execz .LBB6_9684
; %bb.9677:                             ;   in Loop: Header=BB6_8948 Depth=3
	v_cmp_ne_u16_sdwa vcc, v4, s44 src0_sel:BYTE_0 src1_sel:DWORD
	v_bfrev_b32_e32 v32, 1
	s_and_saveexec_b64 s[30:31], vcc
	s_cbranch_execz .LBB6_9683
; %bb.9678:                             ;   in Loop: Header=BB6_8948 Depth=3
	v_and_b32_e32 v32, 0x7c, v4
	v_and_b32_e32 v31, 3, v4
	v_cmp_ne_u32_e32 vcc, s81, v32
                                        ; implicit-def: $vgpr32
	s_and_saveexec_b64 s[34:35], vcc
	s_xor_b64 s[34:35], exec, s[34:35]
	s_cbranch_execz .LBB6_9680
; %bb.9679:                             ;   in Loop: Header=BB6_8948 Depth=3
	v_ffbh_u32_e32 v36, v31
	v_min_u32_e32 v36, 32, v36
	v_mov_b32_e32 v32, v4
	v_mov_b32_e32 v33, v34
	v_subrev_u32_e32 v37, 29, v36
	v_lshlrev_b64 v[32:33], v37, v[32:33]
	v_bfe_u32 v35, v4, 2, 5
	v_and_b32_e32 v32, 3, v32
	v_cmp_eq_u32_e32 vcc, 0, v35
	v_sub_u32_e32 v33, 30, v36
	v_cndmask_b32_e32 v31, v31, v32, vcc
	v_lshlrev_b32_e32 v32, 24, v4
	v_cndmask_b32_e32 v33, v35, v33, vcc
	v_and_b32_e32 v32, 0x80000000, v32
	v_lshl_add_u32 v32, v33, 23, v32
	v_lshl_or_b32 v31, v31, 21, v32
	v_add_u32_e32 v32, 0x38000000, v31
                                        ; implicit-def: $vgpr31
.LBB6_9680:                             ;   in Loop: Header=BB6_8948 Depth=3
	s_andn2_saveexec_b64 s[34:35], s[34:35]
; %bb.9681:                             ;   in Loop: Header=BB6_8948 Depth=3
	v_mov_b32_e32 v32, -1
	v_cmp_gt_i16_sdwa vcc, sext(v4), v32 src0_sel:BYTE_0 src1_sel:DWORD
	v_mov_b32_e32 v32, 0xff800000
	v_mov_b32_e32 v33, 0x7f800000
	v_cndmask_b32_e32 v32, v32, v33, vcc
	v_cmp_eq_u32_e32 vcc, 0, v31
	v_mov_b32_e32 v31, 0x7f800001
	v_cndmask_b32_e32 v32, v31, v32, vcc
; %bb.9682:                             ;   in Loop: Header=BB6_8948 Depth=3
	s_or_b64 exec, exec, s[34:35]
.LBB6_9683:                             ;   in Loop: Header=BB6_8948 Depth=3
	s_or_b64 exec, exec, s[30:31]
.LBB6_9684:                             ;   in Loop: Header=BB6_8948 Depth=3
	s_or_b64 exec, exec, s[28:29]
	v_mul_f32_e32 v35, v0, v32
	v_and_b32_e32 v32, 0x7f800000, v35
	v_mov_b32_e32 v33, v34
	v_cmp_ne_u64_e32 vcc, s[76:77], v[32:33]
	v_and_b32_e32 v31, 0x7fffff, v35
	v_mov_b32_e32 v32, v34
                                        ; implicit-def: $vgpr0
                                        ; kill: killed $vgpr0
	s_and_saveexec_b64 s[28:29], vcc
	s_xor_b64 s[30:31], exec, s[28:29]
	s_cbranch_execz .LBB6_9698
; %bb.9685:                             ;   in Loop: Header=BB6_8948 Depth=3
	v_and_b32_e32 v36, 0x7fffffff, v35
	v_mov_b32_e32 v37, v34
	v_cmp_gt_u64_e32 vcc, s[78:79], v[36:37]
	v_and_b32_sdwa v0, v35, s44 dst_sel:DWORD dst_unused:UNUSED_PAD src0_sel:BYTE_3 src1_sel:DWORD
                                        ; implicit-def: $vgpr33
                                        ; kill: killed $vgpr33
	s_and_saveexec_b64 s[28:29], vcc
	s_xor_b64 s[34:35], exec, s[28:29]
	s_cbranch_execz .LBB6_9695
; %bb.9686:                             ;   in Loop: Header=BB6_8948 Depth=3
	v_mov_b32_e32 v33, 0
	v_cmp_ne_u32_e32 vcc, 0, v35
	buffer_store_dword v33, off, s[0:3], s33 offset:248 ; 4-byte Folded Spill
	s_and_saveexec_b64 s[36:37], vcc
	s_cbranch_execz .LBB6_9694
; %bb.9687:                             ;   in Loop: Header=BB6_8948 Depth=3
	v_bfe_u32 v35, v35, 23, 8
	v_cmp_gt_u32_e64 s[28:29], s45, v35
	v_sub_u32_e32 v33, 0x71, v35
	v_cmp_eq_u32_e32 vcc, 0, v35
	v_cndmask_b32_e64 v33, 0, v33, s[28:29]
	v_mov_b32_e32 v36, 0x70
	v_cndmask_b32_e32 v36, v33, v36, vcc
	v_or_b32_e32 v37, 0x800000, v31
	v_add_u32_e32 v33, 21, v36
	v_cndmask_b32_e32 v31, v37, v31, vcc
	v_lshlrev_b64 v[37:38], v33, -1
	v_add_u32_e32 v33, 20, v36
	v_bfi_b32 v37, v37, 0, v31
	v_lshlrev_b64 v[48:49], v33, 1
	v_lshrrev_b64 v[31:32], v36, v[31:32]
	v_bfi_b32 v38, v38, 0, 0
	v_cmp_eq_u64_e64 s[28:29], v[37:38], v[48:49]
	v_mov_b32_e32 v33, v32
	v_mov_b32_e32 v32, v31
	s_and_saveexec_b64 s[38:39], s[28:29]
; %bb.9688:                             ;   in Loop: Header=BB6_8948 Depth=3
	v_bfe_u32 v32, v31, 21, 1
	v_add_co_u32_e64 v32, s[28:29], v31, v32
	v_add_co_u32_e64 v32, s[28:29], -1, v32
; %bb.9689:                             ;   in Loop: Header=BB6_8948 Depth=3
	s_or_b64 exec, exec, s[38:39]
	v_add_u32_e32 v33, 0xffffff81, v35
	v_mov_b32_e32 v35, 0xffffff82
	v_cndmask_b32_e32 v33, v33, v35, vcc
	v_lshrrev_b32_e32 v35, 23, v31
	v_add3_u32 v36, v36, v33, v35
	v_add_u32_e32 v35, 14, v36
	v_and_b32_e32 v32, 0x1fffff, v32
	v_add_u32_e32 v31, v32, v31
	v_mov_b32_e32 v32, v34
	v_cmp_ne_u32_e32 vcc, 0, v35
                                        ; implicit-def: $vgpr33
	s_and_saveexec_b64 s[28:29], vcc
	s_xor_b64 s[28:29], exec, s[28:29]
; %bb.9690:                             ;   in Loop: Header=BB6_8948 Depth=3
	v_cmp_lt_u64_e32 vcc, s[88:89], v[31:32]
	v_add_u32_e32 v33, 15, v36
	v_cndmask_b32_e32 v33, v35, v33, vcc
	v_cndmask_b32_e64 v35, 0, 1, vcc
	v_lshrrev_b64 v[31:32], v35, v[31:32]
; %bb.9691:                             ;   in Loop: Header=BB6_8948 Depth=3
	s_andn2_saveexec_b64 s[28:29], s[28:29]
; %bb.9692:                             ;   in Loop: Header=BB6_8948 Depth=3
	v_bfe_u32 v33, v31, 23, 1
; %bb.9693:                             ;   in Loop: Header=BB6_8948 Depth=3
	s_or_b64 exec, exec, s[28:29]
	v_lshrrev_b64 v[31:32], 21, v[31:32]
	v_cmp_gt_i32_e32 vcc, 32, v33
	v_cndmask_b32_e32 v32, 0, v32, vcc
	v_cndmask_b32_e32 v31, 3, v31, vcc
	v_cmp_eq_u64_e64 s[28:29], 0, v[31:32]
	v_min_i32_e32 v32, 31, v33
	v_lshlrev_b32_e32 v32, 2, v32
	v_cmp_eq_u32_e32 vcc, 0, v33
	v_and_b32_e32 v32, 0xfc, v32
	v_and_or_b32 v31, v31, 3, v32
	s_and_b64 s[28:29], vcc, s[28:29]
	v_cndmask_b32_e64 v31, v31, 0, s[28:29]
	v_or_b32_e32 v0, v31, v0
	buffer_store_dword v0, off, s[0:3], s33 offset:248 ; 4-byte Folded Spill
.LBB6_9694:                             ;   in Loop: Header=BB6_8948 Depth=3
	s_or_b64 exec, exec, s[36:37]
                                        ; implicit-def: $vgpr0
.LBB6_9695:                             ;   in Loop: Header=BB6_8948 Depth=3
	s_andn2_saveexec_b64 s[28:29], s[34:35]
	s_cbranch_execz .LBB6_9697
; %bb.9696:                             ;   in Loop: Header=BB6_8948 Depth=3
	v_or_b32_e32 v0, 0x7b, v0
	buffer_store_dword v0, off, s[0:3], s33 offset:248 ; 4-byte Folded Spill
.LBB6_9697:                             ;   in Loop: Header=BB6_8948 Depth=3
	s_or_b64 exec, exec, s[28:29]
                                        ; implicit-def: $vgpr35
                                        ; implicit-def: $vgpr31_vgpr32
.LBB6_9698:                             ;   in Loop: Header=BB6_8948 Depth=3
	s_andn2_saveexec_b64 s[28:29], s[30:31]
	s_cbranch_execz .LBB6_9704
; %bb.9699:                             ;   in Loop: Header=BB6_8948 Depth=3
	v_cmp_ne_u64_e32 vcc, 0, v[31:32]
                                        ; implicit-def: $vgpr0
                                        ; kill: killed $vgpr0
	s_and_saveexec_b64 s[30:31], vcc
	s_xor_b64 vcc, exec, s[30:31]
	s_cbranch_execz .LBB6_9701
; %bb.9700:                             ;   in Loop: Header=BB6_8948 Depth=3
	v_or_b32_sdwa v0, v35, s83 dst_sel:DWORD dst_unused:UNUSED_PAD src0_sel:BYTE_3 src1_sel:DWORD
	buffer_store_dword v0, off, s[0:3], s33 offset:248 ; 4-byte Folded Spill
                                        ; implicit-def: $vgpr35
.LBB6_9701:                             ;   in Loop: Header=BB6_8948 Depth=3
	s_andn2_saveexec_b64 s[30:31], vcc
	s_cbranch_execz .LBB6_9703
; %bb.9702:                             ;   in Loop: Header=BB6_8948 Depth=3
	v_cmp_lt_i32_e32 vcc, -1, v35
	v_bfrev_b32_e32 v0, 0.5
	v_mov_b32_e32 v31, 0x7c
	v_cndmask_b32_e32 v0, v0, v31, vcc
	buffer_store_dword v0, off, s[0:3], s33 offset:248 ; 4-byte Folded Spill
.LBB6_9703:                             ;   in Loop: Header=BB6_8948 Depth=3
	s_or_b64 exec, exec, s[30:31]
.LBB6_9704:                             ;   in Loop: Header=BB6_8948 Depth=3
	s_or_b64 exec, exec, s[28:29]
	v_lshrrev_b16_e32 v31, 8, v30
	v_cmp_ne_u16_e32 vcc, 0, v31
	v_mov_b32_e32 v0, 0
	v_mov_b32_e32 v32, 0
	s_and_saveexec_b64 s[28:29], vcc
	s_cbranch_execz .LBB6_9712
; %bb.9705:                             ;   in Loop: Header=BB6_8948 Depth=3
	v_cmp_ne_u16_e32 vcc, s44, v31
	v_bfrev_b32_e32 v32, 1
	s_and_saveexec_b64 s[30:31], vcc
	s_cbranch_execz .LBB6_9711
; %bb.9706:                             ;   in Loop: Header=BB6_8948 Depth=3
	v_and_b32_e32 v32, 0x7c, v31
	v_and_b32_e32 v35, 3, v31
	v_cmp_ne_u32_e32 vcc, s81, v32
                                        ; implicit-def: $vgpr32
	s_and_saveexec_b64 s[34:35], vcc
	s_xor_b64 s[34:35], exec, s[34:35]
	s_cbranch_execz .LBB6_9708
; %bb.9707:                             ;   in Loop: Header=BB6_8948 Depth=3
	v_ffbh_u32_e32 v36, v35
	v_min_u32_e32 v36, 32, v36
	v_mov_b32_e32 v32, v34
	v_subrev_u32_e32 v37, 29, v36
	v_bfe_u32 v33, v31, 2, 5
	v_lshlrev_b64 v[31:32], v37, v[31:32]
	v_sub_u32_e32 v32, 30, v36
	v_cmp_eq_u32_e32 vcc, 0, v33
	v_lshlrev_b32_e32 v30, 16, v30
	v_and_b32_e32 v31, 3, v31
	v_cndmask_b32_e32 v32, v33, v32, vcc
	v_and_b32_e32 v30, 0x80000000, v30
	v_cndmask_b32_e32 v31, v35, v31, vcc
	v_lshl_add_u32 v30, v32, 23, v30
	v_lshl_or_b32 v30, v31, 21, v30
	v_add_u32_e32 v32, 0x38000000, v30
                                        ; implicit-def: $vgpr35
                                        ; implicit-def: $vgpr30_vgpr31
.LBB6_9708:                             ;   in Loop: Header=BB6_8948 Depth=3
	s_andn2_saveexec_b64 s[34:35], s[34:35]
; %bb.9709:                             ;   in Loop: Header=BB6_8948 Depth=3
	v_cmp_lt_i16_e32 vcc, -1, v30
	v_mov_b32_e32 v30, 0xff800000
	v_mov_b32_e32 v31, 0x7f800000
	v_cndmask_b32_e32 v30, v30, v31, vcc
	v_cmp_eq_u32_e32 vcc, 0, v35
	v_mov_b32_e32 v31, 0x7f800001
	v_cndmask_b32_e32 v32, v31, v30, vcc
; %bb.9710:                             ;   in Loop: Header=BB6_8948 Depth=3
	s_or_b64 exec, exec, s[34:35]
.LBB6_9711:                             ;   in Loop: Header=BB6_8948 Depth=3
	s_or_b64 exec, exec, s[30:31]
.LBB6_9712:                             ;   in Loop: Header=BB6_8948 Depth=3
	s_or_b64 exec, exec, s[28:29]
	v_lshrrev_b16_e32 v30, 8, v4
	v_cmp_ne_u16_e32 vcc, 0, v30
	s_and_saveexec_b64 s[28:29], vcc
	s_cbranch_execz .LBB6_9720
; %bb.9713:                             ;   in Loop: Header=BB6_8948 Depth=3
	v_cmp_ne_u16_e32 vcc, s44, v30
	v_bfrev_b32_e32 v0, 1
	s_and_saveexec_b64 s[30:31], vcc
	s_cbranch_execz .LBB6_9719
; %bb.9714:                             ;   in Loop: Header=BB6_8948 Depth=3
	v_and_b32_e32 v0, 0x7c, v30
	v_and_b32_e32 v35, 3, v30
	v_cmp_ne_u32_e32 vcc, s81, v0
                                        ; implicit-def: $vgpr0
	s_and_saveexec_b64 s[34:35], vcc
	s_xor_b64 s[34:35], exec, s[34:35]
	s_cbranch_execz .LBB6_9716
; %bb.9715:                             ;   in Loop: Header=BB6_8948 Depth=3
	v_ffbh_u32_e32 v33, v35
	v_min_u32_e32 v33, 32, v33
	v_mov_b32_e32 v31, v34
	v_subrev_u32_e32 v36, 29, v33
	v_bfe_u32 v0, v30, 2, 5
	v_lshlrev_b64 v[30:31], v36, v[30:31]
	v_sub_u32_e32 v31, 30, v33
	v_cmp_eq_u32_e32 vcc, 0, v0
	v_cndmask_b32_e32 v0, v0, v31, vcc
	v_lshlrev_b32_e32 v31, 16, v4
	v_and_b32_e32 v30, 3, v30
	v_and_b32_e32 v31, 0x80000000, v31
	v_cndmask_b32_e32 v30, v35, v30, vcc
	v_lshl_add_u32 v0, v0, 23, v31
	v_lshl_or_b32 v0, v30, 21, v0
	v_add_u32_e32 v0, 0x38000000, v0
                                        ; implicit-def: $vgpr35
.LBB6_9716:                             ;   in Loop: Header=BB6_8948 Depth=3
	s_andn2_saveexec_b64 s[34:35], s[34:35]
; %bb.9717:                             ;   in Loop: Header=BB6_8948 Depth=3
	v_cmp_lt_i16_e32 vcc, -1, v4
	v_mov_b32_e32 v0, 0xff800000
	v_mov_b32_e32 v30, 0x7f800000
	v_cndmask_b32_e32 v0, v0, v30, vcc
	v_cmp_eq_u32_e32 vcc, 0, v35
	v_mov_b32_e32 v30, 0x7f800001
	v_cndmask_b32_e32 v0, v30, v0, vcc
; %bb.9718:                             ;   in Loop: Header=BB6_8948 Depth=3
	s_or_b64 exec, exec, s[34:35]
.LBB6_9719:                             ;   in Loop: Header=BB6_8948 Depth=3
	s_or_b64 exec, exec, s[30:31]
.LBB6_9720:                             ;   in Loop: Header=BB6_8948 Depth=3
	s_or_b64 exec, exec, s[28:29]
	v_mul_f32_e32 v32, v32, v0
	v_and_b32_e32 v35, 0x7f800000, v32
	v_mov_b32_e32 v36, v34
	v_cmp_ne_u64_e32 vcc, s[76:77], v[35:36]
	v_and_b32_e32 v30, 0x7fffff, v32
	v_mov_b32_e32 v31, v34
                                        ; implicit-def: $vgpr0
                                        ; kill: killed $vgpr0
	s_and_saveexec_b64 s[28:29], vcc
	s_xor_b64 s[30:31], exec, s[28:29]
	s_cbranch_execz .LBB6_9734
; %bb.9721:                             ;   in Loop: Header=BB6_8948 Depth=3
	v_and_b32_e32 v35, 0x7fffffff, v32
	v_mov_b32_e32 v36, v34
	v_cmp_gt_u64_e32 vcc, s[78:79], v[35:36]
	v_and_b32_sdwa v0, v32, s44 dst_sel:DWORD dst_unused:UNUSED_PAD src0_sel:BYTE_3 src1_sel:DWORD
                                        ; implicit-def: $vgpr33
                                        ; kill: killed $vgpr33
	s_and_saveexec_b64 s[28:29], vcc
	s_xor_b64 s[34:35], exec, s[28:29]
	s_cbranch_execz .LBB6_9731
; %bb.9722:                             ;   in Loop: Header=BB6_8948 Depth=3
	v_mov_b32_e32 v33, 0
	v_cmp_ne_u32_e32 vcc, 0, v32
	buffer_store_dword v33, off, s[0:3], s33 offset:256 ; 4-byte Folded Spill
	s_and_saveexec_b64 s[36:37], vcc
	s_cbranch_execz .LBB6_9730
; %bb.9723:                             ;   in Loop: Header=BB6_8948 Depth=3
	v_bfe_u32 v35, v32, 23, 8
	v_cmp_gt_u32_e64 s[28:29], s45, v35
	v_sub_u32_e32 v32, 0x71, v35
	v_cmp_eq_u32_e32 vcc, 0, v35
	v_cndmask_b32_e64 v32, 0, v32, s[28:29]
	v_mov_b32_e32 v36, 0x70
	v_cndmask_b32_e32 v36, v32, v36, vcc
	v_add_u32_e32 v32, 21, v36
	v_or_b32_e32 v33, 0x800000, v30
	v_lshlrev_b64 v[37:38], v32, -1
	v_cndmask_b32_e32 v30, v33, v30, vcc
	v_add_u32_e32 v32, 20, v36
	v_bfi_b32 v37, v37, 0, v30
	v_lshlrev_b64 v[48:49], v32, 1
	v_lshrrev_b64 v[30:31], v36, v[30:31]
	v_bfi_b32 v38, v38, 0, 0
	v_cmp_eq_u64_e64 s[28:29], v[37:38], v[48:49]
	v_mov_b32_e32 v32, v31
	v_mov_b32_e32 v31, v30
	s_and_saveexec_b64 s[38:39], s[28:29]
; %bb.9724:                             ;   in Loop: Header=BB6_8948 Depth=3
	v_bfe_u32 v31, v30, 21, 1
	v_add_co_u32_e64 v31, s[28:29], v30, v31
	v_add_co_u32_e64 v31, s[28:29], -1, v31
; %bb.9725:                             ;   in Loop: Header=BB6_8948 Depth=3
	s_or_b64 exec, exec, s[38:39]
	v_add_u32_e32 v32, 0xffffff81, v35
	v_mov_b32_e32 v33, 0xffffff82
	v_cndmask_b32_e32 v32, v32, v33, vcc
	v_lshrrev_b32_e32 v33, 23, v30
	v_add3_u32 v36, v36, v32, v33
	v_add_u32_e32 v35, 14, v36
	v_and_b32_e32 v31, 0x1fffff, v31
	v_add_u32_e32 v30, v31, v30
	v_mov_b32_e32 v31, v34
	v_cmp_ne_u32_e32 vcc, 0, v35
                                        ; implicit-def: $vgpr32
	s_and_saveexec_b64 s[28:29], vcc
	s_xor_b64 s[28:29], exec, s[28:29]
; %bb.9726:                             ;   in Loop: Header=BB6_8948 Depth=3
	v_cmp_lt_u64_e32 vcc, s[88:89], v[30:31]
	v_add_u32_e32 v32, 15, v36
	v_cndmask_b32_e64 v33, 0, 1, vcc
	v_lshrrev_b64 v[30:31], v33, v[30:31]
	v_cndmask_b32_e32 v32, v35, v32, vcc
; %bb.9727:                             ;   in Loop: Header=BB6_8948 Depth=3
	s_andn2_saveexec_b64 s[28:29], s[28:29]
; %bb.9728:                             ;   in Loop: Header=BB6_8948 Depth=3
	v_bfe_u32 v32, v30, 23, 1
; %bb.9729:                             ;   in Loop: Header=BB6_8948 Depth=3
	s_or_b64 exec, exec, s[28:29]
	v_lshrrev_b64 v[30:31], 21, v[30:31]
	v_cmp_gt_i32_e32 vcc, 32, v32
	v_cndmask_b32_e32 v31, 0, v31, vcc
	v_cndmask_b32_e32 v30, 3, v30, vcc
	v_cmp_eq_u64_e64 s[28:29], 0, v[30:31]
	v_min_i32_e32 v31, 31, v32
	v_lshlrev_b32_e32 v31, 2, v31
	v_cmp_eq_u32_e32 vcc, 0, v32
	v_and_b32_e32 v31, 0xfc, v31
	v_and_or_b32 v30, v30, 3, v31
	s_and_b64 s[28:29], vcc, s[28:29]
	v_cndmask_b32_e64 v30, v30, 0, s[28:29]
	v_or_b32_e32 v0, v30, v0
	buffer_store_dword v0, off, s[0:3], s33 offset:256 ; 4-byte Folded Spill
.LBB6_9730:                             ;   in Loop: Header=BB6_8948 Depth=3
	s_or_b64 exec, exec, s[36:37]
                                        ; implicit-def: $vgpr0
.LBB6_9731:                             ;   in Loop: Header=BB6_8948 Depth=3
	s_andn2_saveexec_b64 s[28:29], s[34:35]
	s_cbranch_execz .LBB6_9733
; %bb.9732:                             ;   in Loop: Header=BB6_8948 Depth=3
	v_or_b32_e32 v0, 0x7b, v0
	buffer_store_dword v0, off, s[0:3], s33 offset:256 ; 4-byte Folded Spill
.LBB6_9733:                             ;   in Loop: Header=BB6_8948 Depth=3
	s_or_b64 exec, exec, s[28:29]
                                        ; implicit-def: $vgpr32
                                        ; implicit-def: $vgpr30_vgpr31
.LBB6_9734:                             ;   in Loop: Header=BB6_8948 Depth=3
	s_andn2_saveexec_b64 s[28:29], s[30:31]
	s_cbranch_execz .LBB6_9740
; %bb.9735:                             ;   in Loop: Header=BB6_8948 Depth=3
	v_cmp_ne_u64_e32 vcc, 0, v[30:31]
                                        ; implicit-def: $vgpr0
                                        ; kill: killed $vgpr0
	s_and_saveexec_b64 s[30:31], vcc
	s_xor_b64 vcc, exec, s[30:31]
	s_cbranch_execz .LBB6_9737
; %bb.9736:                             ;   in Loop: Header=BB6_8948 Depth=3
	v_or_b32_sdwa v0, v32, s83 dst_sel:DWORD dst_unused:UNUSED_PAD src0_sel:BYTE_3 src1_sel:DWORD
	buffer_store_dword v0, off, s[0:3], s33 offset:256 ; 4-byte Folded Spill
                                        ; implicit-def: $vgpr32
.LBB6_9737:                             ;   in Loop: Header=BB6_8948 Depth=3
	s_andn2_saveexec_b64 s[30:31], vcc
	s_cbranch_execz .LBB6_9739
; %bb.9738:                             ;   in Loop: Header=BB6_8948 Depth=3
	v_cmp_lt_i32_e32 vcc, -1, v32
	v_bfrev_b32_e32 v0, 0.5
	v_mov_b32_e32 v30, 0x7c
	v_cndmask_b32_e32 v0, v0, v30, vcc
	buffer_store_dword v0, off, s[0:3], s33 offset:256 ; 4-byte Folded Spill
.LBB6_9739:                             ;   in Loop: Header=BB6_8948 Depth=3
	s_or_b64 exec, exec, s[30:31]
.LBB6_9740:                             ;   in Loop: Header=BB6_8948 Depth=3
	s_or_b64 exec, exec, s[28:29]
	v_lshrrev_b32_e32 v0, 16, v27
	v_cmp_ne_u16_sdwa vcc, v0, v34 src0_sel:BYTE_0 src1_sel:DWORD
	v_mov_b32_e32 v30, 0
	v_mov_b32_e32 v31, 0
	s_and_saveexec_b64 s[28:29], vcc
	s_cbranch_execz .LBB6_9748
; %bb.9741:                             ;   in Loop: Header=BB6_8948 Depth=3
	v_cmp_ne_u16_sdwa vcc, v0, s44 src0_sel:BYTE_0 src1_sel:DWORD
	v_bfrev_b32_e32 v31, 1
	s_and_saveexec_b64 s[30:31], vcc
	s_cbranch_execz .LBB6_9747
; %bb.9742:                             ;   in Loop: Header=BB6_8948 Depth=3
	v_and_b32_e32 v31, 0x7c0000, v27
	v_bfe_u32 v32, v27, 16, 2
	v_cmp_ne_u32_e32 vcc, s9, v31
                                        ; implicit-def: $vgpr31
	s_and_saveexec_b64 s[34:35], vcc
	s_xor_b64 s[34:35], exec, s[34:35]
	s_cbranch_execz .LBB6_9744
; %bb.9743:                             ;   in Loop: Header=BB6_8948 Depth=3
	v_ffbh_u32_e32 v33, v32
	v_min_u32_e32 v33, 32, v33
	v_subrev_u32_e32 v35, 29, v33
	v_lshlrev_b64 v[35:36], v35, v[0:1]
	v_bfe_u32 v31, v27, 18, 5
	v_sub_u32_e32 v0, 30, v33
	v_and_b32_e32 v33, 3, v35
	v_cmp_eq_u32_e32 vcc, 0, v31
	v_cndmask_b32_e32 v0, v31, v0, vcc
	v_cndmask_b32_e32 v31, v32, v33, vcc
	v_lshlrev_b32_e32 v32, 8, v27
	v_and_b32_e32 v32, 0x80000000, v32
	v_lshl_add_u32 v0, v0, 23, v32
	v_lshl_or_b32 v0, v31, 21, v0
	v_add_u32_e32 v31, 0x38000000, v0
                                        ; implicit-def: $vgpr32
                                        ; implicit-def: $vgpr0
.LBB6_9744:                             ;   in Loop: Header=BB6_8948 Depth=3
	s_andn2_saveexec_b64 s[34:35], s[34:35]
; %bb.9745:                             ;   in Loop: Header=BB6_8948 Depth=3
	v_mov_b32_e32 v31, -1
	v_cmp_gt_i16_sdwa vcc, sext(v0), v31 src0_sel:BYTE_0 src1_sel:DWORD
	v_mov_b32_e32 v0, 0xff800000
	v_mov_b32_e32 v31, 0x7f800000
	v_cndmask_b32_e32 v0, v0, v31, vcc
	v_cmp_eq_u32_e32 vcc, 0, v32
	v_mov_b32_e32 v31, 0x7f800001
	v_cndmask_b32_e32 v31, v31, v0, vcc
; %bb.9746:                             ;   in Loop: Header=BB6_8948 Depth=3
	s_or_b64 exec, exec, s[34:35]
.LBB6_9747:                             ;   in Loop: Header=BB6_8948 Depth=3
	s_or_b64 exec, exec, s[30:31]
.LBB6_9748:                             ;   in Loop: Header=BB6_8948 Depth=3
	s_or_b64 exec, exec, s[28:29]
	v_lshrrev_b32_e32 v0, 16, v4
	v_cmp_ne_u16_sdwa vcc, v0, v34 src0_sel:BYTE_0 src1_sel:DWORD
	s_and_saveexec_b64 s[28:29], vcc
	s_cbranch_execz .LBB6_9756
; %bb.9749:                             ;   in Loop: Header=BB6_8948 Depth=3
	v_cmp_ne_u16_sdwa vcc, v0, s44 src0_sel:BYTE_0 src1_sel:DWORD
	v_bfrev_b32_e32 v30, 1
	s_and_saveexec_b64 s[30:31], vcc
	s_cbranch_execz .LBB6_9755
; %bb.9750:                             ;   in Loop: Header=BB6_8948 Depth=3
	v_and_b32_e32 v30, 0x7c0000, v4
	v_bfe_u32 v32, v4, 16, 2
	v_cmp_ne_u32_e32 vcc, s9, v30
                                        ; implicit-def: $vgpr30
	s_and_saveexec_b64 s[34:35], vcc
	s_xor_b64 s[34:35], exec, s[34:35]
	s_cbranch_execz .LBB6_9752
; %bb.9751:                             ;   in Loop: Header=BB6_8948 Depth=3
	v_ffbh_u32_e32 v33, v32
	v_min_u32_e32 v33, 32, v33
	v_subrev_u32_e32 v35, 29, v33
	v_lshlrev_b64 v[35:36], v35, v[0:1]
	v_bfe_u32 v30, v4, 18, 5
	v_sub_u32_e32 v0, 30, v33
	v_and_b32_e32 v33, 3, v35
	v_cmp_eq_u32_e32 vcc, 0, v30
	v_cndmask_b32_e32 v0, v30, v0, vcc
	v_cndmask_b32_e32 v30, v32, v33, vcc
	v_lshlrev_b32_e32 v32, 8, v4
	v_and_b32_e32 v32, 0x80000000, v32
	v_lshl_add_u32 v0, v0, 23, v32
	v_lshl_or_b32 v0, v30, 21, v0
	v_add_u32_e32 v30, 0x38000000, v0
                                        ; implicit-def: $vgpr32
                                        ; implicit-def: $vgpr0
.LBB6_9752:                             ;   in Loop: Header=BB6_8948 Depth=3
	s_andn2_saveexec_b64 s[34:35], s[34:35]
; %bb.9753:                             ;   in Loop: Header=BB6_8948 Depth=3
	v_mov_b32_e32 v30, -1
	v_cmp_gt_i16_sdwa vcc, sext(v0), v30 src0_sel:BYTE_0 src1_sel:DWORD
	v_mov_b32_e32 v0, 0xff800000
	v_mov_b32_e32 v30, 0x7f800000
	v_cndmask_b32_e32 v0, v0, v30, vcc
	v_cmp_eq_u32_e32 vcc, 0, v32
	v_mov_b32_e32 v30, 0x7f800001
	v_cndmask_b32_e32 v30, v30, v0, vcc
; %bb.9754:                             ;   in Loop: Header=BB6_8948 Depth=3
	s_or_b64 exec, exec, s[34:35]
.LBB6_9755:                             ;   in Loop: Header=BB6_8948 Depth=3
	s_or_b64 exec, exec, s[30:31]
.LBB6_9756:                             ;   in Loop: Header=BB6_8948 Depth=3
	s_or_b64 exec, exec, s[28:29]
	v_mul_f32_e32 v35, v31, v30
	v_and_b32_e32 v31, 0x7f800000, v35
	v_mov_b32_e32 v32, v34
	v_cmp_ne_u64_e32 vcc, s[76:77], v[31:32]
	v_and_b32_e32 v30, 0x7fffff, v35
	v_mov_b32_e32 v31, v34
                                        ; implicit-def: $vgpr0
                                        ; kill: killed $vgpr0
	s_and_saveexec_b64 s[28:29], vcc
	s_xor_b64 s[30:31], exec, s[28:29]
	s_cbranch_execz .LBB6_9770
; %bb.9757:                             ;   in Loop: Header=BB6_8948 Depth=3
	v_and_b32_e32 v36, 0x7fffffff, v35
	v_mov_b32_e32 v37, v34
	v_cmp_gt_u64_e32 vcc, s[78:79], v[36:37]
	v_and_b32_sdwa v0, v35, s44 dst_sel:DWORD dst_unused:UNUSED_PAD src0_sel:BYTE_3 src1_sel:DWORD
                                        ; implicit-def: $vgpr32
                                        ; kill: killed $vgpr32
	s_and_saveexec_b64 s[28:29], vcc
	s_xor_b64 s[34:35], exec, s[28:29]
	s_cbranch_execz .LBB6_9767
; %bb.9758:                             ;   in Loop: Header=BB6_8948 Depth=3
	v_mov_b32_e32 v32, 0
	v_cmp_ne_u32_e32 vcc, 0, v35
	buffer_store_dword v32, off, s[0:3], s33 offset:264 ; 4-byte Folded Spill
	s_and_saveexec_b64 s[36:37], vcc
	s_cbranch_execz .LBB6_9766
; %bb.9759:                             ;   in Loop: Header=BB6_8948 Depth=3
	v_bfe_u32 v35, v35, 23, 8
	v_cmp_gt_u32_e64 s[28:29], s45, v35
	v_sub_u32_e32 v32, 0x71, v35
	v_cmp_eq_u32_e32 vcc, 0, v35
	v_cndmask_b32_e64 v32, 0, v32, s[28:29]
	v_mov_b32_e32 v36, 0x70
	v_cndmask_b32_e32 v36, v32, v36, vcc
	v_add_u32_e32 v32, 21, v36
	v_or_b32_e32 v33, 0x800000, v30
	v_lshlrev_b64 v[37:38], v32, -1
	v_cndmask_b32_e32 v30, v33, v30, vcc
	v_add_u32_e32 v32, 20, v36
	v_bfi_b32 v37, v37, 0, v30
	v_lshlrev_b64 v[48:49], v32, 1
	v_lshrrev_b64 v[30:31], v36, v[30:31]
	v_bfi_b32 v38, v38, 0, 0
	v_cmp_eq_u64_e64 s[28:29], v[37:38], v[48:49]
	v_mov_b32_e32 v32, v31
	v_mov_b32_e32 v31, v30
	s_and_saveexec_b64 s[38:39], s[28:29]
; %bb.9760:                             ;   in Loop: Header=BB6_8948 Depth=3
	v_bfe_u32 v31, v30, 21, 1
	v_add_co_u32_e64 v31, s[28:29], v30, v31
	v_add_co_u32_e64 v31, s[28:29], -1, v31
; %bb.9761:                             ;   in Loop: Header=BB6_8948 Depth=3
	s_or_b64 exec, exec, s[38:39]
	v_add_u32_e32 v32, 0xffffff81, v35
	v_mov_b32_e32 v33, 0xffffff82
	v_cndmask_b32_e32 v32, v32, v33, vcc
	v_lshrrev_b32_e32 v33, 23, v30
	v_add3_u32 v36, v36, v32, v33
	v_add_u32_e32 v35, 14, v36
	v_and_b32_e32 v31, 0x1fffff, v31
	v_add_u32_e32 v30, v31, v30
	v_mov_b32_e32 v31, v34
	v_cmp_ne_u32_e32 vcc, 0, v35
                                        ; implicit-def: $vgpr32
	s_and_saveexec_b64 s[28:29], vcc
	s_xor_b64 s[28:29], exec, s[28:29]
; %bb.9762:                             ;   in Loop: Header=BB6_8948 Depth=3
	v_cmp_lt_u64_e32 vcc, s[88:89], v[30:31]
	v_add_u32_e32 v32, 15, v36
	v_cndmask_b32_e64 v33, 0, 1, vcc
	v_lshrrev_b64 v[30:31], v33, v[30:31]
	v_cndmask_b32_e32 v32, v35, v32, vcc
; %bb.9763:                             ;   in Loop: Header=BB6_8948 Depth=3
	s_andn2_saveexec_b64 s[28:29], s[28:29]
; %bb.9764:                             ;   in Loop: Header=BB6_8948 Depth=3
	v_bfe_u32 v32, v30, 23, 1
; %bb.9765:                             ;   in Loop: Header=BB6_8948 Depth=3
	s_or_b64 exec, exec, s[28:29]
	v_lshrrev_b64 v[30:31], 21, v[30:31]
	v_cmp_gt_i32_e32 vcc, 32, v32
	v_cndmask_b32_e32 v31, 0, v31, vcc
	v_cndmask_b32_e32 v30, 3, v30, vcc
	v_cmp_eq_u64_e64 s[28:29], 0, v[30:31]
	v_min_i32_e32 v31, 31, v32
	v_lshlrev_b32_e32 v31, 2, v31
	v_cmp_eq_u32_e32 vcc, 0, v32
	v_and_b32_e32 v31, 0xfc, v31
	v_and_or_b32 v30, v30, 3, v31
	s_and_b64 s[28:29], vcc, s[28:29]
	v_cndmask_b32_e64 v30, v30, 0, s[28:29]
	v_or_b32_e32 v0, v30, v0
	buffer_store_dword v0, off, s[0:3], s33 offset:264 ; 4-byte Folded Spill
.LBB6_9766:                             ;   in Loop: Header=BB6_8948 Depth=3
	s_or_b64 exec, exec, s[36:37]
                                        ; implicit-def: $vgpr0
.LBB6_9767:                             ;   in Loop: Header=BB6_8948 Depth=3
	s_andn2_saveexec_b64 s[28:29], s[34:35]
	s_cbranch_execz .LBB6_9769
; %bb.9768:                             ;   in Loop: Header=BB6_8948 Depth=3
	v_or_b32_e32 v0, 0x7b, v0
	buffer_store_dword v0, off, s[0:3], s33 offset:264 ; 4-byte Folded Spill
.LBB6_9769:                             ;   in Loop: Header=BB6_8948 Depth=3
	s_or_b64 exec, exec, s[28:29]
                                        ; implicit-def: $vgpr35
                                        ; implicit-def: $vgpr30_vgpr31
.LBB6_9770:                             ;   in Loop: Header=BB6_8948 Depth=3
	s_andn2_saveexec_b64 s[28:29], s[30:31]
	s_cbranch_execz .LBB6_9776
; %bb.9771:                             ;   in Loop: Header=BB6_8948 Depth=3
	v_cmp_ne_u64_e32 vcc, 0, v[30:31]
                                        ; implicit-def: $vgpr0
                                        ; kill: killed $vgpr0
	s_and_saveexec_b64 s[30:31], vcc
	s_xor_b64 vcc, exec, s[30:31]
	s_cbranch_execz .LBB6_9773
; %bb.9772:                             ;   in Loop: Header=BB6_8948 Depth=3
	v_or_b32_sdwa v0, v35, s83 dst_sel:DWORD dst_unused:UNUSED_PAD src0_sel:BYTE_3 src1_sel:DWORD
	buffer_store_dword v0, off, s[0:3], s33 offset:264 ; 4-byte Folded Spill
                                        ; implicit-def: $vgpr35
.LBB6_9773:                             ;   in Loop: Header=BB6_8948 Depth=3
	s_andn2_saveexec_b64 s[30:31], vcc
	s_cbranch_execz .LBB6_9775
; %bb.9774:                             ;   in Loop: Header=BB6_8948 Depth=3
	v_cmp_lt_i32_e32 vcc, -1, v35
	v_bfrev_b32_e32 v0, 0.5
	v_mov_b32_e32 v30, 0x7c
	v_cndmask_b32_e32 v0, v0, v30, vcc
	buffer_store_dword v0, off, s[0:3], s33 offset:264 ; 4-byte Folded Spill
.LBB6_9775:                             ;   in Loop: Header=BB6_8948 Depth=3
	s_or_b64 exec, exec, s[30:31]
.LBB6_9776:                             ;   in Loop: Header=BB6_8948 Depth=3
	s_or_b64 exec, exec, s[28:29]
	v_cmp_lt_u64_e32 vcc, s[56:57], v[26:27]
	v_mov_b32_e32 v30, 0
	v_mov_b32_e32 v31, 0
	s_and_saveexec_b64 s[28:29], vcc
	s_cbranch_execz .LBB6_9784
; %bb.9777:                             ;   in Loop: Header=BB6_8948 Depth=3
	v_lshrrev_b32_e32 v0, 24, v27
	v_cmp_ne_u32_e32 vcc, s44, v0
	v_bfrev_b32_e32 v31, 1
	s_and_saveexec_b64 s[30:31], vcc
	s_cbranch_execz .LBB6_9783
; %bb.9778:                             ;   in Loop: Header=BB6_8948 Depth=3
	v_and_b32_e32 v31, 0x7c000000, v27
	v_bfe_u32 v35, v27, 24, 2
	v_cmp_ne_u32_e32 vcc, s8, v31
                                        ; implicit-def: $vgpr31
	s_and_saveexec_b64 s[34:35], vcc
	s_xor_b64 s[34:35], exec, s[34:35]
	s_cbranch_execz .LBB6_9780
; %bb.9779:                             ;   in Loop: Header=BB6_8948 Depth=3
	v_ffbh_u32_e32 v32, v35
	v_min_u32_e32 v32, 32, v32
	v_subrev_u32_e32 v33, 29, v32
	v_lshlrev_b64 v[36:37], v33, v[0:1]
	v_bfe_u32 v31, v27, 26, 5
	v_sub_u32_e32 v0, 30, v32
	v_and_b32_e32 v32, 3, v36
	v_cmp_eq_u32_e32 vcc, 0, v31
	v_cndmask_b32_e32 v0, v31, v0, vcc
	v_cndmask_b32_e32 v31, v35, v32, vcc
	v_and_b32_e32 v32, 0x80000000, v27
	v_lshl_add_u32 v0, v0, 23, v32
	v_lshl_or_b32 v0, v31, 21, v0
	v_add_u32_e32 v31, 0x38000000, v0
                                        ; implicit-def: $vgpr35
.LBB6_9780:                             ;   in Loop: Header=BB6_8948 Depth=3
	s_andn2_saveexec_b64 s[34:35], s[34:35]
; %bb.9781:                             ;   in Loop: Header=BB6_8948 Depth=3
	v_cmp_lt_i64_e32 vcc, -1, v[26:27]
	v_mov_b32_e32 v0, 0xff800000
	v_mov_b32_e32 v26, 0x7f800000
	v_cndmask_b32_e32 v0, v0, v26, vcc
	v_cmp_eq_u32_e32 vcc, 0, v35
	v_mov_b32_e32 v26, 0x7f800001
	v_cndmask_b32_e32 v31, v26, v0, vcc
; %bb.9782:                             ;   in Loop: Header=BB6_8948 Depth=3
	s_or_b64 exec, exec, s[34:35]
.LBB6_9783:                             ;   in Loop: Header=BB6_8948 Depth=3
	s_or_b64 exec, exec, s[30:31]
.LBB6_9784:                             ;   in Loop: Header=BB6_8948 Depth=3
	s_or_b64 exec, exec, s[28:29]
	v_cmp_lt_u64_e32 vcc, s[56:57], v[3:4]
	s_and_saveexec_b64 s[28:29], vcc
	s_cbranch_execz .LBB6_9792
; %bb.9785:                             ;   in Loop: Header=BB6_8948 Depth=3
	v_lshrrev_b32_e32 v0, 24, v4
	v_cmp_ne_u32_e32 vcc, s44, v0
	v_bfrev_b32_e32 v30, 1
	s_and_saveexec_b64 s[30:31], vcc
	s_cbranch_execz .LBB6_9791
; %bb.9786:                             ;   in Loop: Header=BB6_8948 Depth=3
	v_and_b32_e32 v27, 0x7c000000, v4
	v_bfe_u32 v26, v4, 24, 2
	v_cmp_ne_u32_e32 vcc, s8, v27
                                        ; implicit-def: $vgpr30
	s_and_saveexec_b64 s[34:35], vcc
	s_xor_b64 s[34:35], exec, s[34:35]
	s_cbranch_execz .LBB6_9788
; %bb.9787:                             ;   in Loop: Header=BB6_8948 Depth=3
	v_ffbh_u32_e32 v30, v26
	v_min_u32_e32 v30, 32, v30
	v_subrev_u32_e32 v32, 29, v30
	v_bfe_u32 v27, v4, 26, 5
	v_lshlrev_b64 v[35:36], v32, v[0:1]
	v_sub_u32_e32 v0, 30, v30
	v_cmp_eq_u32_e32 vcc, 0, v27
	v_and_b32_e32 v30, 3, v35
	v_cndmask_b32_e32 v0, v27, v0, vcc
	v_and_b32_e32 v27, 0x80000000, v4
	v_cndmask_b32_e32 v26, v26, v30, vcc
	v_lshl_add_u32 v0, v0, 23, v27
	v_lshl_or_b32 v0, v26, 21, v0
	v_add_u32_e32 v30, 0x38000000, v0
                                        ; implicit-def: $vgpr26
.LBB6_9788:                             ;   in Loop: Header=BB6_8948 Depth=3
	s_andn2_saveexec_b64 s[34:35], s[34:35]
; %bb.9789:                             ;   in Loop: Header=BB6_8948 Depth=3
	v_cmp_lt_i64_e32 vcc, -1, v[3:4]
	v_mov_b32_e32 v0, 0xff800000
	v_mov_b32_e32 v3, 0x7f800000
	v_cndmask_b32_e32 v0, v0, v3, vcc
	v_cmp_eq_u32_e32 vcc, 0, v26
	v_mov_b32_e32 v3, 0x7f800001
	v_cndmask_b32_e32 v30, v3, v0, vcc
; %bb.9790:                             ;   in Loop: Header=BB6_8948 Depth=3
	s_or_b64 exec, exec, s[34:35]
.LBB6_9791:                             ;   in Loop: Header=BB6_8948 Depth=3
	s_or_b64 exec, exec, s[30:31]
.LBB6_9792:                             ;   in Loop: Header=BB6_8948 Depth=3
	s_or_b64 exec, exec, s[28:29]
	v_mul_f32_e32 v26, v31, v30
	v_and_b32_e32 v30, 0x7f800000, v26
	v_mov_b32_e32 v31, v34
	v_cmp_ne_u64_e32 vcc, s[76:77], v[30:31]
	v_and_b32_e32 v3, 0x7fffff, v26
	v_mov_b32_e32 v4, v34
                                        ; implicit-def: $vgpr0
                                        ; kill: killed $vgpr0
	s_and_saveexec_b64 s[28:29], vcc
	s_xor_b64 s[30:31], exec, s[28:29]
	s_cbranch_execz .LBB6_9806
; %bb.9793:                             ;   in Loop: Header=BB6_8948 Depth=3
	v_and_b32_e32 v30, 0x7fffffff, v26
	v_mov_b32_e32 v31, v34
	v_cmp_gt_u64_e32 vcc, s[78:79], v[30:31]
	v_and_b32_sdwa v0, v26, s44 dst_sel:DWORD dst_unused:UNUSED_PAD src0_sel:BYTE_3 src1_sel:DWORD
                                        ; implicit-def: $vgpr27
                                        ; kill: killed $vgpr27
	s_and_saveexec_b64 s[28:29], vcc
	s_xor_b64 s[34:35], exec, s[28:29]
	s_cbranch_execz .LBB6_9803
; %bb.9794:                             ;   in Loop: Header=BB6_8948 Depth=3
	v_mov_b32_e32 v27, 0
	v_cmp_ne_u32_e32 vcc, 0, v26
	buffer_store_dword v27, off, s[0:3], s33 offset:376 ; 4-byte Folded Spill
	s_and_saveexec_b64 s[36:37], vcc
	s_cbranch_execz .LBB6_9802
; %bb.9795:                             ;   in Loop: Header=BB6_8948 Depth=3
	v_bfe_u32 v30, v26, 23, 8
	v_cmp_gt_u32_e64 s[28:29], s45, v30
	v_sub_u32_e32 v26, 0x71, v30
	v_cmp_eq_u32_e32 vcc, 0, v30
	v_cndmask_b32_e64 v26, 0, v26, s[28:29]
	v_mov_b32_e32 v31, 0x70
	v_cndmask_b32_e32 v31, v26, v31, vcc
	v_or_b32_e32 v27, 0x800000, v3
	v_add_u32_e32 v26, 21, v31
	v_cndmask_b32_e32 v3, v27, v3, vcc
	v_lshlrev_b64 v[26:27], v26, -1
	v_add_u32_e32 v32, 20, v31
	v_bfi_b32 v26, v26, 0, v3
	v_lshlrev_b64 v[35:36], v32, 1
	v_lshrrev_b64 v[3:4], v31, v[3:4]
	v_bfi_b32 v27, v27, 0, 0
	v_cmp_eq_u64_e64 s[28:29], v[26:27], v[35:36]
	v_mov_b32_e32 v27, v4
	v_mov_b32_e32 v26, v3
	s_and_saveexec_b64 s[38:39], s[28:29]
; %bb.9796:                             ;   in Loop: Header=BB6_8948 Depth=3
	v_bfe_u32 v4, v3, 21, 1
	v_add_co_u32_e64 v4, s[28:29], v3, v4
	v_add_co_u32_e64 v26, s[28:29], -1, v4
; %bb.9797:                             ;   in Loop: Header=BB6_8948 Depth=3
	s_or_b64 exec, exec, s[38:39]
	v_add_u32_e32 v4, 0xffffff81, v30
	v_mov_b32_e32 v27, 0xffffff82
	v_cndmask_b32_e32 v4, v4, v27, vcc
	v_lshrrev_b32_e32 v27, 23, v3
	v_add3_u32 v30, v31, v4, v27
	v_add_u32_e32 v27, 14, v30
	v_and_b32_e32 v4, 0x1fffff, v26
	v_add_u32_e32 v3, v4, v3
	v_mov_b32_e32 v4, v34
	v_cmp_ne_u32_e32 vcc, 0, v27
                                        ; implicit-def: $vgpr26
	s_and_saveexec_b64 s[28:29], vcc
	s_xor_b64 s[28:29], exec, s[28:29]
; %bb.9798:                             ;   in Loop: Header=BB6_8948 Depth=3
	v_cmp_lt_u64_e32 vcc, s[88:89], v[3:4]
	v_add_u32_e32 v26, 15, v30
	v_cndmask_b32_e32 v26, v27, v26, vcc
	v_cndmask_b32_e64 v27, 0, 1, vcc
	v_lshrrev_b64 v[3:4], v27, v[3:4]
; %bb.9799:                             ;   in Loop: Header=BB6_8948 Depth=3
	s_andn2_saveexec_b64 s[28:29], s[28:29]
; %bb.9800:                             ;   in Loop: Header=BB6_8948 Depth=3
	v_bfe_u32 v26, v3, 23, 1
; %bb.9801:                             ;   in Loop: Header=BB6_8948 Depth=3
	s_or_b64 exec, exec, s[28:29]
	v_lshrrev_b64 v[3:4], 21, v[3:4]
	v_cmp_gt_i32_e32 vcc, 32, v26
	v_cndmask_b32_e32 v4, 0, v4, vcc
	v_cndmask_b32_e32 v3, 3, v3, vcc
	v_cmp_eq_u64_e64 s[28:29], 0, v[3:4]
	v_min_i32_e32 v4, 31, v26
	v_lshlrev_b32_e32 v4, 2, v4
	v_cmp_eq_u32_e32 vcc, 0, v26
	v_and_b32_e32 v4, 0xfc, v4
	v_and_or_b32 v3, v3, 3, v4
	s_and_b64 s[28:29], vcc, s[28:29]
	v_cndmask_b32_e64 v3, v3, 0, s[28:29]
	v_or_b32_e32 v0, v3, v0
	buffer_store_dword v0, off, s[0:3], s33 offset:376 ; 4-byte Folded Spill
.LBB6_9802:                             ;   in Loop: Header=BB6_8948 Depth=3
	s_or_b64 exec, exec, s[36:37]
                                        ; implicit-def: $vgpr0
.LBB6_9803:                             ;   in Loop: Header=BB6_8948 Depth=3
	s_andn2_saveexec_b64 s[28:29], s[34:35]
	s_cbranch_execz .LBB6_9805
; %bb.9804:                             ;   in Loop: Header=BB6_8948 Depth=3
	v_or_b32_e32 v0, 0x7b, v0
	buffer_store_dword v0, off, s[0:3], s33 offset:376 ; 4-byte Folded Spill
.LBB6_9805:                             ;   in Loop: Header=BB6_8948 Depth=3
	s_or_b64 exec, exec, s[28:29]
                                        ; implicit-def: $vgpr26
                                        ; implicit-def: $vgpr3_vgpr4
.LBB6_9806:                             ;   in Loop: Header=BB6_8948 Depth=3
	s_andn2_saveexec_b64 s[28:29], s[30:31]
	s_cbranch_execz .LBB6_9812
; %bb.9807:                             ;   in Loop: Header=BB6_8948 Depth=3
	v_cmp_ne_u64_e32 vcc, 0, v[3:4]
                                        ; implicit-def: $vgpr0
                                        ; kill: killed $vgpr0
	s_and_saveexec_b64 s[30:31], vcc
	s_xor_b64 vcc, exec, s[30:31]
	s_cbranch_execz .LBB6_9809
; %bb.9808:                             ;   in Loop: Header=BB6_8948 Depth=3
	v_or_b32_sdwa v0, v26, s83 dst_sel:DWORD dst_unused:UNUSED_PAD src0_sel:BYTE_3 src1_sel:DWORD
	buffer_store_dword v0, off, s[0:3], s33 offset:376 ; 4-byte Folded Spill
                                        ; implicit-def: $vgpr26
.LBB6_9809:                             ;   in Loop: Header=BB6_8948 Depth=3
	s_andn2_saveexec_b64 s[30:31], vcc
	s_cbranch_execz .LBB6_9811
; %bb.9810:                             ;   in Loop: Header=BB6_8948 Depth=3
	v_cmp_lt_i32_e32 vcc, -1, v26
	v_bfrev_b32_e32 v0, 0.5
	v_mov_b32_e32 v3, 0x7c
	v_cndmask_b32_e32 v0, v0, v3, vcc
	buffer_store_dword v0, off, s[0:3], s33 offset:376 ; 4-byte Folded Spill
.LBB6_9811:                             ;   in Loop: Header=BB6_8948 Depth=3
	s_or_b64 exec, exec, s[30:31]
.LBB6_9812:                             ;   in Loop: Header=BB6_8948 Depth=3
	s_or_b64 exec, exec, s[28:29]
	v_cmp_ne_u16_sdwa vcc, v28, v34 src0_sel:BYTE_0 src1_sel:DWORD
	v_mov_b32_e32 v0, 0
	v_mov_b32_e32 v3, 0
	s_and_saveexec_b64 s[28:29], vcc
	s_cbranch_execz .LBB6_9820
; %bb.9813:                             ;   in Loop: Header=BB6_8948 Depth=3
	v_cmp_ne_u16_sdwa vcc, sext(v28), s80 src0_sel:BYTE_0 src1_sel:DWORD
	v_bfrev_b32_e32 v3, 1
	s_and_saveexec_b64 s[30:31], vcc
	s_cbranch_execz .LBB6_9819
; %bb.9814:                             ;   in Loop: Header=BB6_8948 Depth=3
	v_and_b32_e32 v3, 0x7c, v28
	v_and_b32_e32 v4, 3, v28
	v_cmp_ne_u32_e32 vcc, s81, v3
                                        ; implicit-def: $vgpr3
	s_and_saveexec_b64 s[34:35], vcc
	s_xor_b64 s[34:35], exec, s[34:35]
	s_cbranch_execz .LBB6_9816
; %bb.9815:                             ;   in Loop: Header=BB6_8948 Depth=3
	v_ffbh_u32_e32 v26, v4
	v_min_u32_e32 v30, 32, v26
	v_subrev_u32_e32 v26, 29, v30
	v_lshlrev_b64 v[26:27], v26, v[28:29]
	v_bfe_u32 v3, v28, 2, 5
	v_and_b32_e32 v26, 3, v26
	v_cmp_eq_u32_e32 vcc, 0, v3
	v_sub_u32_e32 v27, 30, v30
	v_cndmask_b32_e32 v4, v4, v26, vcc
	v_lshlrev_b32_e32 v26, 24, v28
	v_cndmask_b32_e32 v3, v3, v27, vcc
	v_and_b32_e32 v26, 0x80000000, v26
	v_lshl_add_u32 v3, v3, 23, v26
	v_lshl_or_b32 v3, v4, 21, v3
	v_add_u32_e32 v3, 0x38000000, v3
                                        ; implicit-def: $vgpr4
.LBB6_9816:                             ;   in Loop: Header=BB6_8948 Depth=3
	s_andn2_saveexec_b64 s[34:35], s[34:35]
; %bb.9817:                             ;   in Loop: Header=BB6_8948 Depth=3
	v_mov_b32_e32 v3, -1
	v_cmp_gt_i16_sdwa vcc, sext(v28), v3 src0_sel:BYTE_0 src1_sel:DWORD
	v_mov_b32_e32 v3, 0xff800000
	v_mov_b32_e32 v26, 0x7f800000
	v_cndmask_b32_e32 v3, v3, v26, vcc
	v_cmp_eq_u32_e32 vcc, 0, v4
	v_mov_b32_e32 v4, 0x7f800001
	v_cndmask_b32_e32 v3, v4, v3, vcc
; %bb.9818:                             ;   in Loop: Header=BB6_8948 Depth=3
	s_or_b64 exec, exec, s[34:35]
.LBB6_9819:                             ;   in Loop: Header=BB6_8948 Depth=3
	s_or_b64 exec, exec, s[30:31]
.LBB6_9820:                             ;   in Loop: Header=BB6_8948 Depth=3
	s_or_b64 exec, exec, s[28:29]
	v_cmp_ne_u16_sdwa vcc, v5, v34 src0_sel:BYTE_0 src1_sel:DWORD
	s_and_saveexec_b64 s[28:29], vcc
	s_cbranch_execz .LBB6_9828
; %bb.9821:                             ;   in Loop: Header=BB6_8948 Depth=3
	v_cmp_ne_u16_sdwa vcc, sext(v5), s80 src0_sel:BYTE_0 src1_sel:DWORD
	v_bfrev_b32_e32 v0, 1
	s_and_saveexec_b64 s[30:31], vcc
	s_cbranch_execz .LBB6_9827
; %bb.9822:                             ;   in Loop: Header=BB6_8948 Depth=3
	v_and_b32_e32 v0, 0x7c, v5
	v_and_b32_e32 v4, 3, v5
	v_cmp_ne_u32_e32 vcc, s81, v0
                                        ; implicit-def: $vgpr0
	s_and_saveexec_b64 s[34:35], vcc
	s_xor_b64 s[34:35], exec, s[34:35]
	s_cbranch_execz .LBB6_9824
; %bb.9823:                             ;   in Loop: Header=BB6_8948 Depth=3
	v_ffbh_u32_e32 v26, v4
	v_min_u32_e32 v30, 32, v26
	v_subrev_u32_e32 v26, 29, v30
	v_lshlrev_b64 v[26:27], v26, v[5:6]
	v_bfe_u32 v0, v5, 2, 5
	v_and_b32_e32 v26, 3, v26
	v_cmp_eq_u32_e32 vcc, 0, v0
	v_sub_u32_e32 v27, 30, v30
	v_cndmask_b32_e32 v4, v4, v26, vcc
	v_lshlrev_b32_e32 v26, 24, v5
	v_cndmask_b32_e32 v0, v0, v27, vcc
	v_and_b32_e32 v26, 0x80000000, v26
	v_lshl_add_u32 v0, v0, 23, v26
	v_lshl_or_b32 v0, v4, 21, v0
	v_add_u32_e32 v0, 0x38000000, v0
                                        ; implicit-def: $vgpr4
.LBB6_9824:                             ;   in Loop: Header=BB6_8948 Depth=3
	s_andn2_saveexec_b64 s[34:35], s[34:35]
; %bb.9825:                             ;   in Loop: Header=BB6_8948 Depth=3
	v_mov_b32_e32 v0, -1
	v_cmp_gt_i16_sdwa vcc, sext(v5), v0 src0_sel:BYTE_0 src1_sel:DWORD
	v_mov_b32_e32 v0, 0xff800000
	v_mov_b32_e32 v26, 0x7f800000
	v_cndmask_b32_e32 v0, v0, v26, vcc
	v_cmp_eq_u32_e32 vcc, 0, v4
	v_mov_b32_e32 v4, 0x7f800001
	v_cndmask_b32_e32 v0, v4, v0, vcc
; %bb.9826:                             ;   in Loop: Header=BB6_8948 Depth=3
	s_or_b64 exec, exec, s[34:35]
.LBB6_9827:                             ;   in Loop: Header=BB6_8948 Depth=3
	s_or_b64 exec, exec, s[30:31]
.LBB6_9828:                             ;   in Loop: Header=BB6_8948 Depth=3
	s_or_b64 exec, exec, s[28:29]
	v_mul_f32_e32 v26, v3, v0
	v_and_b32_e32 v30, 0x7f800000, v26
	v_mov_b32_e32 v31, v34
	v_cmp_ne_u64_e32 vcc, s[76:77], v[30:31]
	v_and_b32_e32 v3, 0x7fffff, v26
	v_mov_b32_e32 v4, v34
                                        ; implicit-def: $vgpr60
	s_and_saveexec_b64 s[28:29], vcc
	s_xor_b64 s[30:31], exec, s[28:29]
	s_cbranch_execz .LBB6_9842
; %bb.9829:                             ;   in Loop: Header=BB6_8948 Depth=3
	v_and_b32_e32 v30, 0x7fffffff, v26
	v_mov_b32_e32 v31, v34
	v_cmp_gt_u64_e32 vcc, s[78:79], v[30:31]
	v_and_b32_sdwa v0, v26, s44 dst_sel:DWORD dst_unused:UNUSED_PAD src0_sel:BYTE_3 src1_sel:DWORD
                                        ; implicit-def: $vgpr60
	s_and_saveexec_b64 s[28:29], vcc
	s_xor_b64 s[34:35], exec, s[28:29]
	s_cbranch_execz .LBB6_9839
; %bb.9830:                             ;   in Loop: Header=BB6_8948 Depth=3
	v_mov_b32_e32 v60, 0
	v_cmp_ne_u32_e32 vcc, 0, v26
	s_and_saveexec_b64 s[36:37], vcc
	s_cbranch_execz .LBB6_9838
; %bb.9831:                             ;   in Loop: Header=BB6_8948 Depth=3
	v_bfe_u32 v30, v26, 23, 8
	v_cmp_gt_u32_e64 s[28:29], s45, v30
	v_sub_u32_e32 v26, 0x71, v30
	v_cmp_eq_u32_e32 vcc, 0, v30
	v_cndmask_b32_e64 v26, 0, v26, s[28:29]
	v_mov_b32_e32 v31, 0x70
	v_cndmask_b32_e32 v31, v26, v31, vcc
	v_or_b32_e32 v27, 0x800000, v3
	v_add_u32_e32 v26, 21, v31
	v_cndmask_b32_e32 v3, v27, v3, vcc
	v_lshlrev_b64 v[26:27], v26, -1
	v_add_u32_e32 v32, 20, v31
	v_bfi_b32 v26, v26, 0, v3
	v_lshlrev_b64 v[35:36], v32, 1
	v_lshrrev_b64 v[3:4], v31, v[3:4]
	v_bfi_b32 v27, v27, 0, 0
	v_cmp_eq_u64_e64 s[28:29], v[26:27], v[35:36]
	v_mov_b32_e32 v27, v4
	v_mov_b32_e32 v26, v3
	s_and_saveexec_b64 s[38:39], s[28:29]
; %bb.9832:                             ;   in Loop: Header=BB6_8948 Depth=3
	v_bfe_u32 v4, v3, 21, 1
	v_add_co_u32_e64 v4, s[28:29], v3, v4
	v_add_co_u32_e64 v26, s[28:29], -1, v4
; %bb.9833:                             ;   in Loop: Header=BB6_8948 Depth=3
	s_or_b64 exec, exec, s[38:39]
	v_add_u32_e32 v4, 0xffffff81, v30
	v_mov_b32_e32 v27, 0xffffff82
	v_cndmask_b32_e32 v4, v4, v27, vcc
	v_lshrrev_b32_e32 v27, 23, v3
	v_add3_u32 v30, v31, v4, v27
	v_add_u32_e32 v27, 14, v30
	v_and_b32_e32 v4, 0x1fffff, v26
	v_add_u32_e32 v3, v4, v3
	v_mov_b32_e32 v4, v34
	v_cmp_ne_u32_e32 vcc, 0, v27
                                        ; implicit-def: $vgpr26
	s_and_saveexec_b64 s[28:29], vcc
	s_xor_b64 s[28:29], exec, s[28:29]
; %bb.9834:                             ;   in Loop: Header=BB6_8948 Depth=3
	v_cmp_lt_u64_e32 vcc, s[88:89], v[3:4]
	v_add_u32_e32 v26, 15, v30
	v_cndmask_b32_e32 v26, v27, v26, vcc
	v_cndmask_b32_e64 v27, 0, 1, vcc
	v_lshrrev_b64 v[3:4], v27, v[3:4]
; %bb.9835:                             ;   in Loop: Header=BB6_8948 Depth=3
	s_andn2_saveexec_b64 s[28:29], s[28:29]
; %bb.9836:                             ;   in Loop: Header=BB6_8948 Depth=3
	v_bfe_u32 v26, v3, 23, 1
; %bb.9837:                             ;   in Loop: Header=BB6_8948 Depth=3
	s_or_b64 exec, exec, s[28:29]
	v_lshrrev_b64 v[3:4], 21, v[3:4]
	v_cmp_gt_i32_e32 vcc, 32, v26
	v_cndmask_b32_e32 v4, 0, v4, vcc
	v_cndmask_b32_e32 v3, 3, v3, vcc
	v_cmp_eq_u64_e64 s[28:29], 0, v[3:4]
	v_min_i32_e32 v4, 31, v26
	v_lshlrev_b32_e32 v4, 2, v4
	v_cmp_eq_u32_e32 vcc, 0, v26
	v_and_b32_e32 v4, 0xfc, v4
	v_and_or_b32 v3, v3, 3, v4
	s_and_b64 s[28:29], vcc, s[28:29]
	v_cndmask_b32_e64 v3, v3, 0, s[28:29]
	v_or_b32_e32 v60, v3, v0
.LBB6_9838:                             ;   in Loop: Header=BB6_8948 Depth=3
	s_or_b64 exec, exec, s[36:37]
                                        ; implicit-def: $vgpr0
.LBB6_9839:                             ;   in Loop: Header=BB6_8948 Depth=3
	s_andn2_saveexec_b64 s[28:29], s[34:35]
; %bb.9840:                             ;   in Loop: Header=BB6_8948 Depth=3
	v_or_b32_e32 v60, 0x7b, v0
; %bb.9841:                             ;   in Loop: Header=BB6_8948 Depth=3
	s_or_b64 exec, exec, s[28:29]
                                        ; implicit-def: $vgpr26
                                        ; implicit-def: $vgpr3_vgpr4
.LBB6_9842:                             ;   in Loop: Header=BB6_8948 Depth=3
	s_andn2_saveexec_b64 s[28:29], s[30:31]
	s_cbranch_execz .LBB6_9848
; %bb.9843:                             ;   in Loop: Header=BB6_8948 Depth=3
	v_cmp_ne_u64_e32 vcc, 0, v[3:4]
                                        ; implicit-def: $vgpr60
	s_and_saveexec_b64 s[30:31], vcc
	s_xor_b64 vcc, exec, s[30:31]
; %bb.9844:                             ;   in Loop: Header=BB6_8948 Depth=3
	v_or_b32_sdwa v60, v26, s83 dst_sel:DWORD dst_unused:UNUSED_PAD src0_sel:BYTE_3 src1_sel:DWORD
                                        ; implicit-def: $vgpr26
; %bb.9845:                             ;   in Loop: Header=BB6_8948 Depth=3
	s_andn2_saveexec_b64 s[30:31], vcc
; %bb.9846:                             ;   in Loop: Header=BB6_8948 Depth=3
	v_cmp_lt_i32_e32 vcc, -1, v26
	v_bfrev_b32_e32 v0, 0.5
	v_mov_b32_e32 v3, 0x7c
	v_cndmask_b32_e32 v60, v0, v3, vcc
; %bb.9847:                             ;   in Loop: Header=BB6_8948 Depth=3
	s_or_b64 exec, exec, s[30:31]
.LBB6_9848:                             ;   in Loop: Header=BB6_8948 Depth=3
	s_or_b64 exec, exec, s[28:29]
	v_lshrrev_b16_e32 v3, 8, v28
	v_cmp_ne_u16_e32 vcc, 0, v3
	v_mov_b32_e32 v0, 0
	v_mov_b32_e32 v26, 0
	s_and_saveexec_b64 s[28:29], vcc
	s_cbranch_execz .LBB6_9856
; %bb.9849:                             ;   in Loop: Header=BB6_8948 Depth=3
	v_cmp_ne_u16_e32 vcc, s44, v3
	v_bfrev_b32_e32 v26, 1
	s_and_saveexec_b64 s[30:31], vcc
	s_cbranch_execz .LBB6_9855
; %bb.9850:                             ;   in Loop: Header=BB6_8948 Depth=3
	v_and_b32_e32 v4, 0x7c, v3
	v_and_b32_e32 v27, 3, v3
	v_cmp_ne_u32_e32 vcc, s81, v4
                                        ; implicit-def: $vgpr26
	s_and_saveexec_b64 s[34:35], vcc
	s_xor_b64 s[34:35], exec, s[34:35]
	s_cbranch_execz .LBB6_9852
; %bb.9851:                             ;   in Loop: Header=BB6_8948 Depth=3
	v_ffbh_u32_e32 v30, v27
	v_min_u32_e32 v30, 32, v30
	v_mov_b32_e32 v4, v34
	v_subrev_u32_e32 v31, 29, v30
	v_bfe_u32 v26, v3, 2, 5
	v_lshlrev_b64 v[3:4], v31, v[3:4]
	v_sub_u32_e32 v4, 30, v30
	v_cmp_eq_u32_e32 vcc, 0, v26
	v_cndmask_b32_e32 v4, v26, v4, vcc
	v_lshlrev_b32_e32 v26, 16, v28
	v_and_b32_e32 v3, 3, v3
	v_and_b32_e32 v26, 0x80000000, v26
	v_cndmask_b32_e32 v3, v27, v3, vcc
	v_lshl_add_u32 v4, v4, 23, v26
	v_lshl_or_b32 v3, v3, 21, v4
	v_add_u32_e32 v26, 0x38000000, v3
                                        ; implicit-def: $vgpr27
.LBB6_9852:                             ;   in Loop: Header=BB6_8948 Depth=3
	s_andn2_saveexec_b64 s[34:35], s[34:35]
; %bb.9853:                             ;   in Loop: Header=BB6_8948 Depth=3
	v_cmp_lt_i16_e32 vcc, -1, v28
	v_mov_b32_e32 v3, 0xff800000
	v_mov_b32_e32 v4, 0x7f800000
	v_cndmask_b32_e32 v3, v3, v4, vcc
	v_cmp_eq_u32_e32 vcc, 0, v27
	v_mov_b32_e32 v4, 0x7f800001
	v_cndmask_b32_e32 v26, v4, v3, vcc
; %bb.9854:                             ;   in Loop: Header=BB6_8948 Depth=3
	s_or_b64 exec, exec, s[34:35]
.LBB6_9855:                             ;   in Loop: Header=BB6_8948 Depth=3
	s_or_b64 exec, exec, s[30:31]
.LBB6_9856:                             ;   in Loop: Header=BB6_8948 Depth=3
	s_or_b64 exec, exec, s[28:29]
	v_lshrrev_b16_e32 v3, 8, v5
	v_cmp_ne_u16_e32 vcc, 0, v3
	s_and_saveexec_b64 s[28:29], vcc
	s_cbranch_execz .LBB6_9864
; %bb.9857:                             ;   in Loop: Header=BB6_8948 Depth=3
	v_cmp_ne_u16_e32 vcc, s44, v3
	v_bfrev_b32_e32 v0, 1
	s_and_saveexec_b64 s[30:31], vcc
	s_cbranch_execz .LBB6_9863
; %bb.9858:                             ;   in Loop: Header=BB6_8948 Depth=3
	v_and_b32_e32 v0, 0x7c, v3
	v_and_b32_e32 v27, 3, v3
	v_cmp_ne_u32_e32 vcc, s81, v0
                                        ; implicit-def: $vgpr0
	s_and_saveexec_b64 s[34:35], vcc
	s_xor_b64 s[34:35], exec, s[34:35]
	s_cbranch_execz .LBB6_9860
; %bb.9859:                             ;   in Loop: Header=BB6_8948 Depth=3
	v_ffbh_u32_e32 v30, v27
	v_min_u32_e32 v30, 32, v30
	v_mov_b32_e32 v4, v34
	v_subrev_u32_e32 v31, 29, v30
	v_bfe_u32 v0, v3, 2, 5
	v_lshlrev_b64 v[3:4], v31, v[3:4]
	v_sub_u32_e32 v4, 30, v30
	v_cmp_eq_u32_e32 vcc, 0, v0
	v_cndmask_b32_e32 v0, v0, v4, vcc
	v_lshlrev_b32_e32 v4, 16, v5
	v_and_b32_e32 v3, 3, v3
	v_and_b32_e32 v4, 0x80000000, v4
	v_cndmask_b32_e32 v3, v27, v3, vcc
	v_lshl_add_u32 v0, v0, 23, v4
	v_lshl_or_b32 v0, v3, 21, v0
	v_add_u32_e32 v0, 0x38000000, v0
                                        ; implicit-def: $vgpr27
.LBB6_9860:                             ;   in Loop: Header=BB6_8948 Depth=3
	s_andn2_saveexec_b64 s[34:35], s[34:35]
; %bb.9861:                             ;   in Loop: Header=BB6_8948 Depth=3
	v_cmp_lt_i16_e32 vcc, -1, v5
	v_mov_b32_e32 v0, 0xff800000
	v_mov_b32_e32 v3, 0x7f800000
	v_cndmask_b32_e32 v0, v0, v3, vcc
	v_cmp_eq_u32_e32 vcc, 0, v27
	v_mov_b32_e32 v3, 0x7f800001
	v_cndmask_b32_e32 v0, v3, v0, vcc
; %bb.9862:                             ;   in Loop: Header=BB6_8948 Depth=3
	s_or_b64 exec, exec, s[34:35]
.LBB6_9863:                             ;   in Loop: Header=BB6_8948 Depth=3
	s_or_b64 exec, exec, s[30:31]
.LBB6_9864:                             ;   in Loop: Header=BB6_8948 Depth=3
	s_or_b64 exec, exec, s[28:29]
	v_mul_f32_e32 v26, v26, v0
	v_and_b32_e32 v30, 0x7f800000, v26
	v_mov_b32_e32 v31, v34
	v_cmp_ne_u64_e32 vcc, s[76:77], v[30:31]
	v_and_b32_e32 v3, 0x7fffff, v26
	v_mov_b32_e32 v4, v34
                                        ; implicit-def: $vgpr61
	s_and_saveexec_b64 s[28:29], vcc
	s_xor_b64 s[30:31], exec, s[28:29]
	s_cbranch_execz .LBB6_9878
; %bb.9865:                             ;   in Loop: Header=BB6_8948 Depth=3
	v_and_b32_e32 v30, 0x7fffffff, v26
	v_mov_b32_e32 v31, v34
	v_cmp_gt_u64_e32 vcc, s[78:79], v[30:31]
	v_and_b32_sdwa v0, v26, s44 dst_sel:DWORD dst_unused:UNUSED_PAD src0_sel:BYTE_3 src1_sel:DWORD
                                        ; implicit-def: $vgpr61
	s_and_saveexec_b64 s[28:29], vcc
	s_xor_b64 s[34:35], exec, s[28:29]
	s_cbranch_execz .LBB6_9875
; %bb.9866:                             ;   in Loop: Header=BB6_8948 Depth=3
	v_mov_b32_e32 v61, 0
	v_cmp_ne_u32_e32 vcc, 0, v26
	s_and_saveexec_b64 s[36:37], vcc
	s_cbranch_execz .LBB6_9874
; %bb.9867:                             ;   in Loop: Header=BB6_8948 Depth=3
	v_bfe_u32 v30, v26, 23, 8
	v_cmp_gt_u32_e64 s[28:29], s45, v30
	v_sub_u32_e32 v26, 0x71, v30
	v_cmp_eq_u32_e32 vcc, 0, v30
	v_cndmask_b32_e64 v26, 0, v26, s[28:29]
	v_mov_b32_e32 v31, 0x70
	v_cndmask_b32_e32 v31, v26, v31, vcc
	v_or_b32_e32 v27, 0x800000, v3
	v_add_u32_e32 v26, 21, v31
	v_cndmask_b32_e32 v3, v27, v3, vcc
	v_lshlrev_b64 v[26:27], v26, -1
	v_add_u32_e32 v32, 20, v31
	v_bfi_b32 v26, v26, 0, v3
	v_lshlrev_b64 v[35:36], v32, 1
	v_lshrrev_b64 v[3:4], v31, v[3:4]
	v_bfi_b32 v27, v27, 0, 0
	v_cmp_eq_u64_e64 s[28:29], v[26:27], v[35:36]
	v_mov_b32_e32 v27, v4
	v_mov_b32_e32 v26, v3
	s_and_saveexec_b64 s[38:39], s[28:29]
; %bb.9868:                             ;   in Loop: Header=BB6_8948 Depth=3
	v_bfe_u32 v4, v3, 21, 1
	v_add_co_u32_e64 v4, s[28:29], v3, v4
	v_add_co_u32_e64 v26, s[28:29], -1, v4
; %bb.9869:                             ;   in Loop: Header=BB6_8948 Depth=3
	s_or_b64 exec, exec, s[38:39]
	v_add_u32_e32 v4, 0xffffff81, v30
	v_mov_b32_e32 v27, 0xffffff82
	v_cndmask_b32_e32 v4, v4, v27, vcc
	v_lshrrev_b32_e32 v27, 23, v3
	v_add3_u32 v30, v31, v4, v27
	v_add_u32_e32 v27, 14, v30
	v_and_b32_e32 v4, 0x1fffff, v26
	v_add_u32_e32 v3, v4, v3
	v_mov_b32_e32 v4, v34
	v_cmp_ne_u32_e32 vcc, 0, v27
                                        ; implicit-def: $vgpr26
	s_and_saveexec_b64 s[28:29], vcc
	s_xor_b64 s[28:29], exec, s[28:29]
; %bb.9870:                             ;   in Loop: Header=BB6_8948 Depth=3
	v_cmp_lt_u64_e32 vcc, s[88:89], v[3:4]
	v_add_u32_e32 v26, 15, v30
	v_cndmask_b32_e32 v26, v27, v26, vcc
	v_cndmask_b32_e64 v27, 0, 1, vcc
	v_lshrrev_b64 v[3:4], v27, v[3:4]
; %bb.9871:                             ;   in Loop: Header=BB6_8948 Depth=3
	s_andn2_saveexec_b64 s[28:29], s[28:29]
; %bb.9872:                             ;   in Loop: Header=BB6_8948 Depth=3
	v_bfe_u32 v26, v3, 23, 1
; %bb.9873:                             ;   in Loop: Header=BB6_8948 Depth=3
	s_or_b64 exec, exec, s[28:29]
	v_lshrrev_b64 v[3:4], 21, v[3:4]
	v_cmp_gt_i32_e32 vcc, 32, v26
	v_cndmask_b32_e32 v4, 0, v4, vcc
	v_cndmask_b32_e32 v3, 3, v3, vcc
	v_cmp_eq_u64_e64 s[28:29], 0, v[3:4]
	v_min_i32_e32 v4, 31, v26
	v_lshlrev_b32_e32 v4, 2, v4
	v_cmp_eq_u32_e32 vcc, 0, v26
	v_and_b32_e32 v4, 0xfc, v4
	v_and_or_b32 v3, v3, 3, v4
	s_and_b64 s[28:29], vcc, s[28:29]
	v_cndmask_b32_e64 v3, v3, 0, s[28:29]
	v_or_b32_e32 v61, v3, v0
.LBB6_9874:                             ;   in Loop: Header=BB6_8948 Depth=3
	s_or_b64 exec, exec, s[36:37]
                                        ; implicit-def: $vgpr0
.LBB6_9875:                             ;   in Loop: Header=BB6_8948 Depth=3
	s_andn2_saveexec_b64 s[28:29], s[34:35]
; %bb.9876:                             ;   in Loop: Header=BB6_8948 Depth=3
	v_or_b32_e32 v61, 0x7b, v0
; %bb.9877:                             ;   in Loop: Header=BB6_8948 Depth=3
	s_or_b64 exec, exec, s[28:29]
                                        ; implicit-def: $vgpr26
                                        ; implicit-def: $vgpr3_vgpr4
.LBB6_9878:                             ;   in Loop: Header=BB6_8948 Depth=3
	s_andn2_saveexec_b64 s[28:29], s[30:31]
	s_cbranch_execz .LBB6_9884
; %bb.9879:                             ;   in Loop: Header=BB6_8948 Depth=3
	v_cmp_ne_u64_e32 vcc, 0, v[3:4]
                                        ; implicit-def: $vgpr61
	s_and_saveexec_b64 s[30:31], vcc
	s_xor_b64 vcc, exec, s[30:31]
; %bb.9880:                             ;   in Loop: Header=BB6_8948 Depth=3
	v_or_b32_sdwa v61, v26, s83 dst_sel:DWORD dst_unused:UNUSED_PAD src0_sel:BYTE_3 src1_sel:DWORD
                                        ; implicit-def: $vgpr26
; %bb.9881:                             ;   in Loop: Header=BB6_8948 Depth=3
	s_andn2_saveexec_b64 s[30:31], vcc
; %bb.9882:                             ;   in Loop: Header=BB6_8948 Depth=3
	v_cmp_lt_i32_e32 vcc, -1, v26
	v_bfrev_b32_e32 v0, 0.5
	v_mov_b32_e32 v3, 0x7c
	v_cndmask_b32_e32 v61, v0, v3, vcc
; %bb.9883:                             ;   in Loop: Header=BB6_8948 Depth=3
	s_or_b64 exec, exec, s[30:31]
.LBB6_9884:                             ;   in Loop: Header=BB6_8948 Depth=3
	s_or_b64 exec, exec, s[28:29]
	v_lshrrev_b32_e32 v0, 16, v28
	v_cmp_ne_u16_sdwa vcc, v0, v34 src0_sel:BYTE_0 src1_sel:DWORD
	v_mov_b32_e32 v3, 0
	v_mov_b32_e32 v4, 0
	s_and_saveexec_b64 s[28:29], vcc
	s_cbranch_execz .LBB6_9892
; %bb.9885:                             ;   in Loop: Header=BB6_8948 Depth=3
	v_cmp_ne_u16_sdwa vcc, v0, s44 src0_sel:BYTE_0 src1_sel:DWORD
	v_bfrev_b32_e32 v4, 1
	s_and_saveexec_b64 s[30:31], vcc
	s_cbranch_execz .LBB6_9891
; %bb.9886:                             ;   in Loop: Header=BB6_8948 Depth=3
	v_and_b32_e32 v4, 0x7c0000, v28
	v_bfe_u32 v26, v28, 16, 2
	v_cmp_ne_u32_e32 vcc, s9, v4
                                        ; implicit-def: $vgpr4
	s_and_saveexec_b64 s[34:35], vcc
	s_xor_b64 s[34:35], exec, s[34:35]
	s_cbranch_execz .LBB6_9888
; %bb.9887:                             ;   in Loop: Header=BB6_8948 Depth=3
	v_ffbh_u32_e32 v27, v26
	v_min_u32_e32 v27, 32, v27
	v_subrev_u32_e32 v30, 29, v27
	v_lshlrev_b64 v[30:31], v30, v[0:1]
	v_bfe_u32 v4, v28, 18, 5
	v_sub_u32_e32 v0, 30, v27
	v_and_b32_e32 v27, 3, v30
	v_cmp_eq_u32_e32 vcc, 0, v4
	v_cndmask_b32_e32 v0, v4, v0, vcc
	v_cndmask_b32_e32 v4, v26, v27, vcc
	v_lshlrev_b32_e32 v26, 8, v28
	v_and_b32_e32 v26, 0x80000000, v26
	v_lshl_add_u32 v0, v0, 23, v26
	v_lshl_or_b32 v0, v4, 21, v0
	v_add_u32_e32 v4, 0x38000000, v0
                                        ; implicit-def: $vgpr26
                                        ; implicit-def: $vgpr0
.LBB6_9888:                             ;   in Loop: Header=BB6_8948 Depth=3
	s_andn2_saveexec_b64 s[34:35], s[34:35]
; %bb.9889:                             ;   in Loop: Header=BB6_8948 Depth=3
	v_mov_b32_e32 v4, -1
	v_cmp_gt_i16_sdwa vcc, sext(v0), v4 src0_sel:BYTE_0 src1_sel:DWORD
	v_mov_b32_e32 v0, 0xff800000
	v_mov_b32_e32 v4, 0x7f800000
	v_cndmask_b32_e32 v0, v0, v4, vcc
	v_cmp_eq_u32_e32 vcc, 0, v26
	v_mov_b32_e32 v4, 0x7f800001
	v_cndmask_b32_e32 v4, v4, v0, vcc
; %bb.9890:                             ;   in Loop: Header=BB6_8948 Depth=3
	s_or_b64 exec, exec, s[34:35]
.LBB6_9891:                             ;   in Loop: Header=BB6_8948 Depth=3
	s_or_b64 exec, exec, s[30:31]
.LBB6_9892:                             ;   in Loop: Header=BB6_8948 Depth=3
	s_or_b64 exec, exec, s[28:29]
	v_lshrrev_b32_e32 v0, 16, v5
	v_cmp_ne_u16_sdwa vcc, v0, v34 src0_sel:BYTE_0 src1_sel:DWORD
	s_and_saveexec_b64 s[28:29], vcc
	s_cbranch_execz .LBB6_9900
; %bb.9893:                             ;   in Loop: Header=BB6_8948 Depth=3
	v_cmp_ne_u16_sdwa vcc, v0, s44 src0_sel:BYTE_0 src1_sel:DWORD
	v_bfrev_b32_e32 v3, 1
	s_and_saveexec_b64 s[30:31], vcc
	s_cbranch_execz .LBB6_9899
; %bb.9894:                             ;   in Loop: Header=BB6_8948 Depth=3
	v_and_b32_e32 v3, 0x7c0000, v5
	v_bfe_u32 v26, v5, 16, 2
	v_cmp_ne_u32_e32 vcc, s9, v3
                                        ; implicit-def: $vgpr3
	s_and_saveexec_b64 s[34:35], vcc
	s_xor_b64 s[34:35], exec, s[34:35]
	s_cbranch_execz .LBB6_9896
; %bb.9895:                             ;   in Loop: Header=BB6_8948 Depth=3
	v_ffbh_u32_e32 v27, v26
	v_min_u32_e32 v27, 32, v27
	v_subrev_u32_e32 v30, 29, v27
	v_lshlrev_b64 v[30:31], v30, v[0:1]
	v_bfe_u32 v3, v5, 18, 5
	v_sub_u32_e32 v0, 30, v27
	v_and_b32_e32 v27, 3, v30
	v_cmp_eq_u32_e32 vcc, 0, v3
	v_cndmask_b32_e32 v0, v3, v0, vcc
	v_cndmask_b32_e32 v3, v26, v27, vcc
	v_lshlrev_b32_e32 v26, 8, v5
	v_and_b32_e32 v26, 0x80000000, v26
	v_lshl_add_u32 v0, v0, 23, v26
	v_lshl_or_b32 v0, v3, 21, v0
	v_add_u32_e32 v3, 0x38000000, v0
                                        ; implicit-def: $vgpr26
                                        ; implicit-def: $vgpr0
.LBB6_9896:                             ;   in Loop: Header=BB6_8948 Depth=3
	s_andn2_saveexec_b64 s[34:35], s[34:35]
; %bb.9897:                             ;   in Loop: Header=BB6_8948 Depth=3
	v_mov_b32_e32 v3, -1
	v_cmp_gt_i16_sdwa vcc, sext(v0), v3 src0_sel:BYTE_0 src1_sel:DWORD
	v_mov_b32_e32 v0, 0xff800000
	v_mov_b32_e32 v3, 0x7f800000
	v_cndmask_b32_e32 v0, v0, v3, vcc
	v_cmp_eq_u32_e32 vcc, 0, v26
	v_mov_b32_e32 v3, 0x7f800001
	v_cndmask_b32_e32 v3, v3, v0, vcc
; %bb.9898:                             ;   in Loop: Header=BB6_8948 Depth=3
	s_or_b64 exec, exec, s[34:35]
.LBB6_9899:                             ;   in Loop: Header=BB6_8948 Depth=3
	s_or_b64 exec, exec, s[30:31]
.LBB6_9900:                             ;   in Loop: Header=BB6_8948 Depth=3
	s_or_b64 exec, exec, s[28:29]
	v_mul_f32_e32 v26, v4, v3
	v_and_b32_e32 v30, 0x7f800000, v26
	v_mov_b32_e32 v31, v34
	v_cmp_ne_u64_e32 vcc, s[76:77], v[30:31]
	v_and_b32_e32 v3, 0x7fffff, v26
	v_mov_b32_e32 v4, v34
                                        ; implicit-def: $vgpr35
	s_and_saveexec_b64 s[28:29], vcc
	s_xor_b64 s[30:31], exec, s[28:29]
	s_cbranch_execz .LBB6_9914
; %bb.9901:                             ;   in Loop: Header=BB6_8948 Depth=3
	v_and_b32_e32 v30, 0x7fffffff, v26
	v_mov_b32_e32 v31, v34
	v_cmp_gt_u64_e32 vcc, s[78:79], v[30:31]
	v_and_b32_sdwa v0, v26, s44 dst_sel:DWORD dst_unused:UNUSED_PAD src0_sel:BYTE_3 src1_sel:DWORD
                                        ; implicit-def: $vgpr35
	s_and_saveexec_b64 s[28:29], vcc
	s_xor_b64 s[34:35], exec, s[28:29]
	s_cbranch_execz .LBB6_9911
; %bb.9902:                             ;   in Loop: Header=BB6_8948 Depth=3
	v_mov_b32_e32 v35, 0
	v_cmp_ne_u32_e32 vcc, 0, v26
	s_and_saveexec_b64 s[36:37], vcc
	s_cbranch_execz .LBB6_9910
; %bb.9903:                             ;   in Loop: Header=BB6_8948 Depth=3
	v_bfe_u32 v30, v26, 23, 8
	v_cmp_gt_u32_e64 s[28:29], s45, v30
	v_sub_u32_e32 v26, 0x71, v30
	v_cmp_eq_u32_e32 vcc, 0, v30
	v_cndmask_b32_e64 v26, 0, v26, s[28:29]
	v_mov_b32_e32 v31, 0x70
	v_cndmask_b32_e32 v31, v26, v31, vcc
	v_or_b32_e32 v27, 0x800000, v3
	v_add_u32_e32 v26, 21, v31
	v_cndmask_b32_e32 v3, v27, v3, vcc
	v_lshlrev_b64 v[26:27], v26, -1
	v_add_u32_e32 v32, 20, v31
	v_bfi_b32 v26, v26, 0, v3
	v_lshlrev_b64 v[35:36], v32, 1
	v_lshrrev_b64 v[3:4], v31, v[3:4]
	v_bfi_b32 v27, v27, 0, 0
	v_cmp_eq_u64_e64 s[28:29], v[26:27], v[35:36]
	v_mov_b32_e32 v27, v4
	v_mov_b32_e32 v26, v3
	s_and_saveexec_b64 s[38:39], s[28:29]
; %bb.9904:                             ;   in Loop: Header=BB6_8948 Depth=3
	v_bfe_u32 v4, v3, 21, 1
	v_add_co_u32_e64 v4, s[28:29], v3, v4
	v_add_co_u32_e64 v26, s[28:29], -1, v4
; %bb.9905:                             ;   in Loop: Header=BB6_8948 Depth=3
	s_or_b64 exec, exec, s[38:39]
	v_add_u32_e32 v4, 0xffffff81, v30
	v_mov_b32_e32 v27, 0xffffff82
	v_cndmask_b32_e32 v4, v4, v27, vcc
	v_lshrrev_b32_e32 v27, 23, v3
	v_add3_u32 v30, v31, v4, v27
	v_add_u32_e32 v27, 14, v30
	v_and_b32_e32 v4, 0x1fffff, v26
	v_add_u32_e32 v3, v4, v3
	v_mov_b32_e32 v4, v34
	v_cmp_ne_u32_e32 vcc, 0, v27
                                        ; implicit-def: $vgpr26
	s_and_saveexec_b64 s[28:29], vcc
	s_xor_b64 s[28:29], exec, s[28:29]
; %bb.9906:                             ;   in Loop: Header=BB6_8948 Depth=3
	v_cmp_lt_u64_e32 vcc, s[88:89], v[3:4]
	v_add_u32_e32 v26, 15, v30
	v_cndmask_b32_e32 v26, v27, v26, vcc
	v_cndmask_b32_e64 v27, 0, 1, vcc
	v_lshrrev_b64 v[3:4], v27, v[3:4]
; %bb.9907:                             ;   in Loop: Header=BB6_8948 Depth=3
	s_andn2_saveexec_b64 s[28:29], s[28:29]
; %bb.9908:                             ;   in Loop: Header=BB6_8948 Depth=3
	v_bfe_u32 v26, v3, 23, 1
; %bb.9909:                             ;   in Loop: Header=BB6_8948 Depth=3
	s_or_b64 exec, exec, s[28:29]
	v_lshrrev_b64 v[3:4], 21, v[3:4]
	v_cmp_gt_i32_e32 vcc, 32, v26
	v_cndmask_b32_e32 v4, 0, v4, vcc
	v_cndmask_b32_e32 v3, 3, v3, vcc
	v_cmp_eq_u64_e64 s[28:29], 0, v[3:4]
	v_min_i32_e32 v4, 31, v26
	v_lshlrev_b32_e32 v4, 2, v4
	v_cmp_eq_u32_e32 vcc, 0, v26
	v_and_b32_e32 v4, 0xfc, v4
	v_and_or_b32 v3, v3, 3, v4
	s_and_b64 s[28:29], vcc, s[28:29]
	v_cndmask_b32_e64 v3, v3, 0, s[28:29]
	v_or_b32_e32 v35, v3, v0
.LBB6_9910:                             ;   in Loop: Header=BB6_8948 Depth=3
	s_or_b64 exec, exec, s[36:37]
                                        ; implicit-def: $vgpr0
.LBB6_9911:                             ;   in Loop: Header=BB6_8948 Depth=3
	s_andn2_saveexec_b64 s[28:29], s[34:35]
; %bb.9912:                             ;   in Loop: Header=BB6_8948 Depth=3
	v_or_b32_e32 v35, 0x7b, v0
; %bb.9913:                             ;   in Loop: Header=BB6_8948 Depth=3
	s_or_b64 exec, exec, s[28:29]
                                        ; implicit-def: $vgpr26
                                        ; implicit-def: $vgpr3_vgpr4
.LBB6_9914:                             ;   in Loop: Header=BB6_8948 Depth=3
	s_andn2_saveexec_b64 s[28:29], s[30:31]
	s_cbranch_execz .LBB6_9920
; %bb.9915:                             ;   in Loop: Header=BB6_8948 Depth=3
	v_cmp_ne_u64_e32 vcc, 0, v[3:4]
                                        ; implicit-def: $vgpr35
	s_and_saveexec_b64 s[30:31], vcc
	s_xor_b64 vcc, exec, s[30:31]
; %bb.9916:                             ;   in Loop: Header=BB6_8948 Depth=3
	v_or_b32_sdwa v35, v26, s83 dst_sel:DWORD dst_unused:UNUSED_PAD src0_sel:BYTE_3 src1_sel:DWORD
                                        ; implicit-def: $vgpr26
; %bb.9917:                             ;   in Loop: Header=BB6_8948 Depth=3
	s_andn2_saveexec_b64 s[30:31], vcc
; %bb.9918:                             ;   in Loop: Header=BB6_8948 Depth=3
	v_cmp_lt_i32_e32 vcc, -1, v26
	v_bfrev_b32_e32 v0, 0.5
	v_mov_b32_e32 v3, 0x7c
	v_cndmask_b32_e32 v35, v0, v3, vcc
; %bb.9919:                             ;   in Loop: Header=BB6_8948 Depth=3
	s_or_b64 exec, exec, s[30:31]
.LBB6_9920:                             ;   in Loop: Header=BB6_8948 Depth=3
	s_or_b64 exec, exec, s[28:29]
	v_cmp_lt_u32_e32 vcc, s57, v28
	v_mov_b32_e32 v3, 0
	v_mov_b32_e32 v4, 0
	s_and_saveexec_b64 s[28:29], vcc
	s_cbranch_execz .LBB6_9928
; %bb.9921:                             ;   in Loop: Header=BB6_8948 Depth=3
	v_lshrrev_b32_e32 v0, 24, v28
	v_cmp_ne_u32_e32 vcc, s44, v0
	v_bfrev_b32_e32 v4, 1
	s_and_saveexec_b64 s[30:31], vcc
	s_cbranch_execz .LBB6_9927
; %bb.9922:                             ;   in Loop: Header=BB6_8948 Depth=3
	v_and_b32_e32 v4, 0x7c000000, v28
	v_bfe_u32 v26, v28, 24, 2
	v_cmp_ne_u32_e32 vcc, s8, v4
                                        ; implicit-def: $vgpr4
	s_and_saveexec_b64 s[34:35], vcc
	s_xor_b64 s[34:35], exec, s[34:35]
	s_cbranch_execz .LBB6_9924
; %bb.9923:                             ;   in Loop: Header=BB6_8948 Depth=3
	v_ffbh_u32_e32 v27, v26
	v_min_u32_e32 v27, 32, v27
	v_subrev_u32_e32 v30, 29, v27
	v_lshlrev_b64 v[30:31], v30, v[0:1]
	v_bfe_u32 v4, v28, 26, 5
	v_sub_u32_e32 v0, 30, v27
	v_and_b32_e32 v27, 3, v30
	v_cmp_eq_u32_e32 vcc, 0, v4
	v_cndmask_b32_e32 v0, v4, v0, vcc
	v_cndmask_b32_e32 v4, v26, v27, vcc
	v_and_b32_e32 v26, 0x80000000, v28
	v_lshl_add_u32 v0, v0, 23, v26
	v_lshl_or_b32 v0, v4, 21, v0
	v_add_u32_e32 v4, 0x38000000, v0
                                        ; implicit-def: $vgpr26
.LBB6_9924:                             ;   in Loop: Header=BB6_8948 Depth=3
	s_andn2_saveexec_b64 s[34:35], s[34:35]
; %bb.9925:                             ;   in Loop: Header=BB6_8948 Depth=3
	v_cmp_lt_i32_e32 vcc, -1, v28
	v_mov_b32_e32 v0, 0xff800000
	v_mov_b32_e32 v4, 0x7f800000
	v_cndmask_b32_e32 v0, v0, v4, vcc
	v_cmp_eq_u32_e32 vcc, 0, v26
	v_mov_b32_e32 v4, 0x7f800001
	v_cndmask_b32_e32 v4, v4, v0, vcc
; %bb.9926:                             ;   in Loop: Header=BB6_8948 Depth=3
	s_or_b64 exec, exec, s[34:35]
.LBB6_9927:                             ;   in Loop: Header=BB6_8948 Depth=3
	s_or_b64 exec, exec, s[30:31]
.LBB6_9928:                             ;   in Loop: Header=BB6_8948 Depth=3
	s_or_b64 exec, exec, s[28:29]
	v_cmp_lt_u32_e32 vcc, s57, v5
	s_and_saveexec_b64 s[28:29], vcc
	s_cbranch_execz .LBB6_9936
; %bb.9929:                             ;   in Loop: Header=BB6_8948 Depth=3
	v_lshrrev_b32_e32 v0, 24, v5
	v_cmp_ne_u32_e32 vcc, s44, v0
	v_bfrev_b32_e32 v3, 1
	s_and_saveexec_b64 s[30:31], vcc
	s_cbranch_execz .LBB6_9935
; %bb.9930:                             ;   in Loop: Header=BB6_8948 Depth=3
	v_and_b32_e32 v3, 0x7c000000, v5
	v_bfe_u32 v26, v5, 24, 2
	v_cmp_ne_u32_e32 vcc, s8, v3
                                        ; implicit-def: $vgpr3
	s_and_saveexec_b64 s[34:35], vcc
	s_xor_b64 s[34:35], exec, s[34:35]
	s_cbranch_execz .LBB6_9932
; %bb.9931:                             ;   in Loop: Header=BB6_8948 Depth=3
	v_ffbh_u32_e32 v27, v26
	v_min_u32_e32 v27, 32, v27
	v_subrev_u32_e32 v30, 29, v27
	v_lshlrev_b64 v[30:31], v30, v[0:1]
	v_bfe_u32 v3, v5, 26, 5
	v_sub_u32_e32 v0, 30, v27
	v_and_b32_e32 v27, 3, v30
	v_cmp_eq_u32_e32 vcc, 0, v3
	v_cndmask_b32_e32 v0, v3, v0, vcc
	v_cndmask_b32_e32 v3, v26, v27, vcc
	v_and_b32_e32 v26, 0x80000000, v5
	v_lshl_add_u32 v0, v0, 23, v26
	v_lshl_or_b32 v0, v3, 21, v0
	v_add_u32_e32 v3, 0x38000000, v0
                                        ; implicit-def: $vgpr26
.LBB6_9932:                             ;   in Loop: Header=BB6_8948 Depth=3
	s_andn2_saveexec_b64 s[34:35], s[34:35]
; %bb.9933:                             ;   in Loop: Header=BB6_8948 Depth=3
	v_cmp_lt_i32_e32 vcc, -1, v5
	v_mov_b32_e32 v0, 0xff800000
	v_mov_b32_e32 v3, 0x7f800000
	v_cndmask_b32_e32 v0, v0, v3, vcc
	v_cmp_eq_u32_e32 vcc, 0, v26
	v_mov_b32_e32 v3, 0x7f800001
	v_cndmask_b32_e32 v3, v3, v0, vcc
; %bb.9934:                             ;   in Loop: Header=BB6_8948 Depth=3
	s_or_b64 exec, exec, s[34:35]
.LBB6_9935:                             ;   in Loop: Header=BB6_8948 Depth=3
	s_or_b64 exec, exec, s[30:31]
.LBB6_9936:                             ;   in Loop: Header=BB6_8948 Depth=3
	s_or_b64 exec, exec, s[28:29]
	v_mul_f32_e32 v26, v4, v3
	v_and_b32_e32 v30, 0x7f800000, v26
	v_mov_b32_e32 v31, v34
	v_cmp_ne_u64_e32 vcc, s[76:77], v[30:31]
	v_and_b32_e32 v3, 0x7fffff, v26
	v_mov_b32_e32 v4, v34
                                        ; implicit-def: $vgpr54
	s_and_saveexec_b64 s[28:29], vcc
	s_xor_b64 s[30:31], exec, s[28:29]
	s_cbranch_execz .LBB6_9950
; %bb.9937:                             ;   in Loop: Header=BB6_8948 Depth=3
	v_and_b32_e32 v30, 0x7fffffff, v26
	v_mov_b32_e32 v31, v34
	v_cmp_gt_u64_e32 vcc, s[78:79], v[30:31]
	v_and_b32_sdwa v0, v26, s44 dst_sel:DWORD dst_unused:UNUSED_PAD src0_sel:BYTE_3 src1_sel:DWORD
                                        ; implicit-def: $vgpr54
	s_and_saveexec_b64 s[28:29], vcc
	s_xor_b64 s[34:35], exec, s[28:29]
	s_cbranch_execz .LBB6_9947
; %bb.9938:                             ;   in Loop: Header=BB6_8948 Depth=3
	v_mov_b32_e32 v54, 0
	v_cmp_ne_u32_e32 vcc, 0, v26
	s_and_saveexec_b64 s[36:37], vcc
	s_cbranch_execz .LBB6_9946
; %bb.9939:                             ;   in Loop: Header=BB6_8948 Depth=3
	v_bfe_u32 v30, v26, 23, 8
	v_cmp_gt_u32_e64 s[28:29], s45, v30
	v_sub_u32_e32 v26, 0x71, v30
	v_cmp_eq_u32_e32 vcc, 0, v30
	v_cndmask_b32_e64 v26, 0, v26, s[28:29]
	v_mov_b32_e32 v31, 0x70
	v_cndmask_b32_e32 v31, v26, v31, vcc
	v_or_b32_e32 v27, 0x800000, v3
	v_add_u32_e32 v26, 21, v31
	v_cndmask_b32_e32 v3, v27, v3, vcc
	v_lshlrev_b64 v[26:27], v26, -1
	v_add_u32_e32 v32, 20, v31
	v_bfi_b32 v26, v26, 0, v3
	v_lshlrev_b64 v[36:37], v32, 1
	v_lshrrev_b64 v[3:4], v31, v[3:4]
	v_bfi_b32 v27, v27, 0, 0
	v_cmp_eq_u64_e64 s[28:29], v[26:27], v[36:37]
	v_mov_b32_e32 v27, v4
	v_mov_b32_e32 v26, v3
	s_and_saveexec_b64 s[38:39], s[28:29]
; %bb.9940:                             ;   in Loop: Header=BB6_8948 Depth=3
	v_bfe_u32 v4, v3, 21, 1
	v_add_co_u32_e64 v4, s[28:29], v3, v4
	v_add_co_u32_e64 v26, s[28:29], -1, v4
; %bb.9941:                             ;   in Loop: Header=BB6_8948 Depth=3
	s_or_b64 exec, exec, s[38:39]
	v_add_u32_e32 v4, 0xffffff81, v30
	v_mov_b32_e32 v27, 0xffffff82
	v_cndmask_b32_e32 v4, v4, v27, vcc
	v_lshrrev_b32_e32 v27, 23, v3
	v_add3_u32 v30, v31, v4, v27
	v_add_u32_e32 v27, 14, v30
	v_and_b32_e32 v4, 0x1fffff, v26
	v_add_u32_e32 v3, v4, v3
	v_mov_b32_e32 v4, v34
	v_cmp_ne_u32_e32 vcc, 0, v27
                                        ; implicit-def: $vgpr26
	s_and_saveexec_b64 s[28:29], vcc
	s_xor_b64 s[28:29], exec, s[28:29]
; %bb.9942:                             ;   in Loop: Header=BB6_8948 Depth=3
	v_cmp_lt_u64_e32 vcc, s[88:89], v[3:4]
	v_add_u32_e32 v26, 15, v30
	v_cndmask_b32_e32 v26, v27, v26, vcc
	v_cndmask_b32_e64 v27, 0, 1, vcc
	v_lshrrev_b64 v[3:4], v27, v[3:4]
; %bb.9943:                             ;   in Loop: Header=BB6_8948 Depth=3
	s_andn2_saveexec_b64 s[28:29], s[28:29]
; %bb.9944:                             ;   in Loop: Header=BB6_8948 Depth=3
	v_bfe_u32 v26, v3, 23, 1
; %bb.9945:                             ;   in Loop: Header=BB6_8948 Depth=3
	s_or_b64 exec, exec, s[28:29]
	v_lshrrev_b64 v[3:4], 21, v[3:4]
	v_cmp_gt_i32_e32 vcc, 32, v26
	v_cndmask_b32_e32 v4, 0, v4, vcc
	v_cndmask_b32_e32 v3, 3, v3, vcc
	v_cmp_eq_u64_e64 s[28:29], 0, v[3:4]
	v_min_i32_e32 v4, 31, v26
	v_lshlrev_b32_e32 v4, 2, v4
	v_cmp_eq_u32_e32 vcc, 0, v26
	v_and_b32_e32 v4, 0xfc, v4
	v_and_or_b32 v3, v3, 3, v4
	s_and_b64 s[28:29], vcc, s[28:29]
	v_cndmask_b32_e64 v3, v3, 0, s[28:29]
	v_or_b32_e32 v54, v3, v0
.LBB6_9946:                             ;   in Loop: Header=BB6_8948 Depth=3
	s_or_b64 exec, exec, s[36:37]
                                        ; implicit-def: $vgpr0
.LBB6_9947:                             ;   in Loop: Header=BB6_8948 Depth=3
	s_andn2_saveexec_b64 s[28:29], s[34:35]
; %bb.9948:                             ;   in Loop: Header=BB6_8948 Depth=3
	v_or_b32_e32 v54, 0x7b, v0
; %bb.9949:                             ;   in Loop: Header=BB6_8948 Depth=3
	s_or_b64 exec, exec, s[28:29]
                                        ; implicit-def: $vgpr26
                                        ; implicit-def: $vgpr3_vgpr4
.LBB6_9950:                             ;   in Loop: Header=BB6_8948 Depth=3
	s_andn2_saveexec_b64 s[28:29], s[30:31]
	s_cbranch_execz .LBB6_9956
; %bb.9951:                             ;   in Loop: Header=BB6_8948 Depth=3
	v_cmp_ne_u64_e32 vcc, 0, v[3:4]
                                        ; implicit-def: $vgpr54
	s_and_saveexec_b64 s[30:31], vcc
	s_xor_b64 vcc, exec, s[30:31]
; %bb.9952:                             ;   in Loop: Header=BB6_8948 Depth=3
	v_or_b32_sdwa v54, v26, s83 dst_sel:DWORD dst_unused:UNUSED_PAD src0_sel:BYTE_3 src1_sel:DWORD
                                        ; implicit-def: $vgpr26
; %bb.9953:                             ;   in Loop: Header=BB6_8948 Depth=3
	s_andn2_saveexec_b64 s[30:31], vcc
; %bb.9954:                             ;   in Loop: Header=BB6_8948 Depth=3
	v_cmp_lt_i32_e32 vcc, -1, v26
	v_bfrev_b32_e32 v0, 0.5
	v_mov_b32_e32 v3, 0x7c
	v_cndmask_b32_e32 v54, v0, v3, vcc
; %bb.9955:                             ;   in Loop: Header=BB6_8948 Depth=3
	s_or_b64 exec, exec, s[30:31]
.LBB6_9956:                             ;   in Loop: Header=BB6_8948 Depth=3
	s_or_b64 exec, exec, s[28:29]
	v_mov_b32_e32 v3, v29
	v_mov_b32_e32 v4, v34
	v_cmp_ne_u16_sdwa vcc, v29, v34 src0_sel:BYTE_0 src1_sel:DWORD
	v_mov_b32_e32 v26, 0
	v_mov_b32_e32 v0, 0
	s_and_saveexec_b64 s[28:29], vcc
	s_cbranch_execz .LBB6_9964
; %bb.9957:                             ;   in Loop: Header=BB6_8948 Depth=3
	v_cmp_ne_u16_sdwa vcc, v29, s44 src0_sel:BYTE_0 src1_sel:DWORD
	v_bfrev_b32_e32 v0, 1
	s_and_saveexec_b64 s[30:31], vcc
	s_cbranch_execz .LBB6_9963
; %bb.9958:                             ;   in Loop: Header=BB6_8948 Depth=3
	v_and_b32_e32 v0, 0x7c, v29
	v_and_b32_e32 v27, 3, v29
	v_cmp_ne_u32_e32 vcc, s81, v0
                                        ; implicit-def: $vgpr0
	s_and_saveexec_b64 s[34:35], vcc
	s_xor_b64 s[34:35], exec, s[34:35]
	s_cbranch_execz .LBB6_9960
; %bb.9959:                             ;   in Loop: Header=BB6_8948 Depth=3
	v_ffbh_u32_e32 v30, v27
	v_min_u32_e32 v32, 32, v30
	v_subrev_u32_e32 v30, 29, v32
	v_lshlrev_b64 v[30:31], v30, v[3:4]
	v_bfe_u32 v0, v29, 2, 5
	v_sub_u32_e32 v4, 30, v32
	v_and_b32_e32 v30, 3, v30
	v_cmp_eq_u32_e32 vcc, 0, v0
	v_cndmask_b32_e32 v0, v0, v4, vcc
	v_cndmask_b32_e32 v4, v27, v30, vcc
	v_lshlrev_b32_e32 v27, 24, v29
	v_and_b32_e32 v27, 0x80000000, v27
	v_lshl_add_u32 v0, v0, 23, v27
	v_lshl_or_b32 v0, v4, 21, v0
	v_add_u32_e32 v0, 0x38000000, v0
                                        ; implicit-def: $vgpr27
.LBB6_9960:                             ;   in Loop: Header=BB6_8948 Depth=3
	s_andn2_saveexec_b64 s[34:35], s[34:35]
; %bb.9961:                             ;   in Loop: Header=BB6_8948 Depth=3
	v_mov_b32_e32 v0, -1
	v_cmp_gt_i16_sdwa vcc, sext(v29), v0 src0_sel:BYTE_0 src1_sel:DWORD
	v_mov_b32_e32 v0, 0xff800000
	v_mov_b32_e32 v4, 0x7f800000
	v_cndmask_b32_e32 v0, v0, v4, vcc
	v_cmp_eq_u32_e32 vcc, 0, v27
	v_mov_b32_e32 v4, 0x7f800001
	v_cndmask_b32_e32 v0, v4, v0, vcc
; %bb.9962:                             ;   in Loop: Header=BB6_8948 Depth=3
	s_or_b64 exec, exec, s[34:35]
.LBB6_9963:                             ;   in Loop: Header=BB6_8948 Depth=3
	s_or_b64 exec, exec, s[30:31]
.LBB6_9964:                             ;   in Loop: Header=BB6_8948 Depth=3
	s_or_b64 exec, exec, s[28:29]
	v_cmp_ne_u16_sdwa vcc, v6, v34 src0_sel:BYTE_0 src1_sel:DWORD
	s_and_saveexec_b64 s[28:29], vcc
	s_cbranch_execz .LBB6_9972
; %bb.9965:                             ;   in Loop: Header=BB6_8948 Depth=3
	v_cmp_ne_u16_sdwa vcc, v6, s44 src0_sel:BYTE_0 src1_sel:DWORD
	v_bfrev_b32_e32 v26, 1
	s_and_saveexec_b64 s[30:31], vcc
	s_cbranch_execz .LBB6_9971
; %bb.9966:                             ;   in Loop: Header=BB6_8948 Depth=3
	v_and_b32_e32 v26, 0x7c, v6
	v_and_b32_e32 v4, 3, v6
	v_cmp_ne_u32_e32 vcc, s81, v26
                                        ; implicit-def: $vgpr26
	s_and_saveexec_b64 s[34:35], vcc
	s_xor_b64 s[34:35], exec, s[34:35]
	s_cbranch_execz .LBB6_9968
; %bb.9967:                             ;   in Loop: Header=BB6_8948 Depth=3
	v_ffbh_u32_e32 v31, v4
	v_min_u32_e32 v31, 32, v31
	v_mov_b32_e32 v26, v6
	v_mov_b32_e32 v27, v34
	v_subrev_u32_e32 v32, 29, v31
	v_lshlrev_b64 v[26:27], v32, v[26:27]
	v_bfe_u32 v30, v6, 2, 5
	v_and_b32_e32 v26, 3, v26
	v_cmp_eq_u32_e32 vcc, 0, v30
	v_sub_u32_e32 v27, 30, v31
	v_cndmask_b32_e32 v4, v4, v26, vcc
	v_lshlrev_b32_e32 v26, 24, v6
	v_cndmask_b32_e32 v27, v30, v27, vcc
	v_and_b32_e32 v26, 0x80000000, v26
	v_lshl_add_u32 v26, v27, 23, v26
	v_lshl_or_b32 v4, v4, 21, v26
	v_add_u32_e32 v26, 0x38000000, v4
                                        ; implicit-def: $vgpr4
.LBB6_9968:                             ;   in Loop: Header=BB6_8948 Depth=3
	s_andn2_saveexec_b64 s[34:35], s[34:35]
; %bb.9969:                             ;   in Loop: Header=BB6_8948 Depth=3
	v_mov_b32_e32 v26, -1
	v_cmp_gt_i16_sdwa vcc, sext(v6), v26 src0_sel:BYTE_0 src1_sel:DWORD
	v_mov_b32_e32 v26, 0xff800000
	v_mov_b32_e32 v27, 0x7f800000
	v_cndmask_b32_e32 v26, v26, v27, vcc
	v_cmp_eq_u32_e32 vcc, 0, v4
	v_mov_b32_e32 v4, 0x7f800001
	v_cndmask_b32_e32 v26, v4, v26, vcc
; %bb.9970:                             ;   in Loop: Header=BB6_8948 Depth=3
	s_or_b64 exec, exec, s[34:35]
.LBB6_9971:                             ;   in Loop: Header=BB6_8948 Depth=3
	s_or_b64 exec, exec, s[30:31]
.LBB6_9972:                             ;   in Loop: Header=BB6_8948 Depth=3
	s_or_b64 exec, exec, s[28:29]
	v_mul_f32_e32 v4, v0, v26
	v_and_b32_e32 v30, 0x7f800000, v4
	v_mov_b32_e32 v31, v34
	v_cmp_ne_u64_e32 vcc, s[76:77], v[30:31]
	v_and_b32_e32 v26, 0x7fffff, v4
	v_mov_b32_e32 v27, v34
                                        ; implicit-def: $vgpr30
	s_and_saveexec_b64 s[28:29], vcc
	s_xor_b64 s[30:31], exec, s[28:29]
	s_cbranch_execz .LBB6_9986
; %bb.9973:                             ;   in Loop: Header=BB6_8948 Depth=3
	v_and_b32_e32 v30, 0x7fffffff, v4
	v_mov_b32_e32 v31, v34
	v_cmp_gt_u64_e32 vcc, s[78:79], v[30:31]
	v_and_b32_sdwa v0, v4, s44 dst_sel:DWORD dst_unused:UNUSED_PAD src0_sel:BYTE_3 src1_sel:DWORD
                                        ; implicit-def: $vgpr30
	s_and_saveexec_b64 s[28:29], vcc
	s_xor_b64 s[34:35], exec, s[28:29]
	s_cbranch_execz .LBB6_9983
; %bb.9974:                             ;   in Loop: Header=BB6_8948 Depth=3
	v_mov_b32_e32 v30, 0
	v_cmp_ne_u32_e32 vcc, 0, v4
	s_and_saveexec_b64 s[36:37], vcc
	s_cbranch_execz .LBB6_9982
; %bb.9975:                             ;   in Loop: Header=BB6_8948 Depth=3
	v_bfe_u32 v4, v4, 23, 8
	v_cmp_gt_u32_e64 s[28:29], s45, v4
	v_sub_u32_e32 v30, 0x71, v4
	v_cmp_eq_u32_e32 vcc, 0, v4
	v_cndmask_b32_e64 v30, 0, v30, s[28:29]
	v_mov_b32_e32 v32, 0x70
	v_cndmask_b32_e32 v36, v30, v32, vcc
	v_or_b32_e32 v31, 0x800000, v26
	v_add_u32_e32 v30, 21, v36
	v_cndmask_b32_e32 v26, v31, v26, vcc
	v_lshlrev_b64 v[30:31], v30, -1
	v_add_u32_e32 v32, 20, v36
	v_bfi_b32 v30, v30, 0, v26
	v_lshlrev_b64 v[37:38], v32, 1
	v_lshrrev_b64 v[26:27], v36, v[26:27]
	v_bfi_b32 v31, v31, 0, 0
	v_cmp_eq_u64_e64 s[28:29], v[30:31], v[37:38]
	v_mov_b32_e32 v31, v27
	v_mov_b32_e32 v30, v26
	s_and_saveexec_b64 s[38:39], s[28:29]
; %bb.9976:                             ;   in Loop: Header=BB6_8948 Depth=3
	v_bfe_u32 v27, v26, 21, 1
	v_add_co_u32_e64 v27, s[28:29], v26, v27
	v_add_co_u32_e64 v30, s[28:29], -1, v27
; %bb.9977:                             ;   in Loop: Header=BB6_8948 Depth=3
	s_or_b64 exec, exec, s[38:39]
	v_add_u32_e32 v4, 0xffffff81, v4
	v_mov_b32_e32 v27, 0xffffff82
	v_cndmask_b32_e32 v4, v4, v27, vcc
	v_lshrrev_b32_e32 v27, 23, v26
	v_add3_u32 v36, v36, v4, v27
	v_add_u32_e32 v31, 14, v36
	v_and_b32_e32 v4, 0x1fffff, v30
	v_add_u32_e32 v26, v4, v26
	v_mov_b32_e32 v27, v34
	v_cmp_ne_u32_e32 vcc, 0, v31
                                        ; implicit-def: $vgpr4
	s_and_saveexec_b64 s[28:29], vcc
	s_xor_b64 s[28:29], exec, s[28:29]
; %bb.9978:                             ;   in Loop: Header=BB6_8948 Depth=3
	v_cmp_lt_u64_e32 vcc, s[88:89], v[26:27]
	v_add_u32_e32 v4, 15, v36
	v_cndmask_b32_e64 v30, 0, 1, vcc
	v_lshrrev_b64 v[26:27], v30, v[26:27]
	v_cndmask_b32_e32 v4, v31, v4, vcc
; %bb.9979:                             ;   in Loop: Header=BB6_8948 Depth=3
	s_andn2_saveexec_b64 s[28:29], s[28:29]
; %bb.9980:                             ;   in Loop: Header=BB6_8948 Depth=3
	v_bfe_u32 v4, v26, 23, 1
; %bb.9981:                             ;   in Loop: Header=BB6_8948 Depth=3
	s_or_b64 exec, exec, s[28:29]
	v_lshrrev_b64 v[26:27], 21, v[26:27]
	v_cmp_gt_i32_e32 vcc, 32, v4
	v_cndmask_b32_e32 v27, 0, v27, vcc
	v_cndmask_b32_e32 v26, 3, v26, vcc
	v_cmp_eq_u32_e32 vcc, 0, v4
	v_min_i32_e32 v4, 31, v4
	v_cmp_eq_u64_e64 s[28:29], 0, v[26:27]
	v_lshlrev_b32_e32 v4, 2, v4
	v_and_b32_e32 v4, 0xfc, v4
	v_and_or_b32 v4, v26, 3, v4
	s_and_b64 s[28:29], vcc, s[28:29]
	v_cndmask_b32_e64 v4, v4, 0, s[28:29]
	v_or_b32_e32 v30, v4, v0
.LBB6_9982:                             ;   in Loop: Header=BB6_8948 Depth=3
	s_or_b64 exec, exec, s[36:37]
                                        ; implicit-def: $vgpr0
.LBB6_9983:                             ;   in Loop: Header=BB6_8948 Depth=3
	s_andn2_saveexec_b64 s[28:29], s[34:35]
; %bb.9984:                             ;   in Loop: Header=BB6_8948 Depth=3
	v_or_b32_e32 v30, 0x7b, v0
; %bb.9985:                             ;   in Loop: Header=BB6_8948 Depth=3
	s_or_b64 exec, exec, s[28:29]
                                        ; implicit-def: $vgpr4
                                        ; implicit-def: $vgpr26_vgpr27
.LBB6_9986:                             ;   in Loop: Header=BB6_8948 Depth=3
	s_andn2_saveexec_b64 s[28:29], s[30:31]
	s_cbranch_execz .LBB6_9992
; %bb.9987:                             ;   in Loop: Header=BB6_8948 Depth=3
	v_cmp_ne_u64_e32 vcc, 0, v[26:27]
                                        ; implicit-def: $vgpr30
	s_and_saveexec_b64 s[30:31], vcc
	s_xor_b64 vcc, exec, s[30:31]
; %bb.9988:                             ;   in Loop: Header=BB6_8948 Depth=3
	v_or_b32_sdwa v30, v4, s83 dst_sel:DWORD dst_unused:UNUSED_PAD src0_sel:BYTE_3 src1_sel:DWORD
                                        ; implicit-def: $vgpr4
; %bb.9989:                             ;   in Loop: Header=BB6_8948 Depth=3
	s_andn2_saveexec_b64 s[30:31], vcc
; %bb.9990:                             ;   in Loop: Header=BB6_8948 Depth=3
	v_cmp_lt_i32_e32 vcc, -1, v4
	v_bfrev_b32_e32 v0, 0.5
	v_mov_b32_e32 v4, 0x7c
	v_cndmask_b32_e32 v30, v0, v4, vcc
; %bb.9991:                             ;   in Loop: Header=BB6_8948 Depth=3
	s_or_b64 exec, exec, s[30:31]
.LBB6_9992:                             ;   in Loop: Header=BB6_8948 Depth=3
	s_or_b64 exec, exec, s[28:29]
	v_lshrrev_b16_e32 v26, 8, v3
	v_cmp_ne_u16_e32 vcc, 0, v26
	v_mov_b32_e32 v0, 0
	v_mov_b32_e32 v27, 0
	s_and_saveexec_b64 s[28:29], vcc
	s_cbranch_execz .LBB6_10000
; %bb.9993:                             ;   in Loop: Header=BB6_8948 Depth=3
	v_cmp_ne_u16_e32 vcc, s44, v26
	v_bfrev_b32_e32 v27, 1
	s_and_saveexec_b64 s[30:31], vcc
	s_cbranch_execz .LBB6_9999
; %bb.9994:                             ;   in Loop: Header=BB6_8948 Depth=3
	v_and_b32_e32 v4, 0x7c, v26
	v_and_b32_e32 v31, 3, v26
	v_cmp_ne_u32_e32 vcc, s81, v4
                                        ; implicit-def: $vgpr27
	s_and_saveexec_b64 s[34:35], vcc
	s_xor_b64 s[34:35], exec, s[34:35]
	s_cbranch_execz .LBB6_9996
; %bb.9995:                             ;   in Loop: Header=BB6_8948 Depth=3
	v_ffbh_u32_e32 v32, v31
	v_min_u32_e32 v32, 32, v32
	v_mov_b32_e32 v27, v34
	v_subrev_u32_e32 v33, 29, v32
	v_bfe_u32 v4, v26, 2, 5
	v_lshlrev_b64 v[26:27], v33, v[26:27]
	v_sub_u32_e32 v27, 30, v32
	v_cmp_eq_u32_e32 vcc, 0, v4
	v_lshlrev_b32_e32 v3, 16, v3
	v_and_b32_e32 v26, 3, v26
	v_cndmask_b32_e32 v4, v4, v27, vcc
	v_and_b32_e32 v3, 0x80000000, v3
	v_cndmask_b32_e32 v26, v31, v26, vcc
	v_lshl_add_u32 v3, v4, 23, v3
	v_lshl_or_b32 v3, v26, 21, v3
	v_add_u32_e32 v27, 0x38000000, v3
                                        ; implicit-def: $vgpr31
                                        ; implicit-def: $vgpr3_vgpr4
.LBB6_9996:                             ;   in Loop: Header=BB6_8948 Depth=3
	s_andn2_saveexec_b64 s[34:35], s[34:35]
; %bb.9997:                             ;   in Loop: Header=BB6_8948 Depth=3
	v_cmp_lt_i16_e32 vcc, -1, v3
	v_mov_b32_e32 v3, 0xff800000
	v_mov_b32_e32 v4, 0x7f800000
	v_cndmask_b32_e32 v3, v3, v4, vcc
	v_cmp_eq_u32_e32 vcc, 0, v31
	v_mov_b32_e32 v4, 0x7f800001
	v_cndmask_b32_e32 v27, v4, v3, vcc
; %bb.9998:                             ;   in Loop: Header=BB6_8948 Depth=3
	s_or_b64 exec, exec, s[34:35]
.LBB6_9999:                             ;   in Loop: Header=BB6_8948 Depth=3
	s_or_b64 exec, exec, s[30:31]
.LBB6_10000:                            ;   in Loop: Header=BB6_8948 Depth=3
	s_or_b64 exec, exec, s[28:29]
	v_lshrrev_b16_e32 v3, 8, v6
	v_cmp_ne_u16_e32 vcc, 0, v3
	s_and_saveexec_b64 s[28:29], vcc
	s_cbranch_execz .LBB6_10008
; %bb.10001:                            ;   in Loop: Header=BB6_8948 Depth=3
	v_cmp_ne_u16_e32 vcc, s44, v3
	v_bfrev_b32_e32 v0, 1
	s_and_saveexec_b64 s[30:31], vcc
	s_cbranch_execz .LBB6_10007
; %bb.10002:                            ;   in Loop: Header=BB6_8948 Depth=3
	v_and_b32_e32 v0, 0x7c, v3
	v_and_b32_e32 v26, 3, v3
	v_cmp_ne_u32_e32 vcc, s81, v0
                                        ; implicit-def: $vgpr0
	s_and_saveexec_b64 s[34:35], vcc
	s_xor_b64 s[34:35], exec, s[34:35]
	s_cbranch_execz .LBB6_10004
; %bb.10003:                            ;   in Loop: Header=BB6_8948 Depth=3
	v_ffbh_u32_e32 v31, v26
	v_min_u32_e32 v31, 32, v31
	v_mov_b32_e32 v4, v34
	v_subrev_u32_e32 v32, 29, v31
	v_bfe_u32 v0, v3, 2, 5
	v_lshlrev_b64 v[3:4], v32, v[3:4]
	v_sub_u32_e32 v4, 30, v31
	v_cmp_eq_u32_e32 vcc, 0, v0
	v_cndmask_b32_e32 v0, v0, v4, vcc
	v_lshlrev_b32_e32 v4, 16, v6
	v_and_b32_e32 v3, 3, v3
	v_and_b32_e32 v4, 0x80000000, v4
	v_cndmask_b32_e32 v3, v26, v3, vcc
	v_lshl_add_u32 v0, v0, 23, v4
	v_lshl_or_b32 v0, v3, 21, v0
	v_add_u32_e32 v0, 0x38000000, v0
                                        ; implicit-def: $vgpr26
.LBB6_10004:                            ;   in Loop: Header=BB6_8948 Depth=3
	s_andn2_saveexec_b64 s[34:35], s[34:35]
; %bb.10005:                            ;   in Loop: Header=BB6_8948 Depth=3
	v_cmp_lt_i16_e32 vcc, -1, v6
	v_mov_b32_e32 v0, 0xff800000
	v_mov_b32_e32 v3, 0x7f800000
	v_cndmask_b32_e32 v0, v0, v3, vcc
	v_cmp_eq_u32_e32 vcc, 0, v26
	v_mov_b32_e32 v3, 0x7f800001
	v_cndmask_b32_e32 v0, v3, v0, vcc
; %bb.10006:                            ;   in Loop: Header=BB6_8948 Depth=3
	s_or_b64 exec, exec, s[34:35]
.LBB6_10007:                            ;   in Loop: Header=BB6_8948 Depth=3
	s_or_b64 exec, exec, s[30:31]
.LBB6_10008:                            ;   in Loop: Header=BB6_8948 Depth=3
	s_or_b64 exec, exec, s[28:29]
	v_mul_f32_e32 v26, v27, v0
	v_and_b32_e32 v36, 0x7f800000, v26
	v_mov_b32_e32 v37, v34
	v_cmp_ne_u64_e32 vcc, s[76:77], v[36:37]
	v_and_b32_e32 v3, 0x7fffff, v26
	v_mov_b32_e32 v4, v34
                                        ; implicit-def: $vgpr31
	s_and_saveexec_b64 s[28:29], vcc
	s_xor_b64 s[30:31], exec, s[28:29]
	s_cbranch_execz .LBB6_10022
; %bb.10009:                            ;   in Loop: Header=BB6_8948 Depth=3
	v_and_b32_e32 v36, 0x7fffffff, v26
	v_mov_b32_e32 v37, v34
	v_cmp_gt_u64_e32 vcc, s[78:79], v[36:37]
	v_and_b32_sdwa v0, v26, s44 dst_sel:DWORD dst_unused:UNUSED_PAD src0_sel:BYTE_3 src1_sel:DWORD
                                        ; implicit-def: $vgpr31
	s_and_saveexec_b64 s[28:29], vcc
	s_xor_b64 s[34:35], exec, s[28:29]
	s_cbranch_execz .LBB6_10019
; %bb.10010:                            ;   in Loop: Header=BB6_8948 Depth=3
	v_mov_b32_e32 v31, 0
	v_cmp_ne_u32_e32 vcc, 0, v26
	s_and_saveexec_b64 s[36:37], vcc
	s_cbranch_execz .LBB6_10018
; %bb.10011:                            ;   in Loop: Header=BB6_8948 Depth=3
	v_bfe_u32 v31, v26, 23, 8
	v_cmp_gt_u32_e64 s[28:29], s45, v31
	v_sub_u32_e32 v26, 0x71, v31
	v_cmp_eq_u32_e32 vcc, 0, v31
	v_cndmask_b32_e64 v26, 0, v26, s[28:29]
	v_mov_b32_e32 v32, 0x70
	v_cndmask_b32_e32 v36, v26, v32, vcc
	v_or_b32_e32 v27, 0x800000, v3
	v_add_u32_e32 v26, 21, v36
	v_cndmask_b32_e32 v3, v27, v3, vcc
	v_lshlrev_b64 v[26:27], v26, -1
	v_add_u32_e32 v32, 20, v36
	v_bfi_b32 v26, v26, 0, v3
	v_lshlrev_b64 v[37:38], v32, 1
	v_lshrrev_b64 v[3:4], v36, v[3:4]
	v_bfi_b32 v27, v27, 0, 0
	v_cmp_eq_u64_e64 s[28:29], v[26:27], v[37:38]
	v_mov_b32_e32 v27, v4
	v_mov_b32_e32 v26, v3
	s_and_saveexec_b64 s[38:39], s[28:29]
; %bb.10012:                            ;   in Loop: Header=BB6_8948 Depth=3
	v_bfe_u32 v4, v3, 21, 1
	v_add_co_u32_e64 v4, s[28:29], v3, v4
	v_add_co_u32_e64 v26, s[28:29], -1, v4
; %bb.10013:                            ;   in Loop: Header=BB6_8948 Depth=3
	s_or_b64 exec, exec, s[38:39]
	v_add_u32_e32 v4, 0xffffff81, v31
	v_mov_b32_e32 v27, 0xffffff82
	v_cndmask_b32_e32 v4, v4, v27, vcc
	v_lshrrev_b32_e32 v27, 23, v3
	v_add3_u32 v31, v36, v4, v27
	v_add_u32_e32 v27, 14, v31
	v_and_b32_e32 v4, 0x1fffff, v26
	v_add_u32_e32 v3, v4, v3
	v_mov_b32_e32 v4, v34
	v_cmp_ne_u32_e32 vcc, 0, v27
                                        ; implicit-def: $vgpr26
	s_and_saveexec_b64 s[28:29], vcc
	s_xor_b64 s[28:29], exec, s[28:29]
; %bb.10014:                            ;   in Loop: Header=BB6_8948 Depth=3
	v_cmp_lt_u64_e32 vcc, s[88:89], v[3:4]
	v_add_u32_e32 v26, 15, v31
	v_cndmask_b32_e32 v26, v27, v26, vcc
	v_cndmask_b32_e64 v27, 0, 1, vcc
	v_lshrrev_b64 v[3:4], v27, v[3:4]
; %bb.10015:                            ;   in Loop: Header=BB6_8948 Depth=3
	s_andn2_saveexec_b64 s[28:29], s[28:29]
; %bb.10016:                            ;   in Loop: Header=BB6_8948 Depth=3
	v_bfe_u32 v26, v3, 23, 1
; %bb.10017:                            ;   in Loop: Header=BB6_8948 Depth=3
	s_or_b64 exec, exec, s[28:29]
	v_lshrrev_b64 v[3:4], 21, v[3:4]
	v_cmp_gt_i32_e32 vcc, 32, v26
	v_cndmask_b32_e32 v4, 0, v4, vcc
	v_cndmask_b32_e32 v3, 3, v3, vcc
	v_cmp_eq_u64_e64 s[28:29], 0, v[3:4]
	v_min_i32_e32 v4, 31, v26
	v_lshlrev_b32_e32 v4, 2, v4
	v_cmp_eq_u32_e32 vcc, 0, v26
	v_and_b32_e32 v4, 0xfc, v4
	v_and_or_b32 v3, v3, 3, v4
	s_and_b64 s[28:29], vcc, s[28:29]
	v_cndmask_b32_e64 v3, v3, 0, s[28:29]
	v_or_b32_e32 v31, v3, v0
.LBB6_10018:                            ;   in Loop: Header=BB6_8948 Depth=3
	s_or_b64 exec, exec, s[36:37]
                                        ; implicit-def: $vgpr0
.LBB6_10019:                            ;   in Loop: Header=BB6_8948 Depth=3
	s_andn2_saveexec_b64 s[28:29], s[34:35]
; %bb.10020:                            ;   in Loop: Header=BB6_8948 Depth=3
	v_or_b32_e32 v31, 0x7b, v0
; %bb.10021:                            ;   in Loop: Header=BB6_8948 Depth=3
	s_or_b64 exec, exec, s[28:29]
                                        ; implicit-def: $vgpr26
                                        ; implicit-def: $vgpr3_vgpr4
.LBB6_10022:                            ;   in Loop: Header=BB6_8948 Depth=3
	s_andn2_saveexec_b64 s[28:29], s[30:31]
	s_cbranch_execz .LBB6_10028
; %bb.10023:                            ;   in Loop: Header=BB6_8948 Depth=3
	v_cmp_ne_u64_e32 vcc, 0, v[3:4]
                                        ; implicit-def: $vgpr31
	s_and_saveexec_b64 s[30:31], vcc
	s_xor_b64 vcc, exec, s[30:31]
; %bb.10024:                            ;   in Loop: Header=BB6_8948 Depth=3
	v_or_b32_sdwa v31, v26, s83 dst_sel:DWORD dst_unused:UNUSED_PAD src0_sel:BYTE_3 src1_sel:DWORD
                                        ; implicit-def: $vgpr26
; %bb.10025:                            ;   in Loop: Header=BB6_8948 Depth=3
	s_andn2_saveexec_b64 s[30:31], vcc
; %bb.10026:                            ;   in Loop: Header=BB6_8948 Depth=3
	v_cmp_lt_i32_e32 vcc, -1, v26
	v_bfrev_b32_e32 v0, 0.5
	v_mov_b32_e32 v3, 0x7c
	v_cndmask_b32_e32 v31, v0, v3, vcc
; %bb.10027:                            ;   in Loop: Header=BB6_8948 Depth=3
	s_or_b64 exec, exec, s[30:31]
.LBB6_10028:                            ;   in Loop: Header=BB6_8948 Depth=3
	s_or_b64 exec, exec, s[28:29]
	v_lshrrev_b32_e32 v0, 16, v29
	v_cmp_ne_u16_sdwa vcc, v0, v34 src0_sel:BYTE_0 src1_sel:DWORD
	v_mov_b32_e32 v3, 0
	v_mov_b32_e32 v4, 0
	s_and_saveexec_b64 s[28:29], vcc
	s_cbranch_execz .LBB6_10036
; %bb.10029:                            ;   in Loop: Header=BB6_8948 Depth=3
	v_cmp_ne_u16_sdwa vcc, v0, s44 src0_sel:BYTE_0 src1_sel:DWORD
	v_bfrev_b32_e32 v4, 1
	s_and_saveexec_b64 s[30:31], vcc
	s_cbranch_execz .LBB6_10035
; %bb.10030:                            ;   in Loop: Header=BB6_8948 Depth=3
	v_and_b32_e32 v4, 0x7c0000, v29
	v_bfe_u32 v26, v29, 16, 2
	v_cmp_ne_u32_e32 vcc, s9, v4
                                        ; implicit-def: $vgpr4
	s_and_saveexec_b64 s[34:35], vcc
	s_xor_b64 s[34:35], exec, s[34:35]
	s_cbranch_execz .LBB6_10032
; %bb.10031:                            ;   in Loop: Header=BB6_8948 Depth=3
	v_ffbh_u32_e32 v27, v26
	v_min_u32_e32 v27, 32, v27
	v_subrev_u32_e32 v32, 29, v27
	v_lshlrev_b64 v[36:37], v32, v[0:1]
	v_bfe_u32 v4, v29, 18, 5
	v_sub_u32_e32 v0, 30, v27
	v_and_b32_e32 v27, 3, v36
	v_cmp_eq_u32_e32 vcc, 0, v4
	v_cndmask_b32_e32 v0, v4, v0, vcc
	v_cndmask_b32_e32 v4, v26, v27, vcc
	v_lshlrev_b32_e32 v26, 8, v29
	v_and_b32_e32 v26, 0x80000000, v26
	v_lshl_add_u32 v0, v0, 23, v26
	v_lshl_or_b32 v0, v4, 21, v0
	v_add_u32_e32 v4, 0x38000000, v0
                                        ; implicit-def: $vgpr26
                                        ; implicit-def: $vgpr0
.LBB6_10032:                            ;   in Loop: Header=BB6_8948 Depth=3
	s_andn2_saveexec_b64 s[34:35], s[34:35]
; %bb.10033:                            ;   in Loop: Header=BB6_8948 Depth=3
	v_mov_b32_e32 v4, -1
	v_cmp_gt_i16_sdwa vcc, sext(v0), v4 src0_sel:BYTE_0 src1_sel:DWORD
	v_mov_b32_e32 v0, 0xff800000
	v_mov_b32_e32 v4, 0x7f800000
	v_cndmask_b32_e32 v0, v0, v4, vcc
	v_cmp_eq_u32_e32 vcc, 0, v26
	v_mov_b32_e32 v4, 0x7f800001
	v_cndmask_b32_e32 v4, v4, v0, vcc
; %bb.10034:                            ;   in Loop: Header=BB6_8948 Depth=3
	s_or_b64 exec, exec, s[34:35]
.LBB6_10035:                            ;   in Loop: Header=BB6_8948 Depth=3
	s_or_b64 exec, exec, s[30:31]
.LBB6_10036:                            ;   in Loop: Header=BB6_8948 Depth=3
	s_or_b64 exec, exec, s[28:29]
	v_lshrrev_b32_e32 v0, 16, v6
	v_cmp_ne_u16_sdwa vcc, v0, v34 src0_sel:BYTE_0 src1_sel:DWORD
	s_and_saveexec_b64 s[28:29], vcc
	s_cbranch_execz .LBB6_10044
; %bb.10037:                            ;   in Loop: Header=BB6_8948 Depth=3
	v_cmp_ne_u16_sdwa vcc, v0, s44 src0_sel:BYTE_0 src1_sel:DWORD
	v_bfrev_b32_e32 v3, 1
	s_and_saveexec_b64 s[30:31], vcc
	s_cbranch_execz .LBB6_10043
; %bb.10038:                            ;   in Loop: Header=BB6_8948 Depth=3
	v_and_b32_e32 v3, 0x7c0000, v6
	v_bfe_u32 v26, v6, 16, 2
	v_cmp_ne_u32_e32 vcc, s9, v3
                                        ; implicit-def: $vgpr3
	s_and_saveexec_b64 s[34:35], vcc
	s_xor_b64 s[34:35], exec, s[34:35]
	s_cbranch_execz .LBB6_10040
; %bb.10039:                            ;   in Loop: Header=BB6_8948 Depth=3
	v_ffbh_u32_e32 v27, v26
	v_min_u32_e32 v27, 32, v27
	v_subrev_u32_e32 v32, 29, v27
	v_lshlrev_b64 v[36:37], v32, v[0:1]
	v_bfe_u32 v3, v6, 18, 5
	v_sub_u32_e32 v0, 30, v27
	v_and_b32_e32 v27, 3, v36
	v_cmp_eq_u32_e32 vcc, 0, v3
	v_cndmask_b32_e32 v0, v3, v0, vcc
	v_cndmask_b32_e32 v3, v26, v27, vcc
	v_lshlrev_b32_e32 v26, 8, v6
	v_and_b32_e32 v26, 0x80000000, v26
	v_lshl_add_u32 v0, v0, 23, v26
	v_lshl_or_b32 v0, v3, 21, v0
	v_add_u32_e32 v3, 0x38000000, v0
                                        ; implicit-def: $vgpr26
                                        ; implicit-def: $vgpr0
.LBB6_10040:                            ;   in Loop: Header=BB6_8948 Depth=3
	s_andn2_saveexec_b64 s[34:35], s[34:35]
; %bb.10041:                            ;   in Loop: Header=BB6_8948 Depth=3
	v_mov_b32_e32 v3, -1
	v_cmp_gt_i16_sdwa vcc, sext(v0), v3 src0_sel:BYTE_0 src1_sel:DWORD
	v_mov_b32_e32 v0, 0xff800000
	v_mov_b32_e32 v3, 0x7f800000
	v_cndmask_b32_e32 v0, v0, v3, vcc
	v_cmp_eq_u32_e32 vcc, 0, v26
	v_mov_b32_e32 v3, 0x7f800001
	v_cndmask_b32_e32 v3, v3, v0, vcc
; %bb.10042:                            ;   in Loop: Header=BB6_8948 Depth=3
	s_or_b64 exec, exec, s[34:35]
.LBB6_10043:                            ;   in Loop: Header=BB6_8948 Depth=3
	s_or_b64 exec, exec, s[30:31]
.LBB6_10044:                            ;   in Loop: Header=BB6_8948 Depth=3
	s_or_b64 exec, exec, s[28:29]
	v_mul_f32_e32 v27, v4, v3
	v_and_b32_e32 v36, 0x7f800000, v27
	v_mov_b32_e32 v37, v34
	v_cmp_ne_u64_e32 vcc, s[76:77], v[36:37]
	v_and_b32_e32 v3, 0x7fffff, v27
	v_mov_b32_e32 v4, v34
                                        ; implicit-def: $vgpr26
	s_and_saveexec_b64 s[28:29], vcc
	s_xor_b64 s[30:31], exec, s[28:29]
	s_cbranch_execz .LBB6_10058
; %bb.10045:                            ;   in Loop: Header=BB6_8948 Depth=3
	v_and_b32_e32 v36, 0x7fffffff, v27
	v_mov_b32_e32 v37, v34
	v_cmp_gt_u64_e32 vcc, s[78:79], v[36:37]
	v_and_b32_sdwa v0, v27, s44 dst_sel:DWORD dst_unused:UNUSED_PAD src0_sel:BYTE_3 src1_sel:DWORD
                                        ; implicit-def: $vgpr26
	s_and_saveexec_b64 s[28:29], vcc
	s_xor_b64 s[34:35], exec, s[28:29]
	s_cbranch_execz .LBB6_10055
; %bb.10046:                            ;   in Loop: Header=BB6_8948 Depth=3
	v_mov_b32_e32 v26, 0
	v_cmp_ne_u32_e32 vcc, 0, v27
	s_and_saveexec_b64 s[36:37], vcc
	s_cbranch_execz .LBB6_10054
; %bb.10047:                            ;   in Loop: Header=BB6_8948 Depth=3
	v_bfe_u32 v36, v27, 23, 8
	v_cmp_gt_u32_e64 s[28:29], s45, v36
	v_sub_u32_e32 v26, 0x71, v36
	v_cmp_eq_u32_e32 vcc, 0, v36
	v_cndmask_b32_e64 v26, 0, v26, s[28:29]
	v_mov_b32_e32 v32, 0x70
	v_cndmask_b32_e32 v37, v26, v32, vcc
	v_or_b32_e32 v27, 0x800000, v3
	v_add_u32_e32 v26, 21, v37
	v_cndmask_b32_e32 v3, v27, v3, vcc
	v_lshlrev_b64 v[26:27], v26, -1
	v_add_u32_e32 v32, 20, v37
	v_bfi_b32 v26, v26, 0, v3
	v_lshlrev_b64 v[38:39], v32, 1
	v_lshrrev_b64 v[3:4], v37, v[3:4]
	v_bfi_b32 v27, v27, 0, 0
	v_cmp_eq_u64_e64 s[28:29], v[26:27], v[38:39]
	v_mov_b32_e32 v27, v4
	v_mov_b32_e32 v26, v3
	s_and_saveexec_b64 s[38:39], s[28:29]
; %bb.10048:                            ;   in Loop: Header=BB6_8948 Depth=3
	v_bfe_u32 v4, v3, 21, 1
	v_add_co_u32_e64 v4, s[28:29], v3, v4
	v_add_co_u32_e64 v26, s[28:29], -1, v4
; %bb.10049:                            ;   in Loop: Header=BB6_8948 Depth=3
	s_or_b64 exec, exec, s[38:39]
	v_add_u32_e32 v4, 0xffffff81, v36
	v_mov_b32_e32 v27, 0xffffff82
	v_cndmask_b32_e32 v4, v4, v27, vcc
	v_lshrrev_b32_e32 v27, 23, v3
	v_add3_u32 v36, v37, v4, v27
	v_add_u32_e32 v27, 14, v36
	v_and_b32_e32 v4, 0x1fffff, v26
	v_add_u32_e32 v3, v4, v3
	v_mov_b32_e32 v4, v34
	v_cmp_ne_u32_e32 vcc, 0, v27
                                        ; implicit-def: $vgpr26
	s_and_saveexec_b64 s[28:29], vcc
	s_xor_b64 s[28:29], exec, s[28:29]
; %bb.10050:                            ;   in Loop: Header=BB6_8948 Depth=3
	v_cmp_lt_u64_e32 vcc, s[88:89], v[3:4]
	v_add_u32_e32 v26, 15, v36
	v_cndmask_b32_e32 v26, v27, v26, vcc
	v_cndmask_b32_e64 v27, 0, 1, vcc
	v_lshrrev_b64 v[3:4], v27, v[3:4]
; %bb.10051:                            ;   in Loop: Header=BB6_8948 Depth=3
	s_andn2_saveexec_b64 s[28:29], s[28:29]
; %bb.10052:                            ;   in Loop: Header=BB6_8948 Depth=3
	v_bfe_u32 v26, v3, 23, 1
; %bb.10053:                            ;   in Loop: Header=BB6_8948 Depth=3
	s_or_b64 exec, exec, s[28:29]
	v_lshrrev_b64 v[3:4], 21, v[3:4]
	v_cmp_gt_i32_e32 vcc, 32, v26
	v_cndmask_b32_e32 v4, 0, v4, vcc
	v_cndmask_b32_e32 v3, 3, v3, vcc
	v_cmp_eq_u64_e64 s[28:29], 0, v[3:4]
	v_min_i32_e32 v4, 31, v26
	v_lshlrev_b32_e32 v4, 2, v4
	v_cmp_eq_u32_e32 vcc, 0, v26
	v_and_b32_e32 v4, 0xfc, v4
	v_and_or_b32 v3, v3, 3, v4
	s_and_b64 s[28:29], vcc, s[28:29]
	v_cndmask_b32_e64 v3, v3, 0, s[28:29]
	v_or_b32_e32 v26, v3, v0
.LBB6_10054:                            ;   in Loop: Header=BB6_8948 Depth=3
	s_or_b64 exec, exec, s[36:37]
                                        ; implicit-def: $vgpr0
.LBB6_10055:                            ;   in Loop: Header=BB6_8948 Depth=3
	s_andn2_saveexec_b64 s[28:29], s[34:35]
; %bb.10056:                            ;   in Loop: Header=BB6_8948 Depth=3
	v_or_b32_e32 v26, 0x7b, v0
; %bb.10057:                            ;   in Loop: Header=BB6_8948 Depth=3
	s_or_b64 exec, exec, s[28:29]
                                        ; implicit-def: $vgpr27
                                        ; implicit-def: $vgpr3_vgpr4
.LBB6_10058:                            ;   in Loop: Header=BB6_8948 Depth=3
	s_andn2_saveexec_b64 s[28:29], s[30:31]
	s_cbranch_execz .LBB6_10064
; %bb.10059:                            ;   in Loop: Header=BB6_8948 Depth=3
	v_cmp_ne_u64_e32 vcc, 0, v[3:4]
                                        ; implicit-def: $vgpr26
	s_and_saveexec_b64 s[30:31], vcc
	s_xor_b64 vcc, exec, s[30:31]
; %bb.10060:                            ;   in Loop: Header=BB6_8948 Depth=3
	v_or_b32_sdwa v26, v27, s83 dst_sel:DWORD dst_unused:UNUSED_PAD src0_sel:BYTE_3 src1_sel:DWORD
                                        ; implicit-def: $vgpr27
; %bb.10061:                            ;   in Loop: Header=BB6_8948 Depth=3
	s_andn2_saveexec_b64 s[30:31], vcc
; %bb.10062:                            ;   in Loop: Header=BB6_8948 Depth=3
	v_cmp_lt_i32_e32 vcc, -1, v27
	v_bfrev_b32_e32 v0, 0.5
	v_mov_b32_e32 v3, 0x7c
	v_cndmask_b32_e32 v26, v0, v3, vcc
; %bb.10063:                            ;   in Loop: Header=BB6_8948 Depth=3
	s_or_b64 exec, exec, s[30:31]
.LBB6_10064:                            ;   in Loop: Header=BB6_8948 Depth=3
	s_or_b64 exec, exec, s[28:29]
	v_cmp_lt_u64_e32 vcc, s[56:57], v[28:29]
	v_mov_b32_e32 v3, 0
	v_mov_b32_e32 v4, 0
	s_and_saveexec_b64 s[28:29], vcc
	s_cbranch_execz .LBB6_10072
; %bb.10065:                            ;   in Loop: Header=BB6_8948 Depth=3
	v_lshrrev_b32_e32 v0, 24, v29
	v_cmp_ne_u32_e32 vcc, s44, v0
	v_bfrev_b32_e32 v4, 1
	s_and_saveexec_b64 s[30:31], vcc
	s_cbranch_execz .LBB6_10071
; %bb.10066:                            ;   in Loop: Header=BB6_8948 Depth=3
	v_and_b32_e32 v4, 0x7c000000, v29
	v_bfe_u32 v27, v29, 24, 2
	v_cmp_ne_u32_e32 vcc, s8, v4
                                        ; implicit-def: $vgpr4
	s_and_saveexec_b64 s[34:35], vcc
	s_xor_b64 s[34:35], exec, s[34:35]
	s_cbranch_execz .LBB6_10068
; %bb.10067:                            ;   in Loop: Header=BB6_8948 Depth=3
	v_ffbh_u32_e32 v28, v27
	v_min_u32_e32 v28, 32, v28
	v_subrev_u32_e32 v32, 29, v28
	v_lshlrev_b64 v[36:37], v32, v[0:1]
	v_bfe_u32 v4, v29, 26, 5
	v_sub_u32_e32 v0, 30, v28
	v_and_b32_e32 v28, 3, v36
	v_cmp_eq_u32_e32 vcc, 0, v4
	v_cndmask_b32_e32 v0, v4, v0, vcc
	v_cndmask_b32_e32 v4, v27, v28, vcc
	v_and_b32_e32 v27, 0x80000000, v29
	v_lshl_add_u32 v0, v0, 23, v27
	v_lshl_or_b32 v0, v4, 21, v0
	v_add_u32_e32 v4, 0x38000000, v0
                                        ; implicit-def: $vgpr27
                                        ; implicit-def: $vgpr28_vgpr29
.LBB6_10068:                            ;   in Loop: Header=BB6_8948 Depth=3
	s_andn2_saveexec_b64 s[34:35], s[34:35]
; %bb.10069:                            ;   in Loop: Header=BB6_8948 Depth=3
	v_cmp_lt_i64_e32 vcc, -1, v[28:29]
	v_mov_b32_e32 v0, 0xff800000
	v_mov_b32_e32 v4, 0x7f800000
	v_cndmask_b32_e32 v0, v0, v4, vcc
	v_cmp_eq_u32_e32 vcc, 0, v27
	v_mov_b32_e32 v4, 0x7f800001
	v_cndmask_b32_e32 v4, v4, v0, vcc
; %bb.10070:                            ;   in Loop: Header=BB6_8948 Depth=3
	s_or_b64 exec, exec, s[34:35]
.LBB6_10071:                            ;   in Loop: Header=BB6_8948 Depth=3
	s_or_b64 exec, exec, s[30:31]
.LBB6_10072:                            ;   in Loop: Header=BB6_8948 Depth=3
	s_or_b64 exec, exec, s[28:29]
	v_cmp_lt_u64_e32 vcc, s[56:57], v[5:6]
	s_and_saveexec_b64 s[28:29], vcc
	s_cbranch_execz .LBB6_10080
; %bb.10073:                            ;   in Loop: Header=BB6_8948 Depth=3
	v_lshrrev_b32_e32 v0, 24, v6
	v_cmp_ne_u32_e32 vcc, s44, v0
	v_bfrev_b32_e32 v3, 1
	s_and_saveexec_b64 s[30:31], vcc
	s_cbranch_execz .LBB6_10079
; %bb.10074:                            ;   in Loop: Header=BB6_8948 Depth=3
	v_and_b32_e32 v3, 0x7c000000, v6
	v_bfe_u32 v27, v6, 24, 2
	v_cmp_ne_u32_e32 vcc, s8, v3
                                        ; implicit-def: $vgpr3
	s_and_saveexec_b64 s[34:35], vcc
	s_xor_b64 s[34:35], exec, s[34:35]
	s_cbranch_execz .LBB6_10076
; %bb.10075:                            ;   in Loop: Header=BB6_8948 Depth=3
	v_ffbh_u32_e32 v5, v27
	v_min_u32_e32 v5, 32, v5
	v_subrev_u32_e32 v28, 29, v5
	v_lshlrev_b64 v[28:29], v28, v[0:1]
	v_bfe_u32 v3, v6, 26, 5
	v_sub_u32_e32 v0, 30, v5
	v_and_b32_e32 v5, 3, v28
	v_cmp_eq_u32_e32 vcc, 0, v3
	v_cndmask_b32_e32 v0, v3, v0, vcc
	v_cndmask_b32_e32 v3, v27, v5, vcc
	v_and_b32_e32 v5, 0x80000000, v6
	v_lshl_add_u32 v0, v0, 23, v5
	v_lshl_or_b32 v0, v3, 21, v0
	v_add_u32_e32 v3, 0x38000000, v0
                                        ; implicit-def: $vgpr27
                                        ; implicit-def: $vgpr5_vgpr6
.LBB6_10076:                            ;   in Loop: Header=BB6_8948 Depth=3
	s_andn2_saveexec_b64 s[34:35], s[34:35]
; %bb.10077:                            ;   in Loop: Header=BB6_8948 Depth=3
	v_cmp_lt_i64_e32 vcc, -1, v[5:6]
	v_mov_b32_e32 v0, 0xff800000
	v_mov_b32_e32 v3, 0x7f800000
	v_cndmask_b32_e32 v0, v0, v3, vcc
	v_cmp_eq_u32_e32 vcc, 0, v27
	v_mov_b32_e32 v3, 0x7f800001
	v_cndmask_b32_e32 v3, v3, v0, vcc
; %bb.10078:                            ;   in Loop: Header=BB6_8948 Depth=3
	s_or_b64 exec, exec, s[34:35]
.LBB6_10079:                            ;   in Loop: Header=BB6_8948 Depth=3
	s_or_b64 exec, exec, s[30:31]
.LBB6_10080:                            ;   in Loop: Header=BB6_8948 Depth=3
	s_or_b64 exec, exec, s[28:29]
	v_mul_f32_e32 v5, v4, v3
	v_and_b32_e32 v27, 0x7f800000, v5
	v_mov_b32_e32 v28, v34
	v_cmp_ne_u64_e32 vcc, s[76:77], v[27:28]
	v_and_b32_e32 v3, 0x7fffff, v5
	v_mov_b32_e32 v4, v34
                                        ; implicit-def: $vgpr27
	s_and_saveexec_b64 s[28:29], vcc
	s_xor_b64 s[30:31], exec, s[28:29]
	s_cbranch_execz .LBB6_10094
; %bb.10081:                            ;   in Loop: Header=BB6_8948 Depth=3
	v_and_b32_e32 v27, 0x7fffffff, v5
	v_mov_b32_e32 v28, v34
	v_cmp_gt_u64_e32 vcc, s[78:79], v[27:28]
	v_and_b32_sdwa v0, v5, s44 dst_sel:DWORD dst_unused:UNUSED_PAD src0_sel:BYTE_3 src1_sel:DWORD
                                        ; implicit-def: $vgpr27
	s_and_saveexec_b64 s[28:29], vcc
	s_xor_b64 s[34:35], exec, s[28:29]
	s_cbranch_execz .LBB6_10091
; %bb.10082:                            ;   in Loop: Header=BB6_8948 Depth=3
	v_mov_b32_e32 v27, 0
	v_cmp_ne_u32_e32 vcc, 0, v5
	s_and_saveexec_b64 s[36:37], vcc
	s_cbranch_execz .LBB6_10090
; %bb.10083:                            ;   in Loop: Header=BB6_8948 Depth=3
	v_bfe_u32 v6, v5, 23, 8
	v_cmp_gt_u32_e64 s[28:29], s45, v6
	v_sub_u32_e32 v5, 0x71, v6
	v_cmp_eq_u32_e32 vcc, 0, v6
	v_cndmask_b32_e64 v5, 0, v5, s[28:29]
	v_mov_b32_e32 v27, 0x70
	v_cndmask_b32_e32 v27, v5, v27, vcc
	v_or_b32_e32 v28, 0x800000, v3
	v_add_u32_e32 v5, 21, v27
	v_cndmask_b32_e32 v3, v28, v3, vcc
	v_lshlrev_b64 v[28:29], v5, -1
	v_add_u32_e32 v5, 20, v27
	v_bfi_b32 v28, v28, 0, v3
	v_lshlrev_b64 v[36:37], v5, 1
	v_lshrrev_b64 v[3:4], v27, v[3:4]
	v_bfi_b32 v29, v29, 0, 0
	v_cmp_eq_u64_e64 s[28:29], v[28:29], v[36:37]
	v_mov_b32_e32 v5, v4
	v_mov_b32_e32 v4, v3
	s_and_saveexec_b64 s[38:39], s[28:29]
; %bb.10084:                            ;   in Loop: Header=BB6_8948 Depth=3
	v_bfe_u32 v4, v3, 21, 1
	v_add_co_u32_e64 v4, s[28:29], v3, v4
	v_add_co_u32_e64 v4, s[28:29], -1, v4
; %bb.10085:                            ;   in Loop: Header=BB6_8948 Depth=3
	s_or_b64 exec, exec, s[38:39]
	v_add_u32_e32 v5, 0xffffff81, v6
	v_mov_b32_e32 v6, 0xffffff82
	v_cndmask_b32_e32 v5, v5, v6, vcc
	v_lshrrev_b32_e32 v6, 23, v3
	v_add3_u32 v27, v27, v5, v6
	v_add_u32_e32 v6, 14, v27
	v_and_b32_e32 v4, 0x1fffff, v4
	v_add_u32_e32 v3, v4, v3
	v_mov_b32_e32 v4, v34
	v_cmp_ne_u32_e32 vcc, 0, v6
                                        ; implicit-def: $vgpr5
	s_and_saveexec_b64 s[28:29], vcc
	s_xor_b64 s[28:29], exec, s[28:29]
; %bb.10086:                            ;   in Loop: Header=BB6_8948 Depth=3
	v_cmp_lt_u64_e32 vcc, s[88:89], v[3:4]
	v_add_u32_e32 v5, 15, v27
	v_cndmask_b32_e32 v5, v6, v5, vcc
	v_cndmask_b32_e64 v6, 0, 1, vcc
	v_lshrrev_b64 v[3:4], v6, v[3:4]
; %bb.10087:                            ;   in Loop: Header=BB6_8948 Depth=3
	s_andn2_saveexec_b64 s[28:29], s[28:29]
; %bb.10088:                            ;   in Loop: Header=BB6_8948 Depth=3
	v_bfe_u32 v5, v3, 23, 1
; %bb.10089:                            ;   in Loop: Header=BB6_8948 Depth=3
	s_or_b64 exec, exec, s[28:29]
	v_lshrrev_b64 v[3:4], 21, v[3:4]
	v_cmp_gt_i32_e32 vcc, 32, v5
	v_cndmask_b32_e32 v4, 0, v4, vcc
	v_cndmask_b32_e32 v3, 3, v3, vcc
	v_cmp_eq_u64_e64 s[28:29], 0, v[3:4]
	v_min_i32_e32 v4, 31, v5
	v_lshlrev_b32_e32 v4, 2, v4
	v_cmp_eq_u32_e32 vcc, 0, v5
	v_and_b32_e32 v4, 0xfc, v4
	v_and_or_b32 v3, v3, 3, v4
	s_and_b64 s[28:29], vcc, s[28:29]
	v_cndmask_b32_e64 v3, v3, 0, s[28:29]
	v_or_b32_e32 v27, v3, v0
.LBB6_10090:                            ;   in Loop: Header=BB6_8948 Depth=3
	s_or_b64 exec, exec, s[36:37]
                                        ; implicit-def: $vgpr0
.LBB6_10091:                            ;   in Loop: Header=BB6_8948 Depth=3
	s_andn2_saveexec_b64 s[28:29], s[34:35]
; %bb.10092:                            ;   in Loop: Header=BB6_8948 Depth=3
	v_or_b32_e32 v27, 0x7b, v0
; %bb.10093:                            ;   in Loop: Header=BB6_8948 Depth=3
	s_or_b64 exec, exec, s[28:29]
                                        ; implicit-def: $vgpr5
                                        ; implicit-def: $vgpr3_vgpr4
.LBB6_10094:                            ;   in Loop: Header=BB6_8948 Depth=3
	s_andn2_saveexec_b64 s[28:29], s[30:31]
	s_cbranch_execz .LBB6_10100
; %bb.10095:                            ;   in Loop: Header=BB6_8948 Depth=3
	v_cmp_ne_u64_e32 vcc, 0, v[3:4]
                                        ; implicit-def: $vgpr27
	s_and_saveexec_b64 s[30:31], vcc
	s_xor_b64 vcc, exec, s[30:31]
; %bb.10096:                            ;   in Loop: Header=BB6_8948 Depth=3
	v_or_b32_sdwa v27, v5, s83 dst_sel:DWORD dst_unused:UNUSED_PAD src0_sel:BYTE_3 src1_sel:DWORD
                                        ; implicit-def: $vgpr5
; %bb.10097:                            ;   in Loop: Header=BB6_8948 Depth=3
	s_andn2_saveexec_b64 s[30:31], vcc
; %bb.10098:                            ;   in Loop: Header=BB6_8948 Depth=3
	v_cmp_lt_i32_e32 vcc, -1, v5
	v_bfrev_b32_e32 v0, 0.5
	v_mov_b32_e32 v3, 0x7c
	v_cndmask_b32_e32 v27, v0, v3, vcc
; %bb.10099:                            ;   in Loop: Header=BB6_8948 Depth=3
	s_or_b64 exec, exec, s[30:31]
.LBB6_10100:                            ;   in Loop: Header=BB6_8948 Depth=3
	s_or_b64 exec, exec, s[28:29]
	v_cmp_ne_u16_sdwa vcc, v20, v34 src0_sel:BYTE_0 src1_sel:DWORD
	v_mov_b32_e32 v0, 0
	v_mov_b32_e32 v3, 0
	s_and_saveexec_b64 s[28:29], vcc
	s_cbranch_execz .LBB6_10108
; %bb.10101:                            ;   in Loop: Header=BB6_8948 Depth=3
	v_cmp_ne_u16_sdwa vcc, sext(v20), s80 src0_sel:BYTE_0 src1_sel:DWORD
	v_bfrev_b32_e32 v3, 1
	s_and_saveexec_b64 s[30:31], vcc
	s_cbranch_execz .LBB6_10107
; %bb.10102:                            ;   in Loop: Header=BB6_8948 Depth=3
	v_and_b32_e32 v3, 0x7c, v20
	v_and_b32_e32 v4, 3, v20
	v_cmp_ne_u32_e32 vcc, s81, v3
                                        ; implicit-def: $vgpr3
	s_and_saveexec_b64 s[34:35], vcc
	s_xor_b64 s[34:35], exec, s[34:35]
	s_cbranch_execz .LBB6_10104
; %bb.10103:                            ;   in Loop: Header=BB6_8948 Depth=3
	v_ffbh_u32_e32 v5, v4
	v_min_u32_e32 v28, 32, v5
	v_subrev_u32_e32 v5, 29, v28
	v_lshlrev_b64 v[5:6], v5, v[20:21]
	v_bfe_u32 v3, v20, 2, 5
	v_and_b32_e32 v5, 3, v5
	v_cmp_eq_u32_e32 vcc, 0, v3
	v_sub_u32_e32 v6, 30, v28
	v_cndmask_b32_e32 v4, v4, v5, vcc
	v_lshlrev_b32_e32 v5, 24, v20
	v_cndmask_b32_e32 v3, v3, v6, vcc
	v_and_b32_e32 v5, 0x80000000, v5
	v_lshl_add_u32 v3, v3, 23, v5
	v_lshl_or_b32 v3, v4, 21, v3
	v_add_u32_e32 v3, 0x38000000, v3
                                        ; implicit-def: $vgpr4
.LBB6_10104:                            ;   in Loop: Header=BB6_8948 Depth=3
	s_andn2_saveexec_b64 s[34:35], s[34:35]
; %bb.10105:                            ;   in Loop: Header=BB6_8948 Depth=3
	v_mov_b32_e32 v3, -1
	v_cmp_gt_i16_sdwa vcc, sext(v20), v3 src0_sel:BYTE_0 src1_sel:DWORD
	v_mov_b32_e32 v3, 0xff800000
	v_mov_b32_e32 v5, 0x7f800000
	v_cndmask_b32_e32 v3, v3, v5, vcc
	v_cmp_eq_u32_e32 vcc, 0, v4
	v_mov_b32_e32 v4, 0x7f800001
	v_cndmask_b32_e32 v3, v4, v3, vcc
; %bb.10106:                            ;   in Loop: Header=BB6_8948 Depth=3
	s_or_b64 exec, exec, s[34:35]
.LBB6_10107:                            ;   in Loop: Header=BB6_8948 Depth=3
	s_or_b64 exec, exec, s[30:31]
.LBB6_10108:                            ;   in Loop: Header=BB6_8948 Depth=3
	s_or_b64 exec, exec, s[28:29]
	s_waitcnt vmcnt(1)
	v_cmp_ne_u16_sdwa vcc, v16, v34 src0_sel:BYTE_0 src1_sel:DWORD
	s_and_saveexec_b64 s[28:29], vcc
	s_cbranch_execz .LBB6_10116
; %bb.10109:                            ;   in Loop: Header=BB6_8948 Depth=3
	v_cmp_ne_u16_sdwa vcc, sext(v16), s80 src0_sel:BYTE_0 src1_sel:DWORD
	v_bfrev_b32_e32 v0, 1
	s_and_saveexec_b64 s[30:31], vcc
	s_cbranch_execz .LBB6_10115
; %bb.10110:                            ;   in Loop: Header=BB6_8948 Depth=3
	v_and_b32_e32 v0, 0x7c, v16
	v_and_b32_e32 v4, 3, v16
	v_cmp_ne_u32_e32 vcc, s81, v0
                                        ; implicit-def: $vgpr0
	s_and_saveexec_b64 s[34:35], vcc
	s_xor_b64 s[34:35], exec, s[34:35]
	s_cbranch_execz .LBB6_10112
; %bb.10111:                            ;   in Loop: Header=BB6_8948 Depth=3
	v_ffbh_u32_e32 v5, v4
	v_min_u32_e32 v28, 32, v5
	v_subrev_u32_e32 v5, 29, v28
	v_lshlrev_b64 v[5:6], v5, v[16:17]
	v_bfe_u32 v0, v16, 2, 5
	v_and_b32_e32 v5, 3, v5
	v_cmp_eq_u32_e32 vcc, 0, v0
	v_sub_u32_e32 v6, 30, v28
	v_cndmask_b32_e32 v4, v4, v5, vcc
	v_lshlrev_b32_e32 v5, 24, v16
	v_cndmask_b32_e32 v0, v0, v6, vcc
	v_and_b32_e32 v5, 0x80000000, v5
	v_lshl_add_u32 v0, v0, 23, v5
	v_lshl_or_b32 v0, v4, 21, v0
	v_add_u32_e32 v0, 0x38000000, v0
                                        ; implicit-def: $vgpr4
.LBB6_10112:                            ;   in Loop: Header=BB6_8948 Depth=3
	s_andn2_saveexec_b64 s[34:35], s[34:35]
; %bb.10113:                            ;   in Loop: Header=BB6_8948 Depth=3
	v_mov_b32_e32 v0, -1
	v_cmp_gt_i16_sdwa vcc, sext(v16), v0 src0_sel:BYTE_0 src1_sel:DWORD
	v_mov_b32_e32 v0, 0xff800000
	v_mov_b32_e32 v5, 0x7f800000
	v_cndmask_b32_e32 v0, v0, v5, vcc
	v_cmp_eq_u32_e32 vcc, 0, v4
	v_mov_b32_e32 v4, 0x7f800001
	v_cndmask_b32_e32 v0, v4, v0, vcc
; %bb.10114:                            ;   in Loop: Header=BB6_8948 Depth=3
	s_or_b64 exec, exec, s[34:35]
.LBB6_10115:                            ;   in Loop: Header=BB6_8948 Depth=3
	s_or_b64 exec, exec, s[30:31]
.LBB6_10116:                            ;   in Loop: Header=BB6_8948 Depth=3
	s_or_b64 exec, exec, s[28:29]
	v_mul_f32_e32 v5, v3, v0
	v_and_b32_e32 v28, 0x7f800000, v5
	v_mov_b32_e32 v29, v34
	v_cmp_ne_u64_e32 vcc, s[76:77], v[28:29]
	v_and_b32_e32 v3, 0x7fffff, v5
	v_mov_b32_e32 v4, v34
                                        ; implicit-def: $vgpr28
	s_and_saveexec_b64 s[28:29], vcc
	s_xor_b64 s[30:31], exec, s[28:29]
	s_cbranch_execz .LBB6_10130
; %bb.10117:                            ;   in Loop: Header=BB6_8948 Depth=3
	v_and_b32_e32 v28, 0x7fffffff, v5
	v_mov_b32_e32 v29, v34
	v_cmp_gt_u64_e32 vcc, s[78:79], v[28:29]
	v_and_b32_sdwa v0, v5, s44 dst_sel:DWORD dst_unused:UNUSED_PAD src0_sel:BYTE_3 src1_sel:DWORD
                                        ; implicit-def: $vgpr28
	s_and_saveexec_b64 s[28:29], vcc
	s_xor_b64 s[34:35], exec, s[28:29]
	s_cbranch_execz .LBB6_10127
; %bb.10118:                            ;   in Loop: Header=BB6_8948 Depth=3
	v_mov_b32_e32 v28, 0
	v_cmp_ne_u32_e32 vcc, 0, v5
	s_and_saveexec_b64 s[36:37], vcc
	s_cbranch_execz .LBB6_10126
; %bb.10119:                            ;   in Loop: Header=BB6_8948 Depth=3
	v_bfe_u32 v6, v5, 23, 8
	v_cmp_gt_u32_e64 s[28:29], s45, v6
	v_sub_u32_e32 v5, 0x71, v6
	v_cmp_eq_u32_e32 vcc, 0, v6
	v_cndmask_b32_e64 v5, 0, v5, s[28:29]
	v_mov_b32_e32 v28, 0x70
	v_cndmask_b32_e32 v28, v5, v28, vcc
	v_add_u32_e32 v5, 21, v28
	v_or_b32_e32 v29, 0x800000, v3
	v_lshlrev_b64 v[36:37], v5, -1
	v_cndmask_b32_e32 v3, v29, v3, vcc
	v_add_u32_e32 v5, 20, v28
	v_bfi_b32 v36, v36, 0, v3
	v_lshlrev_b64 v[38:39], v5, 1
	v_lshrrev_b64 v[3:4], v28, v[3:4]
	v_bfi_b32 v37, v37, 0, 0
	v_cmp_eq_u64_e64 s[28:29], v[36:37], v[38:39]
	v_mov_b32_e32 v5, v4
	v_mov_b32_e32 v4, v3
	s_and_saveexec_b64 s[38:39], s[28:29]
; %bb.10120:                            ;   in Loop: Header=BB6_8948 Depth=3
	v_bfe_u32 v4, v3, 21, 1
	v_add_co_u32_e64 v4, s[28:29], v3, v4
	v_add_co_u32_e64 v4, s[28:29], -1, v4
; %bb.10121:                            ;   in Loop: Header=BB6_8948 Depth=3
	s_or_b64 exec, exec, s[38:39]
	v_add_u32_e32 v5, 0xffffff81, v6
	v_mov_b32_e32 v6, 0xffffff82
	v_cndmask_b32_e32 v5, v5, v6, vcc
	v_lshrrev_b32_e32 v6, 23, v3
	v_add3_u32 v28, v28, v5, v6
	v_add_u32_e32 v6, 14, v28
	v_and_b32_e32 v4, 0x1fffff, v4
	v_add_u32_e32 v3, v4, v3
	v_mov_b32_e32 v4, v34
	v_cmp_ne_u32_e32 vcc, 0, v6
                                        ; implicit-def: $vgpr5
	s_and_saveexec_b64 s[28:29], vcc
	s_xor_b64 s[28:29], exec, s[28:29]
; %bb.10122:                            ;   in Loop: Header=BB6_8948 Depth=3
	v_cmp_lt_u64_e32 vcc, s[88:89], v[3:4]
	v_add_u32_e32 v5, 15, v28
	v_cndmask_b32_e32 v5, v6, v5, vcc
	v_cndmask_b32_e64 v6, 0, 1, vcc
	v_lshrrev_b64 v[3:4], v6, v[3:4]
; %bb.10123:                            ;   in Loop: Header=BB6_8948 Depth=3
	s_andn2_saveexec_b64 s[28:29], s[28:29]
; %bb.10124:                            ;   in Loop: Header=BB6_8948 Depth=3
	v_bfe_u32 v5, v3, 23, 1
; %bb.10125:                            ;   in Loop: Header=BB6_8948 Depth=3
	s_or_b64 exec, exec, s[28:29]
	v_lshrrev_b64 v[3:4], 21, v[3:4]
	v_cmp_gt_i32_e32 vcc, 32, v5
	v_cndmask_b32_e32 v4, 0, v4, vcc
	v_cndmask_b32_e32 v3, 3, v3, vcc
	v_cmp_eq_u64_e64 s[28:29], 0, v[3:4]
	v_min_i32_e32 v4, 31, v5
	v_lshlrev_b32_e32 v4, 2, v4
	v_cmp_eq_u32_e32 vcc, 0, v5
	v_and_b32_e32 v4, 0xfc, v4
	v_and_or_b32 v3, v3, 3, v4
	s_and_b64 s[28:29], vcc, s[28:29]
	v_cndmask_b32_e64 v3, v3, 0, s[28:29]
	v_or_b32_e32 v28, v3, v0
.LBB6_10126:                            ;   in Loop: Header=BB6_8948 Depth=3
	s_or_b64 exec, exec, s[36:37]
                                        ; implicit-def: $vgpr0
.LBB6_10127:                            ;   in Loop: Header=BB6_8948 Depth=3
	s_andn2_saveexec_b64 s[28:29], s[34:35]
; %bb.10128:                            ;   in Loop: Header=BB6_8948 Depth=3
	v_or_b32_e32 v28, 0x7b, v0
; %bb.10129:                            ;   in Loop: Header=BB6_8948 Depth=3
	s_or_b64 exec, exec, s[28:29]
                                        ; implicit-def: $vgpr5
                                        ; implicit-def: $vgpr3_vgpr4
.LBB6_10130:                            ;   in Loop: Header=BB6_8948 Depth=3
	s_andn2_saveexec_b64 s[28:29], s[30:31]
	s_cbranch_execz .LBB6_10136
; %bb.10131:                            ;   in Loop: Header=BB6_8948 Depth=3
	v_cmp_ne_u64_e32 vcc, 0, v[3:4]
                                        ; implicit-def: $vgpr28
	s_and_saveexec_b64 s[30:31], vcc
	s_xor_b64 vcc, exec, s[30:31]
; %bb.10132:                            ;   in Loop: Header=BB6_8948 Depth=3
	v_or_b32_sdwa v28, v5, s83 dst_sel:DWORD dst_unused:UNUSED_PAD src0_sel:BYTE_3 src1_sel:DWORD
                                        ; implicit-def: $vgpr5
; %bb.10133:                            ;   in Loop: Header=BB6_8948 Depth=3
	s_andn2_saveexec_b64 s[30:31], vcc
; %bb.10134:                            ;   in Loop: Header=BB6_8948 Depth=3
	v_cmp_lt_i32_e32 vcc, -1, v5
	v_bfrev_b32_e32 v0, 0.5
	v_mov_b32_e32 v3, 0x7c
	v_cndmask_b32_e32 v28, v0, v3, vcc
; %bb.10135:                            ;   in Loop: Header=BB6_8948 Depth=3
	s_or_b64 exec, exec, s[30:31]
.LBB6_10136:                            ;   in Loop: Header=BB6_8948 Depth=3
	s_or_b64 exec, exec, s[28:29]
	v_lshrrev_b16_e32 v3, 8, v20
	v_cmp_ne_u16_e32 vcc, 0, v3
	v_mov_b32_e32 v0, 0
	v_mov_b32_e32 v5, 0
	s_and_saveexec_b64 s[28:29], vcc
	s_cbranch_execz .LBB6_10144
; %bb.10137:                            ;   in Loop: Header=BB6_8948 Depth=3
	v_cmp_ne_u16_e32 vcc, s44, v3
	v_bfrev_b32_e32 v5, 1
	s_and_saveexec_b64 s[30:31], vcc
	s_cbranch_execz .LBB6_10143
; %bb.10138:                            ;   in Loop: Header=BB6_8948 Depth=3
	v_and_b32_e32 v4, 0x7c, v3
	v_and_b32_e32 v6, 3, v3
	v_cmp_ne_u32_e32 vcc, s81, v4
                                        ; implicit-def: $vgpr5
	s_and_saveexec_b64 s[34:35], vcc
	s_xor_b64 s[34:35], exec, s[34:35]
	s_cbranch_execz .LBB6_10140
; %bb.10139:                            ;   in Loop: Header=BB6_8948 Depth=3
	v_ffbh_u32_e32 v29, v6
	v_min_u32_e32 v29, 32, v29
	v_mov_b32_e32 v4, v34
	v_subrev_u32_e32 v32, 29, v29
	v_bfe_u32 v5, v3, 2, 5
	v_lshlrev_b64 v[3:4], v32, v[3:4]
	v_sub_u32_e32 v4, 30, v29
	v_cmp_eq_u32_e32 vcc, 0, v5
	v_cndmask_b32_e32 v4, v5, v4, vcc
	v_lshlrev_b32_e32 v5, 16, v20
	v_and_b32_e32 v3, 3, v3
	v_and_b32_e32 v5, 0x80000000, v5
	v_cndmask_b32_e32 v3, v6, v3, vcc
	v_lshl_add_u32 v4, v4, 23, v5
	v_lshl_or_b32 v3, v3, 21, v4
	v_add_u32_e32 v5, 0x38000000, v3
                                        ; implicit-def: $vgpr6
.LBB6_10140:                            ;   in Loop: Header=BB6_8948 Depth=3
	s_andn2_saveexec_b64 s[34:35], s[34:35]
; %bb.10141:                            ;   in Loop: Header=BB6_8948 Depth=3
	v_cmp_lt_i16_e32 vcc, -1, v20
	v_mov_b32_e32 v3, 0xff800000
	v_mov_b32_e32 v4, 0x7f800000
	v_cndmask_b32_e32 v3, v3, v4, vcc
	v_cmp_eq_u32_e32 vcc, 0, v6
	v_mov_b32_e32 v4, 0x7f800001
	v_cndmask_b32_e32 v5, v4, v3, vcc
; %bb.10142:                            ;   in Loop: Header=BB6_8948 Depth=3
	s_or_b64 exec, exec, s[34:35]
.LBB6_10143:                            ;   in Loop: Header=BB6_8948 Depth=3
	s_or_b64 exec, exec, s[30:31]
.LBB6_10144:                            ;   in Loop: Header=BB6_8948 Depth=3
	s_or_b64 exec, exec, s[28:29]
	v_lshrrev_b16_e32 v3, 8, v16
	v_cmp_ne_u16_e32 vcc, 0, v3
	s_and_saveexec_b64 s[28:29], vcc
	s_cbranch_execz .LBB6_10152
; %bb.10145:                            ;   in Loop: Header=BB6_8948 Depth=3
	v_cmp_ne_u16_e32 vcc, s44, v3
	v_bfrev_b32_e32 v0, 1
	s_and_saveexec_b64 s[30:31], vcc
	s_cbranch_execz .LBB6_10151
; %bb.10146:                            ;   in Loop: Header=BB6_8948 Depth=3
	v_and_b32_e32 v0, 0x7c, v3
	v_and_b32_e32 v6, 3, v3
	v_cmp_ne_u32_e32 vcc, s81, v0
                                        ; implicit-def: $vgpr0
	s_and_saveexec_b64 s[34:35], vcc
	s_xor_b64 s[34:35], exec, s[34:35]
	s_cbranch_execz .LBB6_10148
; %bb.10147:                            ;   in Loop: Header=BB6_8948 Depth=3
	v_ffbh_u32_e32 v29, v6
	v_min_u32_e32 v29, 32, v29
	v_mov_b32_e32 v4, v34
	v_subrev_u32_e32 v32, 29, v29
	v_bfe_u32 v0, v3, 2, 5
	v_lshlrev_b64 v[3:4], v32, v[3:4]
	v_sub_u32_e32 v4, 30, v29
	v_cmp_eq_u32_e32 vcc, 0, v0
	v_cndmask_b32_e32 v0, v0, v4, vcc
	v_lshlrev_b32_e32 v4, 16, v16
	v_and_b32_e32 v3, 3, v3
	v_and_b32_e32 v4, 0x80000000, v4
	v_cndmask_b32_e32 v3, v6, v3, vcc
	v_lshl_add_u32 v0, v0, 23, v4
	v_lshl_or_b32 v0, v3, 21, v0
	v_add_u32_e32 v0, 0x38000000, v0
                                        ; implicit-def: $vgpr6
.LBB6_10148:                            ;   in Loop: Header=BB6_8948 Depth=3
	s_andn2_saveexec_b64 s[34:35], s[34:35]
; %bb.10149:                            ;   in Loop: Header=BB6_8948 Depth=3
	v_cmp_lt_i16_e32 vcc, -1, v16
	v_mov_b32_e32 v0, 0xff800000
	v_mov_b32_e32 v3, 0x7f800000
	v_cndmask_b32_e32 v0, v0, v3, vcc
	v_cmp_eq_u32_e32 vcc, 0, v6
	v_mov_b32_e32 v3, 0x7f800001
	v_cndmask_b32_e32 v0, v3, v0, vcc
; %bb.10150:                            ;   in Loop: Header=BB6_8948 Depth=3
	s_or_b64 exec, exec, s[34:35]
.LBB6_10151:                            ;   in Loop: Header=BB6_8948 Depth=3
	s_or_b64 exec, exec, s[30:31]
.LBB6_10152:                            ;   in Loop: Header=BB6_8948 Depth=3
	s_or_b64 exec, exec, s[28:29]
	v_mul_f32_e32 v5, v5, v0
	v_and_b32_e32 v36, 0x7f800000, v5
	v_mov_b32_e32 v37, v34
	v_cmp_ne_u64_e32 vcc, s[76:77], v[36:37]
	v_and_b32_e32 v3, 0x7fffff, v5
	v_mov_b32_e32 v4, v34
                                        ; implicit-def: $vgpr29
	s_and_saveexec_b64 s[28:29], vcc
	s_xor_b64 s[30:31], exec, s[28:29]
	s_cbranch_execz .LBB6_10166
; %bb.10153:                            ;   in Loop: Header=BB6_8948 Depth=3
	v_and_b32_e32 v36, 0x7fffffff, v5
	v_mov_b32_e32 v37, v34
	v_cmp_gt_u64_e32 vcc, s[78:79], v[36:37]
	v_and_b32_sdwa v0, v5, s44 dst_sel:DWORD dst_unused:UNUSED_PAD src0_sel:BYTE_3 src1_sel:DWORD
                                        ; implicit-def: $vgpr29
	s_and_saveexec_b64 s[28:29], vcc
	s_xor_b64 s[34:35], exec, s[28:29]
	s_cbranch_execz .LBB6_10163
; %bb.10154:                            ;   in Loop: Header=BB6_8948 Depth=3
	v_mov_b32_e32 v29, 0
	v_cmp_ne_u32_e32 vcc, 0, v5
	s_and_saveexec_b64 s[36:37], vcc
	s_cbranch_execz .LBB6_10162
; %bb.10155:                            ;   in Loop: Header=BB6_8948 Depth=3
	v_bfe_u32 v6, v5, 23, 8
	v_cmp_gt_u32_e64 s[28:29], s45, v6
	v_sub_u32_e32 v5, 0x71, v6
	v_cmp_eq_u32_e32 vcc, 0, v6
	v_cndmask_b32_e64 v5, 0, v5, s[28:29]
	v_mov_b32_e32 v29, 0x70
	v_cndmask_b32_e32 v29, v5, v29, vcc
	v_add_u32_e32 v5, 21, v29
	v_or_b32_e32 v32, 0x800000, v3
	v_lshlrev_b64 v[36:37], v5, -1
	v_cndmask_b32_e32 v3, v32, v3, vcc
	v_add_u32_e32 v5, 20, v29
	v_bfi_b32 v36, v36, 0, v3
	v_lshlrev_b64 v[38:39], v5, 1
	v_lshrrev_b64 v[3:4], v29, v[3:4]
	v_bfi_b32 v37, v37, 0, 0
	v_cmp_eq_u64_e64 s[28:29], v[36:37], v[38:39]
	v_mov_b32_e32 v5, v4
	v_mov_b32_e32 v4, v3
	s_and_saveexec_b64 s[38:39], s[28:29]
; %bb.10156:                            ;   in Loop: Header=BB6_8948 Depth=3
	v_bfe_u32 v4, v3, 21, 1
	v_add_co_u32_e64 v4, s[28:29], v3, v4
	v_add_co_u32_e64 v4, s[28:29], -1, v4
; %bb.10157:                            ;   in Loop: Header=BB6_8948 Depth=3
	s_or_b64 exec, exec, s[38:39]
	v_add_u32_e32 v5, 0xffffff81, v6
	v_mov_b32_e32 v6, 0xffffff82
	v_cndmask_b32_e32 v5, v5, v6, vcc
	v_lshrrev_b32_e32 v6, 23, v3
	v_add3_u32 v29, v29, v5, v6
	v_add_u32_e32 v6, 14, v29
	v_and_b32_e32 v4, 0x1fffff, v4
	v_add_u32_e32 v3, v4, v3
	v_mov_b32_e32 v4, v34
	v_cmp_ne_u32_e32 vcc, 0, v6
                                        ; implicit-def: $vgpr5
	s_and_saveexec_b64 s[28:29], vcc
	s_xor_b64 s[28:29], exec, s[28:29]
; %bb.10158:                            ;   in Loop: Header=BB6_8948 Depth=3
	v_cmp_lt_u64_e32 vcc, s[88:89], v[3:4]
	v_add_u32_e32 v5, 15, v29
	v_cndmask_b32_e32 v5, v6, v5, vcc
	v_cndmask_b32_e64 v6, 0, 1, vcc
	v_lshrrev_b64 v[3:4], v6, v[3:4]
; %bb.10159:                            ;   in Loop: Header=BB6_8948 Depth=3
	s_andn2_saveexec_b64 s[28:29], s[28:29]
; %bb.10160:                            ;   in Loop: Header=BB6_8948 Depth=3
	v_bfe_u32 v5, v3, 23, 1
; %bb.10161:                            ;   in Loop: Header=BB6_8948 Depth=3
	s_or_b64 exec, exec, s[28:29]
	v_lshrrev_b64 v[3:4], 21, v[3:4]
	v_cmp_gt_i32_e32 vcc, 32, v5
	v_cndmask_b32_e32 v4, 0, v4, vcc
	v_cndmask_b32_e32 v3, 3, v3, vcc
	v_cmp_eq_u64_e64 s[28:29], 0, v[3:4]
	v_min_i32_e32 v4, 31, v5
	v_lshlrev_b32_e32 v4, 2, v4
	v_cmp_eq_u32_e32 vcc, 0, v5
	v_and_b32_e32 v4, 0xfc, v4
	v_and_or_b32 v3, v3, 3, v4
	s_and_b64 s[28:29], vcc, s[28:29]
	v_cndmask_b32_e64 v3, v3, 0, s[28:29]
	v_or_b32_e32 v29, v3, v0
.LBB6_10162:                            ;   in Loop: Header=BB6_8948 Depth=3
	s_or_b64 exec, exec, s[36:37]
                                        ; implicit-def: $vgpr0
.LBB6_10163:                            ;   in Loop: Header=BB6_8948 Depth=3
	s_andn2_saveexec_b64 s[28:29], s[34:35]
; %bb.10164:                            ;   in Loop: Header=BB6_8948 Depth=3
	v_or_b32_e32 v29, 0x7b, v0
; %bb.10165:                            ;   in Loop: Header=BB6_8948 Depth=3
	s_or_b64 exec, exec, s[28:29]
                                        ; implicit-def: $vgpr5
                                        ; implicit-def: $vgpr3_vgpr4
.LBB6_10166:                            ;   in Loop: Header=BB6_8948 Depth=3
	s_andn2_saveexec_b64 s[28:29], s[30:31]
	s_cbranch_execz .LBB6_10172
; %bb.10167:                            ;   in Loop: Header=BB6_8948 Depth=3
	v_cmp_ne_u64_e32 vcc, 0, v[3:4]
                                        ; implicit-def: $vgpr29
	s_and_saveexec_b64 s[30:31], vcc
	s_xor_b64 vcc, exec, s[30:31]
; %bb.10168:                            ;   in Loop: Header=BB6_8948 Depth=3
	v_or_b32_sdwa v29, v5, s83 dst_sel:DWORD dst_unused:UNUSED_PAD src0_sel:BYTE_3 src1_sel:DWORD
                                        ; implicit-def: $vgpr5
; %bb.10169:                            ;   in Loop: Header=BB6_8948 Depth=3
	s_andn2_saveexec_b64 s[30:31], vcc
; %bb.10170:                            ;   in Loop: Header=BB6_8948 Depth=3
	v_cmp_lt_i32_e32 vcc, -1, v5
	v_bfrev_b32_e32 v0, 0.5
	v_mov_b32_e32 v3, 0x7c
	v_cndmask_b32_e32 v29, v0, v3, vcc
; %bb.10171:                            ;   in Loop: Header=BB6_8948 Depth=3
	s_or_b64 exec, exec, s[30:31]
.LBB6_10172:                            ;   in Loop: Header=BB6_8948 Depth=3
	s_or_b64 exec, exec, s[28:29]
	v_lshrrev_b32_e32 v0, 16, v20
	v_cmp_ne_u16_sdwa vcc, v0, v34 src0_sel:BYTE_0 src1_sel:DWORD
	v_mov_b32_e32 v3, 0
	v_mov_b32_e32 v4, 0
	s_and_saveexec_b64 s[28:29], vcc
	s_cbranch_execz .LBB6_10180
; %bb.10173:                            ;   in Loop: Header=BB6_8948 Depth=3
	v_cmp_ne_u16_sdwa vcc, v0, s44 src0_sel:BYTE_0 src1_sel:DWORD
	v_bfrev_b32_e32 v4, 1
	s_and_saveexec_b64 s[30:31], vcc
	s_cbranch_execz .LBB6_10179
; %bb.10174:                            ;   in Loop: Header=BB6_8948 Depth=3
	v_and_b32_e32 v4, 0x7c0000, v20
	v_bfe_u32 v5, v20, 16, 2
	v_cmp_ne_u32_e32 vcc, s9, v4
                                        ; implicit-def: $vgpr4
	s_and_saveexec_b64 s[34:35], vcc
	s_xor_b64 s[34:35], exec, s[34:35]
	s_cbranch_execz .LBB6_10176
; %bb.10175:                            ;   in Loop: Header=BB6_8948 Depth=3
	v_ffbh_u32_e32 v6, v5
	v_min_u32_e32 v6, 32, v6
	v_subrev_u32_e32 v32, 29, v6
	v_lshlrev_b64 v[36:37], v32, v[0:1]
	v_bfe_u32 v4, v20, 18, 5
	v_sub_u32_e32 v0, 30, v6
	v_and_b32_e32 v6, 3, v36
	v_cmp_eq_u32_e32 vcc, 0, v4
	v_cndmask_b32_e32 v0, v4, v0, vcc
	v_cndmask_b32_e32 v4, v5, v6, vcc
	v_lshlrev_b32_e32 v5, 8, v20
	v_and_b32_e32 v5, 0x80000000, v5
	v_lshl_add_u32 v0, v0, 23, v5
	v_lshl_or_b32 v0, v4, 21, v0
	v_add_u32_e32 v4, 0x38000000, v0
                                        ; implicit-def: $vgpr5
                                        ; implicit-def: $vgpr0
.LBB6_10176:                            ;   in Loop: Header=BB6_8948 Depth=3
	s_andn2_saveexec_b64 s[34:35], s[34:35]
; %bb.10177:                            ;   in Loop: Header=BB6_8948 Depth=3
	v_mov_b32_e32 v4, -1
	v_cmp_gt_i16_sdwa vcc, sext(v0), v4 src0_sel:BYTE_0 src1_sel:DWORD
	v_mov_b32_e32 v0, 0xff800000
	v_mov_b32_e32 v4, 0x7f800000
	v_cndmask_b32_e32 v0, v0, v4, vcc
	v_cmp_eq_u32_e32 vcc, 0, v5
	v_mov_b32_e32 v4, 0x7f800001
	v_cndmask_b32_e32 v4, v4, v0, vcc
; %bb.10178:                            ;   in Loop: Header=BB6_8948 Depth=3
	s_or_b64 exec, exec, s[34:35]
.LBB6_10179:                            ;   in Loop: Header=BB6_8948 Depth=3
	s_or_b64 exec, exec, s[30:31]
.LBB6_10180:                            ;   in Loop: Header=BB6_8948 Depth=3
	s_or_b64 exec, exec, s[28:29]
	v_lshrrev_b32_e32 v0, 16, v16
	v_cmp_ne_u16_sdwa vcc, v0, v34 src0_sel:BYTE_0 src1_sel:DWORD
	s_and_saveexec_b64 s[28:29], vcc
	s_cbranch_execz .LBB6_10188
; %bb.10181:                            ;   in Loop: Header=BB6_8948 Depth=3
	v_cmp_ne_u16_sdwa vcc, v0, s44 src0_sel:BYTE_0 src1_sel:DWORD
	v_bfrev_b32_e32 v3, 1
	s_and_saveexec_b64 s[30:31], vcc
	s_cbranch_execz .LBB6_10187
; %bb.10182:                            ;   in Loop: Header=BB6_8948 Depth=3
	v_and_b32_e32 v3, 0x7c0000, v16
	v_bfe_u32 v5, v16, 16, 2
	v_cmp_ne_u32_e32 vcc, s9, v3
                                        ; implicit-def: $vgpr3
	s_and_saveexec_b64 s[34:35], vcc
	s_xor_b64 s[34:35], exec, s[34:35]
	s_cbranch_execz .LBB6_10184
; %bb.10183:                            ;   in Loop: Header=BB6_8948 Depth=3
	v_ffbh_u32_e32 v6, v5
	v_min_u32_e32 v6, 32, v6
	v_subrev_u32_e32 v32, 29, v6
	v_lshlrev_b64 v[36:37], v32, v[0:1]
	v_bfe_u32 v3, v16, 18, 5
	v_sub_u32_e32 v0, 30, v6
	v_and_b32_e32 v6, 3, v36
	v_cmp_eq_u32_e32 vcc, 0, v3
	v_cndmask_b32_e32 v0, v3, v0, vcc
	v_cndmask_b32_e32 v3, v5, v6, vcc
	v_lshlrev_b32_e32 v5, 8, v16
	v_and_b32_e32 v5, 0x80000000, v5
	v_lshl_add_u32 v0, v0, 23, v5
	v_lshl_or_b32 v0, v3, 21, v0
	v_add_u32_e32 v3, 0x38000000, v0
                                        ; implicit-def: $vgpr5
                                        ; implicit-def: $vgpr0
.LBB6_10184:                            ;   in Loop: Header=BB6_8948 Depth=3
	s_andn2_saveexec_b64 s[34:35], s[34:35]
; %bb.10185:                            ;   in Loop: Header=BB6_8948 Depth=3
	v_mov_b32_e32 v3, -1
	v_cmp_gt_i16_sdwa vcc, sext(v0), v3 src0_sel:BYTE_0 src1_sel:DWORD
	v_mov_b32_e32 v0, 0xff800000
	v_mov_b32_e32 v3, 0x7f800000
	v_cndmask_b32_e32 v0, v0, v3, vcc
	v_cmp_eq_u32_e32 vcc, 0, v5
	v_mov_b32_e32 v3, 0x7f800001
	v_cndmask_b32_e32 v3, v3, v0, vcc
; %bb.10186:                            ;   in Loop: Header=BB6_8948 Depth=3
	s_or_b64 exec, exec, s[34:35]
.LBB6_10187:                            ;   in Loop: Header=BB6_8948 Depth=3
	s_or_b64 exec, exec, s[30:31]
.LBB6_10188:                            ;   in Loop: Header=BB6_8948 Depth=3
	s_or_b64 exec, exec, s[28:29]
	v_mul_f32_e32 v5, v4, v3
	v_and_b32_e32 v36, 0x7f800000, v5
	v_mov_b32_e32 v37, v34
	v_cmp_ne_u64_e32 vcc, s[76:77], v[36:37]
	v_and_b32_e32 v3, 0x7fffff, v5
	v_mov_b32_e32 v4, v34
                                        ; implicit-def: $vgpr55
	s_and_saveexec_b64 s[28:29], vcc
	s_xor_b64 s[30:31], exec, s[28:29]
	s_cbranch_execz .LBB6_10202
; %bb.10189:                            ;   in Loop: Header=BB6_8948 Depth=3
	v_and_b32_e32 v36, 0x7fffffff, v5
	v_mov_b32_e32 v37, v34
	v_cmp_gt_u64_e32 vcc, s[78:79], v[36:37]
	v_and_b32_sdwa v0, v5, s44 dst_sel:DWORD dst_unused:UNUSED_PAD src0_sel:BYTE_3 src1_sel:DWORD
                                        ; implicit-def: $vgpr55
	s_and_saveexec_b64 s[28:29], vcc
	s_xor_b64 s[34:35], exec, s[28:29]
	s_cbranch_execz .LBB6_10199
; %bb.10190:                            ;   in Loop: Header=BB6_8948 Depth=3
	v_mov_b32_e32 v55, 0
	v_cmp_ne_u32_e32 vcc, 0, v5
	s_and_saveexec_b64 s[36:37], vcc
	s_cbranch_execz .LBB6_10198
; %bb.10191:                            ;   in Loop: Header=BB6_8948 Depth=3
	v_bfe_u32 v6, v5, 23, 8
	v_cmp_gt_u32_e64 s[28:29], s45, v6
	v_sub_u32_e32 v5, 0x71, v6
	v_cmp_eq_u32_e32 vcc, 0, v6
	v_cndmask_b32_e64 v5, 0, v5, s[28:29]
	v_mov_b32_e32 v33, 0x70
	v_cndmask_b32_e32 v36, v5, v33, vcc
	v_add_u32_e32 v5, 21, v36
	v_or_b32_e32 v32, 0x800000, v3
	v_lshlrev_b64 v[37:38], v5, -1
	v_cndmask_b32_e32 v3, v32, v3, vcc
	v_add_u32_e32 v5, 20, v36
	v_bfi_b32 v37, v37, 0, v3
	v_lshlrev_b64 v[48:49], v5, 1
	v_lshrrev_b64 v[3:4], v36, v[3:4]
	v_bfi_b32 v38, v38, 0, 0
	v_cmp_eq_u64_e64 s[28:29], v[37:38], v[48:49]
	v_mov_b32_e32 v5, v4
	v_mov_b32_e32 v4, v3
	s_and_saveexec_b64 s[38:39], s[28:29]
; %bb.10192:                            ;   in Loop: Header=BB6_8948 Depth=3
	v_bfe_u32 v4, v3, 21, 1
	v_add_co_u32_e64 v4, s[28:29], v3, v4
	v_add_co_u32_e64 v4, s[28:29], -1, v4
; %bb.10193:                            ;   in Loop: Header=BB6_8948 Depth=3
	s_or_b64 exec, exec, s[38:39]
	v_add_u32_e32 v5, 0xffffff81, v6
	v_mov_b32_e32 v6, 0xffffff82
	v_cndmask_b32_e32 v5, v5, v6, vcc
	v_lshrrev_b32_e32 v6, 23, v3
	v_add3_u32 v36, v36, v5, v6
	v_add_u32_e32 v6, 14, v36
	v_and_b32_e32 v4, 0x1fffff, v4
	v_add_u32_e32 v3, v4, v3
	v_mov_b32_e32 v4, v34
	v_cmp_ne_u32_e32 vcc, 0, v6
                                        ; implicit-def: $vgpr5
	s_and_saveexec_b64 s[28:29], vcc
	s_xor_b64 s[28:29], exec, s[28:29]
; %bb.10194:                            ;   in Loop: Header=BB6_8948 Depth=3
	v_cmp_lt_u64_e32 vcc, s[88:89], v[3:4]
	v_add_u32_e32 v5, 15, v36
	v_cndmask_b32_e32 v5, v6, v5, vcc
	v_cndmask_b32_e64 v6, 0, 1, vcc
	v_lshrrev_b64 v[3:4], v6, v[3:4]
; %bb.10195:                            ;   in Loop: Header=BB6_8948 Depth=3
	s_andn2_saveexec_b64 s[28:29], s[28:29]
; %bb.10196:                            ;   in Loop: Header=BB6_8948 Depth=3
	v_bfe_u32 v5, v3, 23, 1
; %bb.10197:                            ;   in Loop: Header=BB6_8948 Depth=3
	s_or_b64 exec, exec, s[28:29]
	v_lshrrev_b64 v[3:4], 21, v[3:4]
	v_cmp_gt_i32_e32 vcc, 32, v5
	v_cndmask_b32_e32 v4, 0, v4, vcc
	v_cndmask_b32_e32 v3, 3, v3, vcc
	v_cmp_eq_u64_e64 s[28:29], 0, v[3:4]
	v_min_i32_e32 v4, 31, v5
	v_lshlrev_b32_e32 v4, 2, v4
	v_cmp_eq_u32_e32 vcc, 0, v5
	v_and_b32_e32 v4, 0xfc, v4
	v_and_or_b32 v3, v3, 3, v4
	s_and_b64 s[28:29], vcc, s[28:29]
	v_cndmask_b32_e64 v3, v3, 0, s[28:29]
	v_or_b32_e32 v55, v3, v0
.LBB6_10198:                            ;   in Loop: Header=BB6_8948 Depth=3
	s_or_b64 exec, exec, s[36:37]
                                        ; implicit-def: $vgpr0
.LBB6_10199:                            ;   in Loop: Header=BB6_8948 Depth=3
	s_andn2_saveexec_b64 s[28:29], s[34:35]
; %bb.10200:                            ;   in Loop: Header=BB6_8948 Depth=3
	v_or_b32_e32 v55, 0x7b, v0
; %bb.10201:                            ;   in Loop: Header=BB6_8948 Depth=3
	s_or_b64 exec, exec, s[28:29]
                                        ; implicit-def: $vgpr5
                                        ; implicit-def: $vgpr3_vgpr4
.LBB6_10202:                            ;   in Loop: Header=BB6_8948 Depth=3
	s_andn2_saveexec_b64 s[28:29], s[30:31]
	s_cbranch_execz .LBB6_10208
; %bb.10203:                            ;   in Loop: Header=BB6_8948 Depth=3
	v_cmp_ne_u64_e32 vcc, 0, v[3:4]
                                        ; implicit-def: $vgpr55
	s_and_saveexec_b64 s[30:31], vcc
	s_xor_b64 vcc, exec, s[30:31]
; %bb.10204:                            ;   in Loop: Header=BB6_8948 Depth=3
	v_or_b32_sdwa v55, v5, s83 dst_sel:DWORD dst_unused:UNUSED_PAD src0_sel:BYTE_3 src1_sel:DWORD
                                        ; implicit-def: $vgpr5
; %bb.10205:                            ;   in Loop: Header=BB6_8948 Depth=3
	s_andn2_saveexec_b64 s[30:31], vcc
; %bb.10206:                            ;   in Loop: Header=BB6_8948 Depth=3
	v_cmp_lt_i32_e32 vcc, -1, v5
	v_bfrev_b32_e32 v0, 0.5
	v_mov_b32_e32 v3, 0x7c
	v_cndmask_b32_e32 v55, v0, v3, vcc
; %bb.10207:                            ;   in Loop: Header=BB6_8948 Depth=3
	s_or_b64 exec, exec, s[30:31]
.LBB6_10208:                            ;   in Loop: Header=BB6_8948 Depth=3
	s_or_b64 exec, exec, s[28:29]
	v_cmp_lt_u32_e32 vcc, s57, v20
	v_mov_b32_e32 v3, 0
	v_mov_b32_e32 v4, 0
	s_and_saveexec_b64 s[28:29], vcc
	s_cbranch_execz .LBB6_10216
; %bb.10209:                            ;   in Loop: Header=BB6_8948 Depth=3
	v_lshrrev_b32_e32 v0, 24, v20
	v_cmp_ne_u32_e32 vcc, s44, v0
	v_bfrev_b32_e32 v4, 1
	s_and_saveexec_b64 s[30:31], vcc
	s_cbranch_execz .LBB6_10215
; %bb.10210:                            ;   in Loop: Header=BB6_8948 Depth=3
	v_and_b32_e32 v4, 0x7c000000, v20
	v_bfe_u32 v5, v20, 24, 2
	v_cmp_ne_u32_e32 vcc, s8, v4
                                        ; implicit-def: $vgpr4
	s_and_saveexec_b64 s[34:35], vcc
	s_xor_b64 s[34:35], exec, s[34:35]
	s_cbranch_execz .LBB6_10212
; %bb.10211:                            ;   in Loop: Header=BB6_8948 Depth=3
	v_ffbh_u32_e32 v6, v5
	v_min_u32_e32 v6, 32, v6
	v_subrev_u32_e32 v32, 29, v6
	v_lshlrev_b64 v[36:37], v32, v[0:1]
	v_bfe_u32 v4, v20, 26, 5
	v_sub_u32_e32 v0, 30, v6
	v_and_b32_e32 v6, 3, v36
	v_cmp_eq_u32_e32 vcc, 0, v4
	v_cndmask_b32_e32 v0, v4, v0, vcc
	v_cndmask_b32_e32 v4, v5, v6, vcc
	v_and_b32_e32 v5, 0x80000000, v20
	v_lshl_add_u32 v0, v0, 23, v5
	v_lshl_or_b32 v0, v4, 21, v0
	v_add_u32_e32 v4, 0x38000000, v0
                                        ; implicit-def: $vgpr5
.LBB6_10212:                            ;   in Loop: Header=BB6_8948 Depth=3
	s_andn2_saveexec_b64 s[34:35], s[34:35]
; %bb.10213:                            ;   in Loop: Header=BB6_8948 Depth=3
	v_cmp_lt_i32_e32 vcc, -1, v20
	v_mov_b32_e32 v0, 0xff800000
	v_mov_b32_e32 v4, 0x7f800000
	v_cndmask_b32_e32 v0, v0, v4, vcc
	v_cmp_eq_u32_e32 vcc, 0, v5
	v_mov_b32_e32 v4, 0x7f800001
	v_cndmask_b32_e32 v4, v4, v0, vcc
; %bb.10214:                            ;   in Loop: Header=BB6_8948 Depth=3
	s_or_b64 exec, exec, s[34:35]
.LBB6_10215:                            ;   in Loop: Header=BB6_8948 Depth=3
	s_or_b64 exec, exec, s[30:31]
.LBB6_10216:                            ;   in Loop: Header=BB6_8948 Depth=3
	s_or_b64 exec, exec, s[28:29]
	v_cmp_lt_u32_e32 vcc, s57, v16
	s_and_saveexec_b64 s[28:29], vcc
	s_cbranch_execz .LBB6_10224
; %bb.10217:                            ;   in Loop: Header=BB6_8948 Depth=3
	v_lshrrev_b32_e32 v0, 24, v16
	v_cmp_ne_u32_e32 vcc, s44, v0
	v_bfrev_b32_e32 v3, 1
	s_and_saveexec_b64 s[30:31], vcc
	s_cbranch_execz .LBB6_10223
; %bb.10218:                            ;   in Loop: Header=BB6_8948 Depth=3
	v_and_b32_e32 v3, 0x7c000000, v16
	v_bfe_u32 v5, v16, 24, 2
	v_cmp_ne_u32_e32 vcc, s8, v3
                                        ; implicit-def: $vgpr3
	s_and_saveexec_b64 s[34:35], vcc
	s_xor_b64 s[34:35], exec, s[34:35]
	s_cbranch_execz .LBB6_10220
; %bb.10219:                            ;   in Loop: Header=BB6_8948 Depth=3
	v_ffbh_u32_e32 v6, v5
	v_min_u32_e32 v6, 32, v6
	v_subrev_u32_e32 v32, 29, v6
	v_lshlrev_b64 v[36:37], v32, v[0:1]
	v_bfe_u32 v3, v16, 26, 5
	v_sub_u32_e32 v0, 30, v6
	v_and_b32_e32 v6, 3, v36
	v_cmp_eq_u32_e32 vcc, 0, v3
	v_cndmask_b32_e32 v0, v3, v0, vcc
	v_cndmask_b32_e32 v3, v5, v6, vcc
	v_and_b32_e32 v5, 0x80000000, v16
	v_lshl_add_u32 v0, v0, 23, v5
	v_lshl_or_b32 v0, v3, 21, v0
	v_add_u32_e32 v3, 0x38000000, v0
                                        ; implicit-def: $vgpr5
.LBB6_10220:                            ;   in Loop: Header=BB6_8948 Depth=3
	s_andn2_saveexec_b64 s[34:35], s[34:35]
; %bb.10221:                            ;   in Loop: Header=BB6_8948 Depth=3
	v_cmp_lt_i32_e32 vcc, -1, v16
	v_mov_b32_e32 v0, 0xff800000
	v_mov_b32_e32 v3, 0x7f800000
	v_cndmask_b32_e32 v0, v0, v3, vcc
	v_cmp_eq_u32_e32 vcc, 0, v5
	v_mov_b32_e32 v3, 0x7f800001
	v_cndmask_b32_e32 v3, v3, v0, vcc
; %bb.10222:                            ;   in Loop: Header=BB6_8948 Depth=3
	s_or_b64 exec, exec, s[34:35]
.LBB6_10223:                            ;   in Loop: Header=BB6_8948 Depth=3
	s_or_b64 exec, exec, s[30:31]
.LBB6_10224:                            ;   in Loop: Header=BB6_8948 Depth=3
	s_or_b64 exec, exec, s[28:29]
	v_mul_f32_e32 v5, v4, v3
	v_and_b32_e32 v36, 0x7f800000, v5
	v_mov_b32_e32 v37, v34
	v_cmp_ne_u64_e32 vcc, s[76:77], v[36:37]
	v_and_b32_e32 v3, 0x7fffff, v5
	v_mov_b32_e32 v4, v34
                                        ; implicit-def: $vgpr40
	s_and_saveexec_b64 s[28:29], vcc
	s_xor_b64 s[30:31], exec, s[28:29]
	s_cbranch_execz .LBB6_10238
; %bb.10225:                            ;   in Loop: Header=BB6_8948 Depth=3
	v_and_b32_e32 v36, 0x7fffffff, v5
	v_mov_b32_e32 v37, v34
	v_cmp_gt_u64_e32 vcc, s[78:79], v[36:37]
	v_and_b32_sdwa v0, v5, s44 dst_sel:DWORD dst_unused:UNUSED_PAD src0_sel:BYTE_3 src1_sel:DWORD
                                        ; implicit-def: $vgpr40
	s_and_saveexec_b64 s[28:29], vcc
	s_xor_b64 s[34:35], exec, s[28:29]
	s_cbranch_execz .LBB6_10235
; %bb.10226:                            ;   in Loop: Header=BB6_8948 Depth=3
	v_mov_b32_e32 v40, 0
	v_cmp_ne_u32_e32 vcc, 0, v5
	s_and_saveexec_b64 s[36:37], vcc
	s_cbranch_execz .LBB6_10234
; %bb.10227:                            ;   in Loop: Header=BB6_8948 Depth=3
	v_bfe_u32 v6, v5, 23, 8
	v_cmp_gt_u32_e64 s[28:29], s45, v6
	v_sub_u32_e32 v5, 0x71, v6
	v_cmp_eq_u32_e32 vcc, 0, v6
	v_cndmask_b32_e64 v5, 0, v5, s[28:29]
	v_mov_b32_e32 v33, 0x70
	v_cndmask_b32_e32 v36, v5, v33, vcc
	v_add_u32_e32 v5, 21, v36
	v_or_b32_e32 v32, 0x800000, v3
	v_lshlrev_b64 v[37:38], v5, -1
	v_cndmask_b32_e32 v3, v32, v3, vcc
	v_add_u32_e32 v5, 20, v36
	v_bfi_b32 v37, v37, 0, v3
	v_lshlrev_b64 v[48:49], v5, 1
	v_lshrrev_b64 v[3:4], v36, v[3:4]
	v_bfi_b32 v38, v38, 0, 0
	v_cmp_eq_u64_e64 s[28:29], v[37:38], v[48:49]
	v_mov_b32_e32 v5, v4
	v_mov_b32_e32 v4, v3
	s_and_saveexec_b64 s[38:39], s[28:29]
; %bb.10228:                            ;   in Loop: Header=BB6_8948 Depth=3
	v_bfe_u32 v4, v3, 21, 1
	v_add_co_u32_e64 v4, s[28:29], v3, v4
	v_add_co_u32_e64 v4, s[28:29], -1, v4
; %bb.10229:                            ;   in Loop: Header=BB6_8948 Depth=3
	s_or_b64 exec, exec, s[38:39]
	v_add_u32_e32 v5, 0xffffff81, v6
	v_mov_b32_e32 v6, 0xffffff82
	v_cndmask_b32_e32 v5, v5, v6, vcc
	v_lshrrev_b32_e32 v6, 23, v3
	v_add3_u32 v36, v36, v5, v6
	v_add_u32_e32 v6, 14, v36
	v_and_b32_e32 v4, 0x1fffff, v4
	v_add_u32_e32 v3, v4, v3
	v_mov_b32_e32 v4, v34
	v_cmp_ne_u32_e32 vcc, 0, v6
                                        ; implicit-def: $vgpr5
	s_and_saveexec_b64 s[28:29], vcc
	s_xor_b64 s[28:29], exec, s[28:29]
; %bb.10230:                            ;   in Loop: Header=BB6_8948 Depth=3
	v_cmp_lt_u64_e32 vcc, s[88:89], v[3:4]
	v_add_u32_e32 v5, 15, v36
	v_cndmask_b32_e32 v5, v6, v5, vcc
	v_cndmask_b32_e64 v6, 0, 1, vcc
	v_lshrrev_b64 v[3:4], v6, v[3:4]
; %bb.10231:                            ;   in Loop: Header=BB6_8948 Depth=3
	s_andn2_saveexec_b64 s[28:29], s[28:29]
; %bb.10232:                            ;   in Loop: Header=BB6_8948 Depth=3
	v_bfe_u32 v5, v3, 23, 1
; %bb.10233:                            ;   in Loop: Header=BB6_8948 Depth=3
	s_or_b64 exec, exec, s[28:29]
	v_lshrrev_b64 v[3:4], 21, v[3:4]
	v_cmp_gt_i32_e32 vcc, 32, v5
	v_cndmask_b32_e32 v4, 0, v4, vcc
	v_cndmask_b32_e32 v3, 3, v3, vcc
	v_cmp_eq_u64_e64 s[28:29], 0, v[3:4]
	v_min_i32_e32 v4, 31, v5
	v_lshlrev_b32_e32 v4, 2, v4
	v_cmp_eq_u32_e32 vcc, 0, v5
	v_and_b32_e32 v4, 0xfc, v4
	v_and_or_b32 v3, v3, 3, v4
	s_and_b64 s[28:29], vcc, s[28:29]
	v_cndmask_b32_e64 v3, v3, 0, s[28:29]
	v_or_b32_e32 v40, v3, v0
.LBB6_10234:                            ;   in Loop: Header=BB6_8948 Depth=3
	s_or_b64 exec, exec, s[36:37]
                                        ; implicit-def: $vgpr0
.LBB6_10235:                            ;   in Loop: Header=BB6_8948 Depth=3
	s_andn2_saveexec_b64 s[28:29], s[34:35]
; %bb.10236:                            ;   in Loop: Header=BB6_8948 Depth=3
	v_or_b32_e32 v40, 0x7b, v0
; %bb.10237:                            ;   in Loop: Header=BB6_8948 Depth=3
	s_or_b64 exec, exec, s[28:29]
                                        ; implicit-def: $vgpr5
                                        ; implicit-def: $vgpr3_vgpr4
.LBB6_10238:                            ;   in Loop: Header=BB6_8948 Depth=3
	s_andn2_saveexec_b64 s[28:29], s[30:31]
	s_cbranch_execz .LBB6_10244
; %bb.10239:                            ;   in Loop: Header=BB6_8948 Depth=3
	v_cmp_ne_u64_e32 vcc, 0, v[3:4]
                                        ; implicit-def: $vgpr40
	s_and_saveexec_b64 s[30:31], vcc
	s_xor_b64 vcc, exec, s[30:31]
; %bb.10240:                            ;   in Loop: Header=BB6_8948 Depth=3
	v_or_b32_sdwa v40, v5, s83 dst_sel:DWORD dst_unused:UNUSED_PAD src0_sel:BYTE_3 src1_sel:DWORD
                                        ; implicit-def: $vgpr5
; %bb.10241:                            ;   in Loop: Header=BB6_8948 Depth=3
	s_andn2_saveexec_b64 s[30:31], vcc
; %bb.10242:                            ;   in Loop: Header=BB6_8948 Depth=3
	v_cmp_lt_i32_e32 vcc, -1, v5
	v_bfrev_b32_e32 v0, 0.5
	v_mov_b32_e32 v3, 0x7c
	v_cndmask_b32_e32 v40, v0, v3, vcc
; %bb.10243:                            ;   in Loop: Header=BB6_8948 Depth=3
	s_or_b64 exec, exec, s[30:31]
.LBB6_10244:                            ;   in Loop: Header=BB6_8948 Depth=3
	s_or_b64 exec, exec, s[28:29]
	v_mov_b32_e32 v3, v21
	v_mov_b32_e32 v4, v34
	v_cmp_ne_u16_sdwa vcc, v21, v34 src0_sel:BYTE_0 src1_sel:DWORD
	v_mov_b32_e32 v5, 0
	v_mov_b32_e32 v0, 0
	s_and_saveexec_b64 s[28:29], vcc
	s_cbranch_execz .LBB6_10252
; %bb.10245:                            ;   in Loop: Header=BB6_8948 Depth=3
	v_cmp_ne_u16_sdwa vcc, v21, s44 src0_sel:BYTE_0 src1_sel:DWORD
	v_bfrev_b32_e32 v0, 1
	s_and_saveexec_b64 s[30:31], vcc
	s_cbranch_execz .LBB6_10251
; %bb.10246:                            ;   in Loop: Header=BB6_8948 Depth=3
	v_and_b32_e32 v0, 0x7c, v21
	v_and_b32_e32 v6, 3, v21
	v_cmp_ne_u32_e32 vcc, s81, v0
                                        ; implicit-def: $vgpr0
	s_and_saveexec_b64 s[34:35], vcc
	s_xor_b64 s[34:35], exec, s[34:35]
	s_cbranch_execz .LBB6_10248
; %bb.10247:                            ;   in Loop: Header=BB6_8948 Depth=3
	v_ffbh_u32_e32 v32, v6
	v_min_u32_e32 v32, 32, v32
	v_subrev_u32_e32 v33, 29, v32
	v_lshlrev_b64 v[36:37], v33, v[3:4]
	v_bfe_u32 v0, v21, 2, 5
	v_sub_u32_e32 v4, 30, v32
	v_and_b32_e32 v32, 3, v36
	v_cmp_eq_u32_e32 vcc, 0, v0
	v_cndmask_b32_e32 v0, v0, v4, vcc
	v_cndmask_b32_e32 v4, v6, v32, vcc
	v_lshlrev_b32_e32 v6, 24, v21
	v_and_b32_e32 v6, 0x80000000, v6
	v_lshl_add_u32 v0, v0, 23, v6
	v_lshl_or_b32 v0, v4, 21, v0
	v_add_u32_e32 v0, 0x38000000, v0
                                        ; implicit-def: $vgpr6
.LBB6_10248:                            ;   in Loop: Header=BB6_8948 Depth=3
	s_andn2_saveexec_b64 s[34:35], s[34:35]
; %bb.10249:                            ;   in Loop: Header=BB6_8948 Depth=3
	v_mov_b32_e32 v0, -1
	v_cmp_gt_i16_sdwa vcc, sext(v21), v0 src0_sel:BYTE_0 src1_sel:DWORD
	v_mov_b32_e32 v0, 0xff800000
	v_mov_b32_e32 v4, 0x7f800000
	v_cndmask_b32_e32 v0, v0, v4, vcc
	v_cmp_eq_u32_e32 vcc, 0, v6
	v_mov_b32_e32 v4, 0x7f800001
	v_cndmask_b32_e32 v0, v4, v0, vcc
; %bb.10250:                            ;   in Loop: Header=BB6_8948 Depth=3
	s_or_b64 exec, exec, s[34:35]
.LBB6_10251:                            ;   in Loop: Header=BB6_8948 Depth=3
	s_or_b64 exec, exec, s[30:31]
.LBB6_10252:                            ;   in Loop: Header=BB6_8948 Depth=3
	s_or_b64 exec, exec, s[28:29]
	v_cmp_ne_u16_sdwa vcc, v17, v34 src0_sel:BYTE_0 src1_sel:DWORD
	s_and_saveexec_b64 s[28:29], vcc
	s_cbranch_execz .LBB6_10260
; %bb.10253:                            ;   in Loop: Header=BB6_8948 Depth=3
	v_cmp_ne_u16_sdwa vcc, v17, s44 src0_sel:BYTE_0 src1_sel:DWORD
	v_bfrev_b32_e32 v5, 1
	s_and_saveexec_b64 s[30:31], vcc
	s_cbranch_execz .LBB6_10259
; %bb.10254:                            ;   in Loop: Header=BB6_8948 Depth=3
	v_and_b32_e32 v5, 0x7c, v17
	v_and_b32_e32 v4, 3, v17
	v_cmp_ne_u32_e32 vcc, s81, v5
                                        ; implicit-def: $vgpr5
	s_and_saveexec_b64 s[34:35], vcc
	s_xor_b64 s[34:35], exec, s[34:35]
	s_cbranch_execz .LBB6_10256
; %bb.10255:                            ;   in Loop: Header=BB6_8948 Depth=3
	v_ffbh_u32_e32 v33, v4
	v_min_u32_e32 v33, 32, v33
	v_mov_b32_e32 v5, v17
	v_mov_b32_e32 v6, v34
	v_subrev_u32_e32 v36, 29, v33
	v_lshlrev_b64 v[5:6], v36, v[5:6]
	v_bfe_u32 v32, v17, 2, 5
	v_and_b32_e32 v5, 3, v5
	v_cmp_eq_u32_e32 vcc, 0, v32
	v_sub_u32_e32 v6, 30, v33
	v_cndmask_b32_e32 v4, v4, v5, vcc
	v_lshlrev_b32_e32 v5, 24, v17
	v_cndmask_b32_e32 v6, v32, v6, vcc
	v_and_b32_e32 v5, 0x80000000, v5
	v_lshl_add_u32 v5, v6, 23, v5
	v_lshl_or_b32 v4, v4, 21, v5
	v_add_u32_e32 v5, 0x38000000, v4
                                        ; implicit-def: $vgpr4
.LBB6_10256:                            ;   in Loop: Header=BB6_8948 Depth=3
	s_andn2_saveexec_b64 s[34:35], s[34:35]
; %bb.10257:                            ;   in Loop: Header=BB6_8948 Depth=3
	v_mov_b32_e32 v5, -1
	v_cmp_gt_i16_sdwa vcc, sext(v17), v5 src0_sel:BYTE_0 src1_sel:DWORD
	v_mov_b32_e32 v5, 0xff800000
	v_mov_b32_e32 v6, 0x7f800000
	v_cndmask_b32_e32 v5, v5, v6, vcc
	v_cmp_eq_u32_e32 vcc, 0, v4
	v_mov_b32_e32 v4, 0x7f800001
	v_cndmask_b32_e32 v5, v4, v5, vcc
; %bb.10258:                            ;   in Loop: Header=BB6_8948 Depth=3
	s_or_b64 exec, exec, s[34:35]
.LBB6_10259:                            ;   in Loop: Header=BB6_8948 Depth=3
	s_or_b64 exec, exec, s[30:31]
.LBB6_10260:                            ;   in Loop: Header=BB6_8948 Depth=3
	s_or_b64 exec, exec, s[28:29]
	v_mul_f32_e32 v6, v0, v5
	v_and_b32_e32 v36, 0x7f800000, v6
	v_mov_b32_e32 v37, v34
	v_cmp_ne_u64_e32 vcc, s[76:77], v[36:37]
	v_and_b32_e32 v4, 0x7fffff, v6
	v_mov_b32_e32 v5, v34
                                        ; implicit-def: $vgpr41
	s_and_saveexec_b64 s[28:29], vcc
	s_xor_b64 s[30:31], exec, s[28:29]
	s_cbranch_execz .LBB6_10274
; %bb.10261:                            ;   in Loop: Header=BB6_8948 Depth=3
	v_and_b32_e32 v36, 0x7fffffff, v6
	v_mov_b32_e32 v37, v34
	v_cmp_gt_u64_e32 vcc, s[78:79], v[36:37]
	v_and_b32_sdwa v0, v6, s44 dst_sel:DWORD dst_unused:UNUSED_PAD src0_sel:BYTE_3 src1_sel:DWORD
                                        ; implicit-def: $vgpr41
	s_and_saveexec_b64 s[28:29], vcc
	s_xor_b64 s[34:35], exec, s[28:29]
	s_cbranch_execz .LBB6_10271
; %bb.10262:                            ;   in Loop: Header=BB6_8948 Depth=3
	v_mov_b32_e32 v41, 0
	v_cmp_ne_u32_e32 vcc, 0, v6
	s_and_saveexec_b64 s[36:37], vcc
	s_cbranch_execz .LBB6_10270
; %bb.10263:                            ;   in Loop: Header=BB6_8948 Depth=3
	v_bfe_u32 v36, v6, 23, 8
	v_cmp_gt_u32_e64 s[28:29], s45, v36
	v_sub_u32_e32 v6, 0x71, v36
	v_cmp_eq_u32_e32 vcc, 0, v36
	v_cndmask_b32_e64 v6, 0, v6, s[28:29]
	v_mov_b32_e32 v33, 0x70
	v_cndmask_b32_e32 v37, v6, v33, vcc
	v_add_u32_e32 v6, 21, v37
	v_or_b32_e32 v32, 0x800000, v4
	v_lshlrev_b64 v[38:39], v6, -1
	v_cndmask_b32_e32 v4, v32, v4, vcc
	v_add_u32_e32 v6, 20, v37
	v_bfi_b32 v38, v38, 0, v4
	v_lshlrev_b64 v[48:49], v6, 1
	v_lshrrev_b64 v[4:5], v37, v[4:5]
	v_bfi_b32 v39, v39, 0, 0
	v_cmp_eq_u64_e64 s[28:29], v[38:39], v[48:49]
	v_mov_b32_e32 v6, v5
	v_mov_b32_e32 v5, v4
	s_and_saveexec_b64 s[38:39], s[28:29]
; %bb.10264:                            ;   in Loop: Header=BB6_8948 Depth=3
	v_bfe_u32 v5, v4, 21, 1
	v_add_co_u32_e64 v5, s[28:29], v4, v5
	v_add_co_u32_e64 v5, s[28:29], -1, v5
; %bb.10265:                            ;   in Loop: Header=BB6_8948 Depth=3
	s_or_b64 exec, exec, s[38:39]
	v_add_u32_e32 v6, 0xffffff81, v36
	v_mov_b32_e32 v32, 0xffffff82
	v_cndmask_b32_e32 v6, v6, v32, vcc
	v_lshrrev_b32_e32 v32, 23, v4
	v_add3_u32 v37, v37, v6, v32
	v_add_u32_e32 v36, 14, v37
	v_and_b32_e32 v5, 0x1fffff, v5
	v_add_u32_e32 v4, v5, v4
	v_mov_b32_e32 v5, v34
	v_cmp_ne_u32_e32 vcc, 0, v36
                                        ; implicit-def: $vgpr6
	s_and_saveexec_b64 s[28:29], vcc
	s_xor_b64 s[28:29], exec, s[28:29]
; %bb.10266:                            ;   in Loop: Header=BB6_8948 Depth=3
	v_cmp_lt_u64_e32 vcc, s[88:89], v[4:5]
	v_add_u32_e32 v6, 15, v37
	v_cndmask_b32_e64 v32, 0, 1, vcc
	v_lshrrev_b64 v[4:5], v32, v[4:5]
	v_cndmask_b32_e32 v6, v36, v6, vcc
; %bb.10267:                            ;   in Loop: Header=BB6_8948 Depth=3
	s_andn2_saveexec_b64 s[28:29], s[28:29]
; %bb.10268:                            ;   in Loop: Header=BB6_8948 Depth=3
	v_bfe_u32 v6, v4, 23, 1
; %bb.10269:                            ;   in Loop: Header=BB6_8948 Depth=3
	s_or_b64 exec, exec, s[28:29]
	v_lshrrev_b64 v[4:5], 21, v[4:5]
	v_cmp_gt_i32_e32 vcc, 32, v6
	v_cndmask_b32_e32 v5, 0, v5, vcc
	v_cndmask_b32_e32 v4, 3, v4, vcc
	v_cmp_eq_u64_e64 s[28:29], 0, v[4:5]
	v_min_i32_e32 v5, 31, v6
	v_lshlrev_b32_e32 v5, 2, v5
	v_cmp_eq_u32_e32 vcc, 0, v6
	v_and_b32_e32 v5, 0xfc, v5
	v_and_or_b32 v4, v4, 3, v5
	s_and_b64 s[28:29], vcc, s[28:29]
	v_cndmask_b32_e64 v4, v4, 0, s[28:29]
	v_or_b32_e32 v41, v4, v0
.LBB6_10270:                            ;   in Loop: Header=BB6_8948 Depth=3
	s_or_b64 exec, exec, s[36:37]
                                        ; implicit-def: $vgpr0
.LBB6_10271:                            ;   in Loop: Header=BB6_8948 Depth=3
	s_andn2_saveexec_b64 s[28:29], s[34:35]
; %bb.10272:                            ;   in Loop: Header=BB6_8948 Depth=3
	v_or_b32_e32 v41, 0x7b, v0
; %bb.10273:                            ;   in Loop: Header=BB6_8948 Depth=3
	s_or_b64 exec, exec, s[28:29]
                                        ; implicit-def: $vgpr6
                                        ; implicit-def: $vgpr4_vgpr5
.LBB6_10274:                            ;   in Loop: Header=BB6_8948 Depth=3
	s_andn2_saveexec_b64 s[28:29], s[30:31]
	s_cbranch_execz .LBB6_10280
; %bb.10275:                            ;   in Loop: Header=BB6_8948 Depth=3
	v_cmp_ne_u64_e32 vcc, 0, v[4:5]
                                        ; implicit-def: $vgpr41
	s_and_saveexec_b64 s[30:31], vcc
	s_xor_b64 vcc, exec, s[30:31]
; %bb.10276:                            ;   in Loop: Header=BB6_8948 Depth=3
	v_or_b32_sdwa v41, v6, s83 dst_sel:DWORD dst_unused:UNUSED_PAD src0_sel:BYTE_3 src1_sel:DWORD
                                        ; implicit-def: $vgpr6
; %bb.10277:                            ;   in Loop: Header=BB6_8948 Depth=3
	s_andn2_saveexec_b64 s[30:31], vcc
; %bb.10278:                            ;   in Loop: Header=BB6_8948 Depth=3
	v_cmp_lt_i32_e32 vcc, -1, v6
	v_bfrev_b32_e32 v0, 0.5
	v_mov_b32_e32 v4, 0x7c
	v_cndmask_b32_e32 v41, v0, v4, vcc
; %bb.10279:                            ;   in Loop: Header=BB6_8948 Depth=3
	s_or_b64 exec, exec, s[30:31]
.LBB6_10280:                            ;   in Loop: Header=BB6_8948 Depth=3
	s_or_b64 exec, exec, s[28:29]
	v_lshrrev_b16_e32 v4, 8, v3
	v_cmp_ne_u16_e32 vcc, 0, v4
	v_mov_b32_e32 v0, 0
	v_mov_b32_e32 v5, 0
	s_and_saveexec_b64 s[28:29], vcc
	s_cbranch_execz .LBB6_10288
; %bb.10281:                            ;   in Loop: Header=BB6_8948 Depth=3
	v_cmp_ne_u16_e32 vcc, s44, v4
	v_bfrev_b32_e32 v5, 1
	s_and_saveexec_b64 s[30:31], vcc
	s_cbranch_execz .LBB6_10287
; %bb.10282:                            ;   in Loop: Header=BB6_8948 Depth=3
	v_and_b32_e32 v5, 0x7c, v4
	v_and_b32_e32 v6, 3, v4
	v_cmp_ne_u32_e32 vcc, s81, v5
                                        ; implicit-def: $vgpr5
	s_and_saveexec_b64 s[34:35], vcc
	s_xor_b64 s[34:35], exec, s[34:35]
	s_cbranch_execz .LBB6_10284
; %bb.10283:                            ;   in Loop: Header=BB6_8948 Depth=3
	v_ffbh_u32_e32 v33, v6
	v_min_u32_e32 v33, 32, v33
	v_mov_b32_e32 v5, v34
	v_subrev_u32_e32 v36, 29, v33
	v_bfe_u32 v32, v4, 2, 5
	v_lshlrev_b64 v[4:5], v36, v[4:5]
	v_sub_u32_e32 v5, 30, v33
	v_cmp_eq_u32_e32 vcc, 0, v32
	v_lshlrev_b32_e32 v3, 16, v3
	v_and_b32_e32 v4, 3, v4
	v_cndmask_b32_e32 v5, v32, v5, vcc
	v_and_b32_e32 v3, 0x80000000, v3
	v_cndmask_b32_e32 v4, v6, v4, vcc
	v_lshl_add_u32 v3, v5, 23, v3
	v_lshl_or_b32 v3, v4, 21, v3
	v_add_u32_e32 v5, 0x38000000, v3
                                        ; implicit-def: $vgpr6
                                        ; implicit-def: $vgpr3_vgpr4
.LBB6_10284:                            ;   in Loop: Header=BB6_8948 Depth=3
	s_andn2_saveexec_b64 s[34:35], s[34:35]
; %bb.10285:                            ;   in Loop: Header=BB6_8948 Depth=3
	v_cmp_lt_i16_e32 vcc, -1, v3
	v_mov_b32_e32 v3, 0xff800000
	v_mov_b32_e32 v4, 0x7f800000
	v_cndmask_b32_e32 v3, v3, v4, vcc
	v_cmp_eq_u32_e32 vcc, 0, v6
	v_mov_b32_e32 v4, 0x7f800001
	v_cndmask_b32_e32 v5, v4, v3, vcc
; %bb.10286:                            ;   in Loop: Header=BB6_8948 Depth=3
	s_or_b64 exec, exec, s[34:35]
.LBB6_10287:                            ;   in Loop: Header=BB6_8948 Depth=3
	s_or_b64 exec, exec, s[30:31]
.LBB6_10288:                            ;   in Loop: Header=BB6_8948 Depth=3
	s_or_b64 exec, exec, s[28:29]
	v_lshrrev_b16_e32 v3, 8, v17
	v_cmp_ne_u16_e32 vcc, 0, v3
	s_and_saveexec_b64 s[28:29], vcc
	s_cbranch_execz .LBB6_10296
; %bb.10289:                            ;   in Loop: Header=BB6_8948 Depth=3
	v_cmp_ne_u16_e32 vcc, s44, v3
	v_bfrev_b32_e32 v0, 1
	s_and_saveexec_b64 s[30:31], vcc
	s_cbranch_execz .LBB6_10295
; %bb.10290:                            ;   in Loop: Header=BB6_8948 Depth=3
	v_and_b32_e32 v0, 0x7c, v3
	v_and_b32_e32 v6, 3, v3
	v_cmp_ne_u32_e32 vcc, s81, v0
                                        ; implicit-def: $vgpr0
	s_and_saveexec_b64 s[34:35], vcc
	s_xor_b64 s[34:35], exec, s[34:35]
	s_cbranch_execz .LBB6_10292
; %bb.10291:                            ;   in Loop: Header=BB6_8948 Depth=3
	v_ffbh_u32_e32 v32, v6
	v_min_u32_e32 v32, 32, v32
	v_mov_b32_e32 v4, v34
	v_subrev_u32_e32 v33, 29, v32
	v_bfe_u32 v0, v3, 2, 5
	v_lshlrev_b64 v[3:4], v33, v[3:4]
	v_sub_u32_e32 v4, 30, v32
	v_cmp_eq_u32_e32 vcc, 0, v0
	v_cndmask_b32_e32 v0, v0, v4, vcc
	v_lshlrev_b32_e32 v4, 16, v17
	v_and_b32_e32 v3, 3, v3
	v_and_b32_e32 v4, 0x80000000, v4
	v_cndmask_b32_e32 v3, v6, v3, vcc
	v_lshl_add_u32 v0, v0, 23, v4
	v_lshl_or_b32 v0, v3, 21, v0
	v_add_u32_e32 v0, 0x38000000, v0
                                        ; implicit-def: $vgpr6
.LBB6_10292:                            ;   in Loop: Header=BB6_8948 Depth=3
	s_andn2_saveexec_b64 s[34:35], s[34:35]
; %bb.10293:                            ;   in Loop: Header=BB6_8948 Depth=3
	v_cmp_lt_i16_e32 vcc, -1, v17
	v_mov_b32_e32 v0, 0xff800000
	v_mov_b32_e32 v3, 0x7f800000
	v_cndmask_b32_e32 v0, v0, v3, vcc
	v_cmp_eq_u32_e32 vcc, 0, v6
	v_mov_b32_e32 v3, 0x7f800001
	v_cndmask_b32_e32 v0, v3, v0, vcc
; %bb.10294:                            ;   in Loop: Header=BB6_8948 Depth=3
	s_or_b64 exec, exec, s[34:35]
.LBB6_10295:                            ;   in Loop: Header=BB6_8948 Depth=3
	s_or_b64 exec, exec, s[30:31]
.LBB6_10296:                            ;   in Loop: Header=BB6_8948 Depth=3
	s_or_b64 exec, exec, s[28:29]
	v_mul_f32_e32 v5, v5, v0
	v_and_b32_e32 v36, 0x7f800000, v5
	v_mov_b32_e32 v37, v34
	v_cmp_ne_u64_e32 vcc, s[76:77], v[36:37]
	v_and_b32_e32 v3, 0x7fffff, v5
	v_mov_b32_e32 v4, v34
                                        ; implicit-def: $vgpr42
	s_and_saveexec_b64 s[28:29], vcc
	s_xor_b64 s[30:31], exec, s[28:29]
	s_cbranch_execz .LBB6_10310
; %bb.10297:                            ;   in Loop: Header=BB6_8948 Depth=3
	v_and_b32_e32 v36, 0x7fffffff, v5
	v_mov_b32_e32 v37, v34
	v_cmp_gt_u64_e32 vcc, s[78:79], v[36:37]
	v_and_b32_sdwa v0, v5, s44 dst_sel:DWORD dst_unused:UNUSED_PAD src0_sel:BYTE_3 src1_sel:DWORD
                                        ; implicit-def: $vgpr42
	s_and_saveexec_b64 s[28:29], vcc
	s_xor_b64 s[34:35], exec, s[28:29]
	s_cbranch_execz .LBB6_10307
; %bb.10298:                            ;   in Loop: Header=BB6_8948 Depth=3
	v_mov_b32_e32 v42, 0
	v_cmp_ne_u32_e32 vcc, 0, v5
	s_and_saveexec_b64 s[36:37], vcc
	s_cbranch_execz .LBB6_10306
; %bb.10299:                            ;   in Loop: Header=BB6_8948 Depth=3
	v_bfe_u32 v6, v5, 23, 8
	v_cmp_gt_u32_e64 s[28:29], s45, v6
	v_sub_u32_e32 v5, 0x71, v6
	v_cmp_eq_u32_e32 vcc, 0, v6
	v_cndmask_b32_e64 v5, 0, v5, s[28:29]
	v_mov_b32_e32 v33, 0x70
	v_cndmask_b32_e32 v36, v5, v33, vcc
	v_add_u32_e32 v5, 21, v36
	v_or_b32_e32 v32, 0x800000, v3
	v_lshlrev_b64 v[37:38], v5, -1
	v_cndmask_b32_e32 v3, v32, v3, vcc
	v_add_u32_e32 v5, 20, v36
	v_bfi_b32 v37, v37, 0, v3
	v_lshlrev_b64 v[48:49], v5, 1
	v_lshrrev_b64 v[3:4], v36, v[3:4]
	v_bfi_b32 v38, v38, 0, 0
	v_cmp_eq_u64_e64 s[28:29], v[37:38], v[48:49]
	v_mov_b32_e32 v5, v4
	v_mov_b32_e32 v4, v3
	s_and_saveexec_b64 s[38:39], s[28:29]
; %bb.10300:                            ;   in Loop: Header=BB6_8948 Depth=3
	v_bfe_u32 v4, v3, 21, 1
	v_add_co_u32_e64 v4, s[28:29], v3, v4
	v_add_co_u32_e64 v4, s[28:29], -1, v4
; %bb.10301:                            ;   in Loop: Header=BB6_8948 Depth=3
	s_or_b64 exec, exec, s[38:39]
	v_add_u32_e32 v5, 0xffffff81, v6
	v_mov_b32_e32 v6, 0xffffff82
	v_cndmask_b32_e32 v5, v5, v6, vcc
	v_lshrrev_b32_e32 v6, 23, v3
	v_add3_u32 v36, v36, v5, v6
	v_add_u32_e32 v6, 14, v36
	v_and_b32_e32 v4, 0x1fffff, v4
	v_add_u32_e32 v3, v4, v3
	v_mov_b32_e32 v4, v34
	v_cmp_ne_u32_e32 vcc, 0, v6
                                        ; implicit-def: $vgpr5
	s_and_saveexec_b64 s[28:29], vcc
	s_xor_b64 s[28:29], exec, s[28:29]
; %bb.10302:                            ;   in Loop: Header=BB6_8948 Depth=3
	v_cmp_lt_u64_e32 vcc, s[88:89], v[3:4]
	v_add_u32_e32 v5, 15, v36
	v_cndmask_b32_e32 v5, v6, v5, vcc
	v_cndmask_b32_e64 v6, 0, 1, vcc
	v_lshrrev_b64 v[3:4], v6, v[3:4]
; %bb.10303:                            ;   in Loop: Header=BB6_8948 Depth=3
	s_andn2_saveexec_b64 s[28:29], s[28:29]
; %bb.10304:                            ;   in Loop: Header=BB6_8948 Depth=3
	v_bfe_u32 v5, v3, 23, 1
; %bb.10305:                            ;   in Loop: Header=BB6_8948 Depth=3
	s_or_b64 exec, exec, s[28:29]
	v_lshrrev_b64 v[3:4], 21, v[3:4]
	v_cmp_gt_i32_e32 vcc, 32, v5
	v_cndmask_b32_e32 v4, 0, v4, vcc
	v_cndmask_b32_e32 v3, 3, v3, vcc
	v_cmp_eq_u64_e64 s[28:29], 0, v[3:4]
	v_min_i32_e32 v4, 31, v5
	v_lshlrev_b32_e32 v4, 2, v4
	v_cmp_eq_u32_e32 vcc, 0, v5
	v_and_b32_e32 v4, 0xfc, v4
	v_and_or_b32 v3, v3, 3, v4
	s_and_b64 s[28:29], vcc, s[28:29]
	v_cndmask_b32_e64 v3, v3, 0, s[28:29]
	v_or_b32_e32 v42, v3, v0
.LBB6_10306:                            ;   in Loop: Header=BB6_8948 Depth=3
	s_or_b64 exec, exec, s[36:37]
                                        ; implicit-def: $vgpr0
.LBB6_10307:                            ;   in Loop: Header=BB6_8948 Depth=3
	s_andn2_saveexec_b64 s[28:29], s[34:35]
; %bb.10308:                            ;   in Loop: Header=BB6_8948 Depth=3
	v_or_b32_e32 v42, 0x7b, v0
; %bb.10309:                            ;   in Loop: Header=BB6_8948 Depth=3
	s_or_b64 exec, exec, s[28:29]
                                        ; implicit-def: $vgpr5
                                        ; implicit-def: $vgpr3_vgpr4
.LBB6_10310:                            ;   in Loop: Header=BB6_8948 Depth=3
	s_andn2_saveexec_b64 s[28:29], s[30:31]
	s_cbranch_execz .LBB6_10316
; %bb.10311:                            ;   in Loop: Header=BB6_8948 Depth=3
	v_cmp_ne_u64_e32 vcc, 0, v[3:4]
                                        ; implicit-def: $vgpr42
	s_and_saveexec_b64 s[30:31], vcc
	s_xor_b64 vcc, exec, s[30:31]
; %bb.10312:                            ;   in Loop: Header=BB6_8948 Depth=3
	v_or_b32_sdwa v42, v5, s83 dst_sel:DWORD dst_unused:UNUSED_PAD src0_sel:BYTE_3 src1_sel:DWORD
                                        ; implicit-def: $vgpr5
; %bb.10313:                            ;   in Loop: Header=BB6_8948 Depth=3
	s_andn2_saveexec_b64 s[30:31], vcc
; %bb.10314:                            ;   in Loop: Header=BB6_8948 Depth=3
	v_cmp_lt_i32_e32 vcc, -1, v5
	v_bfrev_b32_e32 v0, 0.5
	v_mov_b32_e32 v3, 0x7c
	v_cndmask_b32_e32 v42, v0, v3, vcc
; %bb.10315:                            ;   in Loop: Header=BB6_8948 Depth=3
	s_or_b64 exec, exec, s[30:31]
.LBB6_10316:                            ;   in Loop: Header=BB6_8948 Depth=3
	s_or_b64 exec, exec, s[28:29]
	v_lshrrev_b32_e32 v0, 16, v21
	v_cmp_ne_u16_sdwa vcc, v0, v34 src0_sel:BYTE_0 src1_sel:DWORD
	v_mov_b32_e32 v3, 0
	v_mov_b32_e32 v4, 0
	s_and_saveexec_b64 s[28:29], vcc
	s_cbranch_execz .LBB6_10324
; %bb.10317:                            ;   in Loop: Header=BB6_8948 Depth=3
	v_cmp_ne_u16_sdwa vcc, v0, s44 src0_sel:BYTE_0 src1_sel:DWORD
	v_bfrev_b32_e32 v4, 1
	s_and_saveexec_b64 s[30:31], vcc
	s_cbranch_execz .LBB6_10323
; %bb.10318:                            ;   in Loop: Header=BB6_8948 Depth=3
	v_and_b32_e32 v4, 0x7c0000, v21
	v_bfe_u32 v5, v21, 16, 2
	v_cmp_ne_u32_e32 vcc, s9, v4
                                        ; implicit-def: $vgpr4
	s_and_saveexec_b64 s[34:35], vcc
	s_xor_b64 s[34:35], exec, s[34:35]
	s_cbranch_execz .LBB6_10320
; %bb.10319:                            ;   in Loop: Header=BB6_8948 Depth=3
	v_ffbh_u32_e32 v6, v5
	v_min_u32_e32 v6, 32, v6
	v_subrev_u32_e32 v32, 29, v6
	v_lshlrev_b64 v[36:37], v32, v[0:1]
	v_bfe_u32 v4, v21, 18, 5
	v_sub_u32_e32 v0, 30, v6
	v_and_b32_e32 v6, 3, v36
	v_cmp_eq_u32_e32 vcc, 0, v4
	v_cndmask_b32_e32 v0, v4, v0, vcc
	v_cndmask_b32_e32 v4, v5, v6, vcc
	v_lshlrev_b32_e32 v5, 8, v21
	v_and_b32_e32 v5, 0x80000000, v5
	v_lshl_add_u32 v0, v0, 23, v5
	v_lshl_or_b32 v0, v4, 21, v0
	v_add_u32_e32 v4, 0x38000000, v0
                                        ; implicit-def: $vgpr5
                                        ; implicit-def: $vgpr0
.LBB6_10320:                            ;   in Loop: Header=BB6_8948 Depth=3
	s_andn2_saveexec_b64 s[34:35], s[34:35]
; %bb.10321:                            ;   in Loop: Header=BB6_8948 Depth=3
	v_mov_b32_e32 v4, -1
	v_cmp_gt_i16_sdwa vcc, sext(v0), v4 src0_sel:BYTE_0 src1_sel:DWORD
	v_mov_b32_e32 v0, 0xff800000
	v_mov_b32_e32 v4, 0x7f800000
	v_cndmask_b32_e32 v0, v0, v4, vcc
	v_cmp_eq_u32_e32 vcc, 0, v5
	v_mov_b32_e32 v4, 0x7f800001
	v_cndmask_b32_e32 v4, v4, v0, vcc
; %bb.10322:                            ;   in Loop: Header=BB6_8948 Depth=3
	s_or_b64 exec, exec, s[34:35]
.LBB6_10323:                            ;   in Loop: Header=BB6_8948 Depth=3
	s_or_b64 exec, exec, s[30:31]
.LBB6_10324:                            ;   in Loop: Header=BB6_8948 Depth=3
	s_or_b64 exec, exec, s[28:29]
	v_lshrrev_b32_e32 v0, 16, v17
	v_cmp_ne_u16_sdwa vcc, v0, v34 src0_sel:BYTE_0 src1_sel:DWORD
	s_and_saveexec_b64 s[28:29], vcc
	s_cbranch_execz .LBB6_10332
; %bb.10325:                            ;   in Loop: Header=BB6_8948 Depth=3
	v_cmp_ne_u16_sdwa vcc, v0, s44 src0_sel:BYTE_0 src1_sel:DWORD
	v_bfrev_b32_e32 v3, 1
	s_and_saveexec_b64 s[30:31], vcc
	s_cbranch_execz .LBB6_10331
; %bb.10326:                            ;   in Loop: Header=BB6_8948 Depth=3
	v_and_b32_e32 v3, 0x7c0000, v17
	v_bfe_u32 v5, v17, 16, 2
	v_cmp_ne_u32_e32 vcc, s9, v3
                                        ; implicit-def: $vgpr3
	s_and_saveexec_b64 s[34:35], vcc
	s_xor_b64 s[34:35], exec, s[34:35]
	s_cbranch_execz .LBB6_10328
; %bb.10327:                            ;   in Loop: Header=BB6_8948 Depth=3
	v_ffbh_u32_e32 v6, v5
	v_min_u32_e32 v6, 32, v6
	v_subrev_u32_e32 v32, 29, v6
	v_lshlrev_b64 v[36:37], v32, v[0:1]
	v_bfe_u32 v3, v17, 18, 5
	v_sub_u32_e32 v0, 30, v6
	v_and_b32_e32 v6, 3, v36
	v_cmp_eq_u32_e32 vcc, 0, v3
	v_cndmask_b32_e32 v0, v3, v0, vcc
	v_cndmask_b32_e32 v3, v5, v6, vcc
	v_lshlrev_b32_e32 v5, 8, v17
	v_and_b32_e32 v5, 0x80000000, v5
	v_lshl_add_u32 v0, v0, 23, v5
	v_lshl_or_b32 v0, v3, 21, v0
	v_add_u32_e32 v3, 0x38000000, v0
                                        ; implicit-def: $vgpr5
                                        ; implicit-def: $vgpr0
.LBB6_10328:                            ;   in Loop: Header=BB6_8948 Depth=3
	s_andn2_saveexec_b64 s[34:35], s[34:35]
; %bb.10329:                            ;   in Loop: Header=BB6_8948 Depth=3
	v_mov_b32_e32 v3, -1
	v_cmp_gt_i16_sdwa vcc, sext(v0), v3 src0_sel:BYTE_0 src1_sel:DWORD
	v_mov_b32_e32 v0, 0xff800000
	v_mov_b32_e32 v3, 0x7f800000
	v_cndmask_b32_e32 v0, v0, v3, vcc
	v_cmp_eq_u32_e32 vcc, 0, v5
	v_mov_b32_e32 v3, 0x7f800001
	v_cndmask_b32_e32 v3, v3, v0, vcc
; %bb.10330:                            ;   in Loop: Header=BB6_8948 Depth=3
	s_or_b64 exec, exec, s[34:35]
.LBB6_10331:                            ;   in Loop: Header=BB6_8948 Depth=3
	s_or_b64 exec, exec, s[30:31]
.LBB6_10332:                            ;   in Loop: Header=BB6_8948 Depth=3
	s_or_b64 exec, exec, s[28:29]
	v_mul_f32_e32 v5, v4, v3
	v_and_b32_e32 v36, 0x7f800000, v5
	v_mov_b32_e32 v37, v34
	v_cmp_ne_u64_e32 vcc, s[76:77], v[36:37]
	v_and_b32_e32 v3, 0x7fffff, v5
	v_mov_b32_e32 v4, v34
                                        ; implicit-def: $vgpr43
	s_and_saveexec_b64 s[28:29], vcc
	s_xor_b64 s[30:31], exec, s[28:29]
	s_cbranch_execz .LBB6_10346
; %bb.10333:                            ;   in Loop: Header=BB6_8948 Depth=3
	v_and_b32_e32 v36, 0x7fffffff, v5
	v_mov_b32_e32 v37, v34
	v_cmp_gt_u64_e32 vcc, s[78:79], v[36:37]
	v_and_b32_sdwa v0, v5, s44 dst_sel:DWORD dst_unused:UNUSED_PAD src0_sel:BYTE_3 src1_sel:DWORD
                                        ; implicit-def: $vgpr43
	s_and_saveexec_b64 s[28:29], vcc
	s_xor_b64 s[34:35], exec, s[28:29]
	s_cbranch_execz .LBB6_10343
; %bb.10334:                            ;   in Loop: Header=BB6_8948 Depth=3
	v_mov_b32_e32 v43, 0
	v_cmp_ne_u32_e32 vcc, 0, v5
	s_and_saveexec_b64 s[36:37], vcc
	s_cbranch_execz .LBB6_10342
; %bb.10335:                            ;   in Loop: Header=BB6_8948 Depth=3
	v_bfe_u32 v6, v5, 23, 8
	v_cmp_gt_u32_e64 s[28:29], s45, v6
	v_sub_u32_e32 v5, 0x71, v6
	v_cmp_eq_u32_e32 vcc, 0, v6
	v_cndmask_b32_e64 v5, 0, v5, s[28:29]
	v_mov_b32_e32 v33, 0x70
	v_cndmask_b32_e32 v36, v5, v33, vcc
	v_add_u32_e32 v5, 21, v36
	v_or_b32_e32 v32, 0x800000, v3
	v_lshlrev_b64 v[37:38], v5, -1
	v_cndmask_b32_e32 v3, v32, v3, vcc
	v_add_u32_e32 v5, 20, v36
	v_bfi_b32 v37, v37, 0, v3
	v_lshlrev_b64 v[48:49], v5, 1
	v_lshrrev_b64 v[3:4], v36, v[3:4]
	v_bfi_b32 v38, v38, 0, 0
	v_cmp_eq_u64_e64 s[28:29], v[37:38], v[48:49]
	v_mov_b32_e32 v5, v4
	v_mov_b32_e32 v4, v3
	s_and_saveexec_b64 s[38:39], s[28:29]
; %bb.10336:                            ;   in Loop: Header=BB6_8948 Depth=3
	v_bfe_u32 v4, v3, 21, 1
	v_add_co_u32_e64 v4, s[28:29], v3, v4
	v_add_co_u32_e64 v4, s[28:29], -1, v4
; %bb.10337:                            ;   in Loop: Header=BB6_8948 Depth=3
	s_or_b64 exec, exec, s[38:39]
	v_add_u32_e32 v5, 0xffffff81, v6
	v_mov_b32_e32 v6, 0xffffff82
	v_cndmask_b32_e32 v5, v5, v6, vcc
	v_lshrrev_b32_e32 v6, 23, v3
	v_add3_u32 v36, v36, v5, v6
	v_add_u32_e32 v6, 14, v36
	v_and_b32_e32 v4, 0x1fffff, v4
	v_add_u32_e32 v3, v4, v3
	v_mov_b32_e32 v4, v34
	v_cmp_ne_u32_e32 vcc, 0, v6
                                        ; implicit-def: $vgpr5
	s_and_saveexec_b64 s[28:29], vcc
	s_xor_b64 s[28:29], exec, s[28:29]
; %bb.10338:                            ;   in Loop: Header=BB6_8948 Depth=3
	v_cmp_lt_u64_e32 vcc, s[88:89], v[3:4]
	v_add_u32_e32 v5, 15, v36
	v_cndmask_b32_e32 v5, v6, v5, vcc
	v_cndmask_b32_e64 v6, 0, 1, vcc
	v_lshrrev_b64 v[3:4], v6, v[3:4]
; %bb.10339:                            ;   in Loop: Header=BB6_8948 Depth=3
	s_andn2_saveexec_b64 s[28:29], s[28:29]
; %bb.10340:                            ;   in Loop: Header=BB6_8948 Depth=3
	v_bfe_u32 v5, v3, 23, 1
; %bb.10341:                            ;   in Loop: Header=BB6_8948 Depth=3
	s_or_b64 exec, exec, s[28:29]
	v_lshrrev_b64 v[3:4], 21, v[3:4]
	v_cmp_gt_i32_e32 vcc, 32, v5
	v_cndmask_b32_e32 v4, 0, v4, vcc
	v_cndmask_b32_e32 v3, 3, v3, vcc
	v_cmp_eq_u64_e64 s[28:29], 0, v[3:4]
	v_min_i32_e32 v4, 31, v5
	v_lshlrev_b32_e32 v4, 2, v4
	v_cmp_eq_u32_e32 vcc, 0, v5
	v_and_b32_e32 v4, 0xfc, v4
	v_and_or_b32 v3, v3, 3, v4
	s_and_b64 s[28:29], vcc, s[28:29]
	v_cndmask_b32_e64 v3, v3, 0, s[28:29]
	v_or_b32_e32 v43, v3, v0
.LBB6_10342:                            ;   in Loop: Header=BB6_8948 Depth=3
	s_or_b64 exec, exec, s[36:37]
                                        ; implicit-def: $vgpr0
.LBB6_10343:                            ;   in Loop: Header=BB6_8948 Depth=3
	s_andn2_saveexec_b64 s[28:29], s[34:35]
; %bb.10344:                            ;   in Loop: Header=BB6_8948 Depth=3
	v_or_b32_e32 v43, 0x7b, v0
; %bb.10345:                            ;   in Loop: Header=BB6_8948 Depth=3
	s_or_b64 exec, exec, s[28:29]
                                        ; implicit-def: $vgpr5
                                        ; implicit-def: $vgpr3_vgpr4
.LBB6_10346:                            ;   in Loop: Header=BB6_8948 Depth=3
	s_andn2_saveexec_b64 s[28:29], s[30:31]
	s_cbranch_execz .LBB6_10352
; %bb.10347:                            ;   in Loop: Header=BB6_8948 Depth=3
	v_cmp_ne_u64_e32 vcc, 0, v[3:4]
                                        ; implicit-def: $vgpr43
	s_and_saveexec_b64 s[30:31], vcc
	s_xor_b64 vcc, exec, s[30:31]
; %bb.10348:                            ;   in Loop: Header=BB6_8948 Depth=3
	v_or_b32_sdwa v43, v5, s83 dst_sel:DWORD dst_unused:UNUSED_PAD src0_sel:BYTE_3 src1_sel:DWORD
                                        ; implicit-def: $vgpr5
; %bb.10349:                            ;   in Loop: Header=BB6_8948 Depth=3
	s_andn2_saveexec_b64 s[30:31], vcc
; %bb.10350:                            ;   in Loop: Header=BB6_8948 Depth=3
	v_cmp_lt_i32_e32 vcc, -1, v5
	v_bfrev_b32_e32 v0, 0.5
	v_mov_b32_e32 v3, 0x7c
	v_cndmask_b32_e32 v43, v0, v3, vcc
; %bb.10351:                            ;   in Loop: Header=BB6_8948 Depth=3
	s_or_b64 exec, exec, s[30:31]
.LBB6_10352:                            ;   in Loop: Header=BB6_8948 Depth=3
	s_or_b64 exec, exec, s[28:29]
	v_cmp_lt_u64_e32 vcc, s[56:57], v[20:21]
	v_mov_b32_e32 v3, 0
	v_mov_b32_e32 v4, 0
	s_and_saveexec_b64 s[28:29], vcc
	s_cbranch_execz .LBB6_10360
; %bb.10353:                            ;   in Loop: Header=BB6_8948 Depth=3
	v_lshrrev_b32_e32 v0, 24, v21
	v_cmp_ne_u32_e32 vcc, s44, v0
	v_bfrev_b32_e32 v4, 1
	s_and_saveexec_b64 s[30:31], vcc
	s_cbranch_execz .LBB6_10359
; %bb.10354:                            ;   in Loop: Header=BB6_8948 Depth=3
	v_and_b32_e32 v4, 0x7c000000, v21
	v_bfe_u32 v5, v21, 24, 2
	v_cmp_ne_u32_e32 vcc, s8, v4
                                        ; implicit-def: $vgpr4
	s_and_saveexec_b64 s[34:35], vcc
	s_xor_b64 s[34:35], exec, s[34:35]
	s_cbranch_execz .LBB6_10356
; %bb.10355:                            ;   in Loop: Header=BB6_8948 Depth=3
	v_ffbh_u32_e32 v6, v5
	v_min_u32_e32 v6, 32, v6
	v_subrev_u32_e32 v32, 29, v6
	v_lshlrev_b64 v[36:37], v32, v[0:1]
	v_bfe_u32 v4, v21, 26, 5
	v_sub_u32_e32 v0, 30, v6
	v_and_b32_e32 v6, 3, v36
	v_cmp_eq_u32_e32 vcc, 0, v4
	v_cndmask_b32_e32 v0, v4, v0, vcc
	v_cndmask_b32_e32 v4, v5, v6, vcc
	v_and_b32_e32 v5, 0x80000000, v21
	v_lshl_add_u32 v0, v0, 23, v5
	v_lshl_or_b32 v0, v4, 21, v0
	v_add_u32_e32 v4, 0x38000000, v0
                                        ; implicit-def: $vgpr5
.LBB6_10356:                            ;   in Loop: Header=BB6_8948 Depth=3
	s_andn2_saveexec_b64 s[34:35], s[34:35]
; %bb.10357:                            ;   in Loop: Header=BB6_8948 Depth=3
	v_cmp_lt_i64_e32 vcc, -1, v[20:21]
	v_mov_b32_e32 v0, 0xff800000
	v_mov_b32_e32 v4, 0x7f800000
	v_cndmask_b32_e32 v0, v0, v4, vcc
	v_cmp_eq_u32_e32 vcc, 0, v5
	v_mov_b32_e32 v4, 0x7f800001
	v_cndmask_b32_e32 v4, v4, v0, vcc
; %bb.10358:                            ;   in Loop: Header=BB6_8948 Depth=3
	s_or_b64 exec, exec, s[34:35]
.LBB6_10359:                            ;   in Loop: Header=BB6_8948 Depth=3
	s_or_b64 exec, exec, s[30:31]
.LBB6_10360:                            ;   in Loop: Header=BB6_8948 Depth=3
	s_or_b64 exec, exec, s[28:29]
	v_cmp_lt_u64_e32 vcc, s[56:57], v[16:17]
	s_and_saveexec_b64 s[28:29], vcc
	s_cbranch_execz .LBB6_10368
; %bb.10361:                            ;   in Loop: Header=BB6_8948 Depth=3
	v_lshrrev_b32_e32 v0, 24, v17
	v_cmp_ne_u32_e32 vcc, s44, v0
	v_bfrev_b32_e32 v3, 1
	s_and_saveexec_b64 s[30:31], vcc
	s_cbranch_execz .LBB6_10367
; %bb.10362:                            ;   in Loop: Header=BB6_8948 Depth=3
	v_and_b32_e32 v3, 0x7c000000, v17
	v_bfe_u32 v5, v17, 24, 2
	v_cmp_ne_u32_e32 vcc, s8, v3
                                        ; implicit-def: $vgpr3
	s_and_saveexec_b64 s[34:35], vcc
	s_xor_b64 s[34:35], exec, s[34:35]
	s_cbranch_execz .LBB6_10364
; %bb.10363:                            ;   in Loop: Header=BB6_8948 Depth=3
	v_ffbh_u32_e32 v6, v5
	v_min_u32_e32 v6, 32, v6
	v_subrev_u32_e32 v20, 29, v6
	v_lshlrev_b64 v[20:21], v20, v[0:1]
	v_bfe_u32 v3, v17, 26, 5
	v_sub_u32_e32 v0, 30, v6
	v_and_b32_e32 v6, 3, v20
	v_cmp_eq_u32_e32 vcc, 0, v3
	v_cndmask_b32_e32 v0, v3, v0, vcc
	v_cndmask_b32_e32 v3, v5, v6, vcc
	v_and_b32_e32 v5, 0x80000000, v17
	v_lshl_add_u32 v0, v0, 23, v5
	v_lshl_or_b32 v0, v3, 21, v0
	v_add_u32_e32 v3, 0x38000000, v0
                                        ; implicit-def: $vgpr5
.LBB6_10364:                            ;   in Loop: Header=BB6_8948 Depth=3
	s_andn2_saveexec_b64 s[34:35], s[34:35]
; %bb.10365:                            ;   in Loop: Header=BB6_8948 Depth=3
	v_cmp_lt_i64_e32 vcc, -1, v[16:17]
	v_mov_b32_e32 v0, 0xff800000
	v_mov_b32_e32 v3, 0x7f800000
	v_cndmask_b32_e32 v0, v0, v3, vcc
	v_cmp_eq_u32_e32 vcc, 0, v5
	v_mov_b32_e32 v3, 0x7f800001
	v_cndmask_b32_e32 v3, v3, v0, vcc
; %bb.10366:                            ;   in Loop: Header=BB6_8948 Depth=3
	s_or_b64 exec, exec, s[34:35]
.LBB6_10367:                            ;   in Loop: Header=BB6_8948 Depth=3
	s_or_b64 exec, exec, s[30:31]
.LBB6_10368:                            ;   in Loop: Header=BB6_8948 Depth=3
	s_or_b64 exec, exec, s[28:29]
	v_mul_f32_e32 v5, v4, v3
	v_and_b32_e32 v16, 0x7f800000, v5
	v_mov_b32_e32 v17, v34
	v_cmp_ne_u64_e32 vcc, s[76:77], v[16:17]
	v_and_b32_e32 v3, 0x7fffff, v5
	v_mov_b32_e32 v4, v34
                                        ; implicit-def: $vgpr16
	s_and_saveexec_b64 s[28:29], vcc
	s_xor_b64 s[30:31], exec, s[28:29]
	s_cbranch_execz .LBB6_10382
; %bb.10369:                            ;   in Loop: Header=BB6_8948 Depth=3
	v_and_b32_e32 v16, 0x7fffffff, v5
	v_mov_b32_e32 v17, v34
	v_cmp_gt_u64_e32 vcc, s[78:79], v[16:17]
	v_and_b32_sdwa v0, v5, s44 dst_sel:DWORD dst_unused:UNUSED_PAD src0_sel:BYTE_3 src1_sel:DWORD
                                        ; implicit-def: $vgpr16
	s_and_saveexec_b64 s[28:29], vcc
	s_xor_b64 s[34:35], exec, s[28:29]
	s_cbranch_execz .LBB6_10379
; %bb.10370:                            ;   in Loop: Header=BB6_8948 Depth=3
	v_mov_b32_e32 v16, 0
	v_cmp_ne_u32_e32 vcc, 0, v5
	s_and_saveexec_b64 s[36:37], vcc
	s_cbranch_execz .LBB6_10378
; %bb.10371:                            ;   in Loop: Header=BB6_8948 Depth=3
	v_bfe_u32 v6, v5, 23, 8
	v_cmp_gt_u32_e64 s[28:29], s45, v6
	v_sub_u32_e32 v5, 0x71, v6
	v_cmp_eq_u32_e32 vcc, 0, v6
	v_cndmask_b32_e64 v5, 0, v5, s[28:29]
	v_mov_b32_e32 v16, 0x70
	v_cndmask_b32_e32 v16, v5, v16, vcc
	v_add_u32_e32 v5, 21, v16
	v_or_b32_e32 v17, 0x800000, v3
	v_lshlrev_b64 v[20:21], v5, -1
	v_cndmask_b32_e32 v3, v17, v3, vcc
	v_add_u32_e32 v5, 20, v16
	v_bfi_b32 v20, v20, 0, v3
	v_lshlrev_b64 v[36:37], v5, 1
	v_lshrrev_b64 v[3:4], v16, v[3:4]
	v_bfi_b32 v21, v21, 0, 0
	v_cmp_eq_u64_e64 s[28:29], v[20:21], v[36:37]
	v_mov_b32_e32 v5, v4
	v_mov_b32_e32 v4, v3
	s_and_saveexec_b64 s[38:39], s[28:29]
; %bb.10372:                            ;   in Loop: Header=BB6_8948 Depth=3
	v_bfe_u32 v4, v3, 21, 1
	v_add_co_u32_e64 v4, s[28:29], v3, v4
	v_add_co_u32_e64 v4, s[28:29], -1, v4
; %bb.10373:                            ;   in Loop: Header=BB6_8948 Depth=3
	s_or_b64 exec, exec, s[38:39]
	v_add_u32_e32 v5, 0xffffff81, v6
	v_mov_b32_e32 v6, 0xffffff82
	v_cndmask_b32_e32 v5, v5, v6, vcc
	v_lshrrev_b32_e32 v6, 23, v3
	v_add3_u32 v16, v16, v5, v6
	v_add_u32_e32 v6, 14, v16
	v_and_b32_e32 v4, 0x1fffff, v4
	v_add_u32_e32 v3, v4, v3
	v_mov_b32_e32 v4, v34
	v_cmp_ne_u32_e32 vcc, 0, v6
                                        ; implicit-def: $vgpr5
	s_and_saveexec_b64 s[28:29], vcc
	s_xor_b64 s[28:29], exec, s[28:29]
; %bb.10374:                            ;   in Loop: Header=BB6_8948 Depth=3
	v_cmp_lt_u64_e32 vcc, s[88:89], v[3:4]
	v_add_u32_e32 v5, 15, v16
	v_cndmask_b32_e32 v5, v6, v5, vcc
	v_cndmask_b32_e64 v6, 0, 1, vcc
	v_lshrrev_b64 v[3:4], v6, v[3:4]
; %bb.10375:                            ;   in Loop: Header=BB6_8948 Depth=3
	s_andn2_saveexec_b64 s[28:29], s[28:29]
; %bb.10376:                            ;   in Loop: Header=BB6_8948 Depth=3
	v_bfe_u32 v5, v3, 23, 1
; %bb.10377:                            ;   in Loop: Header=BB6_8948 Depth=3
	s_or_b64 exec, exec, s[28:29]
	v_lshrrev_b64 v[3:4], 21, v[3:4]
	v_cmp_gt_i32_e32 vcc, 32, v5
	v_cndmask_b32_e32 v4, 0, v4, vcc
	v_cndmask_b32_e32 v3, 3, v3, vcc
	v_cmp_eq_u64_e64 s[28:29], 0, v[3:4]
	v_min_i32_e32 v4, 31, v5
	v_lshlrev_b32_e32 v4, 2, v4
	v_cmp_eq_u32_e32 vcc, 0, v5
	v_and_b32_e32 v4, 0xfc, v4
	v_and_or_b32 v3, v3, 3, v4
	s_and_b64 s[28:29], vcc, s[28:29]
	v_cndmask_b32_e64 v3, v3, 0, s[28:29]
	v_or_b32_e32 v16, v3, v0
.LBB6_10378:                            ;   in Loop: Header=BB6_8948 Depth=3
	s_or_b64 exec, exec, s[36:37]
                                        ; implicit-def: $vgpr0
.LBB6_10379:                            ;   in Loop: Header=BB6_8948 Depth=3
	s_andn2_saveexec_b64 s[28:29], s[34:35]
; %bb.10380:                            ;   in Loop: Header=BB6_8948 Depth=3
	v_or_b32_e32 v16, 0x7b, v0
; %bb.10381:                            ;   in Loop: Header=BB6_8948 Depth=3
	s_or_b64 exec, exec, s[28:29]
                                        ; implicit-def: $vgpr5
                                        ; implicit-def: $vgpr3_vgpr4
.LBB6_10382:                            ;   in Loop: Header=BB6_8948 Depth=3
	s_andn2_saveexec_b64 s[28:29], s[30:31]
	s_cbranch_execz .LBB6_10388
; %bb.10383:                            ;   in Loop: Header=BB6_8948 Depth=3
	v_cmp_ne_u64_e32 vcc, 0, v[3:4]
                                        ; implicit-def: $vgpr16
	s_and_saveexec_b64 s[30:31], vcc
	s_xor_b64 vcc, exec, s[30:31]
; %bb.10384:                            ;   in Loop: Header=BB6_8948 Depth=3
	v_or_b32_sdwa v16, v5, s83 dst_sel:DWORD dst_unused:UNUSED_PAD src0_sel:BYTE_3 src1_sel:DWORD
                                        ; implicit-def: $vgpr5
; %bb.10385:                            ;   in Loop: Header=BB6_8948 Depth=3
	s_andn2_saveexec_b64 s[30:31], vcc
; %bb.10386:                            ;   in Loop: Header=BB6_8948 Depth=3
	v_cmp_lt_i32_e32 vcc, -1, v5
	v_bfrev_b32_e32 v0, 0.5
	v_mov_b32_e32 v3, 0x7c
	v_cndmask_b32_e32 v16, v0, v3, vcc
; %bb.10387:                            ;   in Loop: Header=BB6_8948 Depth=3
	s_or_b64 exec, exec, s[30:31]
.LBB6_10388:                            ;   in Loop: Header=BB6_8948 Depth=3
	s_or_b64 exec, exec, s[28:29]
	v_cmp_ne_u16_sdwa vcc, v22, v34 src0_sel:BYTE_0 src1_sel:DWORD
	v_mov_b32_e32 v0, 0
	v_mov_b32_e32 v3, 0
	s_and_saveexec_b64 s[28:29], vcc
	s_cbranch_execz .LBB6_10396
; %bb.10389:                            ;   in Loop: Header=BB6_8948 Depth=3
	v_cmp_ne_u16_sdwa vcc, sext(v22), s80 src0_sel:BYTE_0 src1_sel:DWORD
	v_bfrev_b32_e32 v3, 1
	s_and_saveexec_b64 s[30:31], vcc
	s_cbranch_execz .LBB6_10395
; %bb.10390:                            ;   in Loop: Header=BB6_8948 Depth=3
	v_and_b32_e32 v3, 0x7c, v22
	v_and_b32_e32 v4, 3, v22
	v_cmp_ne_u32_e32 vcc, s81, v3
                                        ; implicit-def: $vgpr3
	s_and_saveexec_b64 s[34:35], vcc
	s_xor_b64 s[34:35], exec, s[34:35]
	s_cbranch_execz .LBB6_10392
; %bb.10391:                            ;   in Loop: Header=BB6_8948 Depth=3
	v_ffbh_u32_e32 v5, v4
	v_min_u32_e32 v17, 32, v5
	v_subrev_u32_e32 v5, 29, v17
	v_lshlrev_b64 v[5:6], v5, v[22:23]
	v_bfe_u32 v3, v22, 2, 5
	v_and_b32_e32 v5, 3, v5
	v_cmp_eq_u32_e32 vcc, 0, v3
	v_sub_u32_e32 v6, 30, v17
	v_cndmask_b32_e32 v4, v4, v5, vcc
	v_lshlrev_b32_e32 v5, 24, v22
	v_cndmask_b32_e32 v3, v3, v6, vcc
	v_and_b32_e32 v5, 0x80000000, v5
	v_lshl_add_u32 v3, v3, 23, v5
	v_lshl_or_b32 v3, v4, 21, v3
	v_add_u32_e32 v3, 0x38000000, v3
                                        ; implicit-def: $vgpr4
.LBB6_10392:                            ;   in Loop: Header=BB6_8948 Depth=3
	s_andn2_saveexec_b64 s[34:35], s[34:35]
; %bb.10393:                            ;   in Loop: Header=BB6_8948 Depth=3
	v_mov_b32_e32 v3, -1
	v_cmp_gt_i16_sdwa vcc, sext(v22), v3 src0_sel:BYTE_0 src1_sel:DWORD
	v_mov_b32_e32 v3, 0xff800000
	v_mov_b32_e32 v5, 0x7f800000
	v_cndmask_b32_e32 v3, v3, v5, vcc
	v_cmp_eq_u32_e32 vcc, 0, v4
	v_mov_b32_e32 v4, 0x7f800001
	v_cndmask_b32_e32 v3, v4, v3, vcc
; %bb.10394:                            ;   in Loop: Header=BB6_8948 Depth=3
	s_or_b64 exec, exec, s[34:35]
.LBB6_10395:                            ;   in Loop: Header=BB6_8948 Depth=3
	s_or_b64 exec, exec, s[30:31]
.LBB6_10396:                            ;   in Loop: Header=BB6_8948 Depth=3
	s_or_b64 exec, exec, s[28:29]
	v_cmp_ne_u16_sdwa vcc, v18, v34 src0_sel:BYTE_0 src1_sel:DWORD
	s_and_saveexec_b64 s[28:29], vcc
	s_cbranch_execz .LBB6_10404
; %bb.10397:                            ;   in Loop: Header=BB6_8948 Depth=3
	v_cmp_ne_u16_sdwa vcc, sext(v18), s80 src0_sel:BYTE_0 src1_sel:DWORD
	v_bfrev_b32_e32 v0, 1
	s_and_saveexec_b64 s[30:31], vcc
	s_cbranch_execz .LBB6_10403
; %bb.10398:                            ;   in Loop: Header=BB6_8948 Depth=3
	v_and_b32_e32 v0, 0x7c, v18
	v_and_b32_e32 v4, 3, v18
	v_cmp_ne_u32_e32 vcc, s81, v0
                                        ; implicit-def: $vgpr0
	s_and_saveexec_b64 s[34:35], vcc
	s_xor_b64 s[34:35], exec, s[34:35]
	s_cbranch_execz .LBB6_10400
; %bb.10399:                            ;   in Loop: Header=BB6_8948 Depth=3
	v_ffbh_u32_e32 v5, v4
	v_min_u32_e32 v17, 32, v5
	v_subrev_u32_e32 v5, 29, v17
	v_lshlrev_b64 v[5:6], v5, v[18:19]
	v_bfe_u32 v0, v18, 2, 5
	v_and_b32_e32 v5, 3, v5
	v_cmp_eq_u32_e32 vcc, 0, v0
	v_sub_u32_e32 v6, 30, v17
	v_cndmask_b32_e32 v4, v4, v5, vcc
	v_lshlrev_b32_e32 v5, 24, v18
	v_cndmask_b32_e32 v0, v0, v6, vcc
	v_and_b32_e32 v5, 0x80000000, v5
	v_lshl_add_u32 v0, v0, 23, v5
	v_lshl_or_b32 v0, v4, 21, v0
	v_add_u32_e32 v0, 0x38000000, v0
                                        ; implicit-def: $vgpr4
.LBB6_10400:                            ;   in Loop: Header=BB6_8948 Depth=3
	s_andn2_saveexec_b64 s[34:35], s[34:35]
; %bb.10401:                            ;   in Loop: Header=BB6_8948 Depth=3
	v_mov_b32_e32 v0, -1
	v_cmp_gt_i16_sdwa vcc, sext(v18), v0 src0_sel:BYTE_0 src1_sel:DWORD
	v_mov_b32_e32 v0, 0xff800000
	v_mov_b32_e32 v5, 0x7f800000
	v_cndmask_b32_e32 v0, v0, v5, vcc
	v_cmp_eq_u32_e32 vcc, 0, v4
	v_mov_b32_e32 v4, 0x7f800001
	v_cndmask_b32_e32 v0, v4, v0, vcc
; %bb.10402:                            ;   in Loop: Header=BB6_8948 Depth=3
	s_or_b64 exec, exec, s[34:35]
.LBB6_10403:                            ;   in Loop: Header=BB6_8948 Depth=3
	s_or_b64 exec, exec, s[30:31]
.LBB6_10404:                            ;   in Loop: Header=BB6_8948 Depth=3
	s_or_b64 exec, exec, s[28:29]
	v_mul_f32_e32 v5, v3, v0
	v_and_b32_e32 v20, 0x7f800000, v5
	v_mov_b32_e32 v21, v34
	v_cmp_ne_u64_e32 vcc, s[76:77], v[20:21]
	v_and_b32_e32 v3, 0x7fffff, v5
	v_mov_b32_e32 v4, v34
                                        ; implicit-def: $vgpr17
	s_and_saveexec_b64 s[28:29], vcc
	s_xor_b64 s[30:31], exec, s[28:29]
	s_cbranch_execz .LBB6_10418
; %bb.10405:                            ;   in Loop: Header=BB6_8948 Depth=3
	v_and_b32_e32 v20, 0x7fffffff, v5
	v_mov_b32_e32 v21, v34
	v_cmp_gt_u64_e32 vcc, s[78:79], v[20:21]
	v_and_b32_sdwa v0, v5, s44 dst_sel:DWORD dst_unused:UNUSED_PAD src0_sel:BYTE_3 src1_sel:DWORD
                                        ; implicit-def: $vgpr17
	s_and_saveexec_b64 s[28:29], vcc
	s_xor_b64 s[34:35], exec, s[28:29]
	s_cbranch_execz .LBB6_10415
; %bb.10406:                            ;   in Loop: Header=BB6_8948 Depth=3
	v_mov_b32_e32 v17, 0
	v_cmp_ne_u32_e32 vcc, 0, v5
	s_and_saveexec_b64 s[36:37], vcc
	s_cbranch_execz .LBB6_10414
; %bb.10407:                            ;   in Loop: Header=BB6_8948 Depth=3
	v_bfe_u32 v6, v5, 23, 8
	v_cmp_gt_u32_e64 s[28:29], s45, v6
	v_sub_u32_e32 v5, 0x71, v6
	v_cmp_eq_u32_e32 vcc, 0, v6
	v_cndmask_b32_e64 v5, 0, v5, s[28:29]
	v_mov_b32_e32 v17, 0x70
	v_cndmask_b32_e32 v17, v5, v17, vcc
	v_or_b32_e32 v20, 0x800000, v3
	v_add_u32_e32 v5, 21, v17
	v_cndmask_b32_e32 v3, v20, v3, vcc
	v_lshlrev_b64 v[20:21], v5, -1
	v_add_u32_e32 v5, 20, v17
	v_bfi_b32 v20, v20, 0, v3
	v_lshlrev_b64 v[36:37], v5, 1
	v_lshrrev_b64 v[3:4], v17, v[3:4]
	v_bfi_b32 v21, v21, 0, 0
	v_cmp_eq_u64_e64 s[28:29], v[20:21], v[36:37]
	v_mov_b32_e32 v5, v4
	v_mov_b32_e32 v4, v3
	s_and_saveexec_b64 s[38:39], s[28:29]
; %bb.10408:                            ;   in Loop: Header=BB6_8948 Depth=3
	v_bfe_u32 v4, v3, 21, 1
	v_add_co_u32_e64 v4, s[28:29], v3, v4
	v_add_co_u32_e64 v4, s[28:29], -1, v4
; %bb.10409:                            ;   in Loop: Header=BB6_8948 Depth=3
	s_or_b64 exec, exec, s[38:39]
	v_add_u32_e32 v5, 0xffffff81, v6
	v_mov_b32_e32 v6, 0xffffff82
	v_cndmask_b32_e32 v5, v5, v6, vcc
	v_lshrrev_b32_e32 v6, 23, v3
	v_add3_u32 v17, v17, v5, v6
	v_add_u32_e32 v6, 14, v17
	v_and_b32_e32 v4, 0x1fffff, v4
	v_add_u32_e32 v3, v4, v3
	v_mov_b32_e32 v4, v34
	v_cmp_ne_u32_e32 vcc, 0, v6
                                        ; implicit-def: $vgpr5
	s_and_saveexec_b64 s[28:29], vcc
	s_xor_b64 s[28:29], exec, s[28:29]
; %bb.10410:                            ;   in Loop: Header=BB6_8948 Depth=3
	v_cmp_lt_u64_e32 vcc, s[88:89], v[3:4]
	v_add_u32_e32 v5, 15, v17
	v_cndmask_b32_e32 v5, v6, v5, vcc
	v_cndmask_b32_e64 v6, 0, 1, vcc
	v_lshrrev_b64 v[3:4], v6, v[3:4]
; %bb.10411:                            ;   in Loop: Header=BB6_8948 Depth=3
	s_andn2_saveexec_b64 s[28:29], s[28:29]
; %bb.10412:                            ;   in Loop: Header=BB6_8948 Depth=3
	v_bfe_u32 v5, v3, 23, 1
; %bb.10413:                            ;   in Loop: Header=BB6_8948 Depth=3
	s_or_b64 exec, exec, s[28:29]
	v_lshrrev_b64 v[3:4], 21, v[3:4]
	v_cmp_gt_i32_e32 vcc, 32, v5
	v_cndmask_b32_e32 v4, 0, v4, vcc
	v_cndmask_b32_e32 v3, 3, v3, vcc
	v_cmp_eq_u64_e64 s[28:29], 0, v[3:4]
	v_min_i32_e32 v4, 31, v5
	v_lshlrev_b32_e32 v4, 2, v4
	v_cmp_eq_u32_e32 vcc, 0, v5
	v_and_b32_e32 v4, 0xfc, v4
	v_and_or_b32 v3, v3, 3, v4
	s_and_b64 s[28:29], vcc, s[28:29]
	v_cndmask_b32_e64 v3, v3, 0, s[28:29]
	v_or_b32_e32 v17, v3, v0
.LBB6_10414:                            ;   in Loop: Header=BB6_8948 Depth=3
	s_or_b64 exec, exec, s[36:37]
                                        ; implicit-def: $vgpr0
.LBB6_10415:                            ;   in Loop: Header=BB6_8948 Depth=3
	s_andn2_saveexec_b64 s[28:29], s[34:35]
; %bb.10416:                            ;   in Loop: Header=BB6_8948 Depth=3
	v_or_b32_e32 v17, 0x7b, v0
; %bb.10417:                            ;   in Loop: Header=BB6_8948 Depth=3
	s_or_b64 exec, exec, s[28:29]
                                        ; implicit-def: $vgpr5
                                        ; implicit-def: $vgpr3_vgpr4
.LBB6_10418:                            ;   in Loop: Header=BB6_8948 Depth=3
	s_andn2_saveexec_b64 s[28:29], s[30:31]
	s_cbranch_execz .LBB6_10424
; %bb.10419:                            ;   in Loop: Header=BB6_8948 Depth=3
	v_cmp_ne_u64_e32 vcc, 0, v[3:4]
                                        ; implicit-def: $vgpr17
	s_and_saveexec_b64 s[30:31], vcc
	s_xor_b64 vcc, exec, s[30:31]
; %bb.10420:                            ;   in Loop: Header=BB6_8948 Depth=3
	v_or_b32_sdwa v17, v5, s83 dst_sel:DWORD dst_unused:UNUSED_PAD src0_sel:BYTE_3 src1_sel:DWORD
                                        ; implicit-def: $vgpr5
; %bb.10421:                            ;   in Loop: Header=BB6_8948 Depth=3
	s_andn2_saveexec_b64 s[30:31], vcc
; %bb.10422:                            ;   in Loop: Header=BB6_8948 Depth=3
	v_cmp_lt_i32_e32 vcc, -1, v5
	v_bfrev_b32_e32 v0, 0.5
	v_mov_b32_e32 v3, 0x7c
	v_cndmask_b32_e32 v17, v0, v3, vcc
; %bb.10423:                            ;   in Loop: Header=BB6_8948 Depth=3
	s_or_b64 exec, exec, s[30:31]
.LBB6_10424:                            ;   in Loop: Header=BB6_8948 Depth=3
	s_or_b64 exec, exec, s[28:29]
	v_lshrrev_b16_e32 v3, 8, v22
	v_cmp_ne_u16_e32 vcc, 0, v3
	v_mov_b32_e32 v0, 0
	v_mov_b32_e32 v5, 0
	s_and_saveexec_b64 s[28:29], vcc
	s_cbranch_execz .LBB6_10432
; %bb.10425:                            ;   in Loop: Header=BB6_8948 Depth=3
	v_cmp_ne_u16_e32 vcc, s44, v3
	v_bfrev_b32_e32 v5, 1
	s_and_saveexec_b64 s[30:31], vcc
	s_cbranch_execz .LBB6_10431
; %bb.10426:                            ;   in Loop: Header=BB6_8948 Depth=3
	v_and_b32_e32 v4, 0x7c, v3
	v_and_b32_e32 v6, 3, v3
	v_cmp_ne_u32_e32 vcc, s81, v4
                                        ; implicit-def: $vgpr5
	s_and_saveexec_b64 s[34:35], vcc
	s_xor_b64 s[34:35], exec, s[34:35]
	s_cbranch_execz .LBB6_10428
; %bb.10427:                            ;   in Loop: Header=BB6_8948 Depth=3
	v_ffbh_u32_e32 v20, v6
	v_min_u32_e32 v20, 32, v20
	v_mov_b32_e32 v4, v34
	v_subrev_u32_e32 v21, 29, v20
	v_bfe_u32 v5, v3, 2, 5
	v_lshlrev_b64 v[3:4], v21, v[3:4]
	v_sub_u32_e32 v4, 30, v20
	v_cmp_eq_u32_e32 vcc, 0, v5
	v_cndmask_b32_e32 v4, v5, v4, vcc
	v_lshlrev_b32_e32 v5, 16, v22
	v_and_b32_e32 v3, 3, v3
	v_and_b32_e32 v5, 0x80000000, v5
	v_cndmask_b32_e32 v3, v6, v3, vcc
	v_lshl_add_u32 v4, v4, 23, v5
	v_lshl_or_b32 v3, v3, 21, v4
	v_add_u32_e32 v5, 0x38000000, v3
                                        ; implicit-def: $vgpr6
.LBB6_10428:                            ;   in Loop: Header=BB6_8948 Depth=3
	s_andn2_saveexec_b64 s[34:35], s[34:35]
; %bb.10429:                            ;   in Loop: Header=BB6_8948 Depth=3
	v_cmp_lt_i16_e32 vcc, -1, v22
	v_mov_b32_e32 v3, 0xff800000
	v_mov_b32_e32 v4, 0x7f800000
	v_cndmask_b32_e32 v3, v3, v4, vcc
	v_cmp_eq_u32_e32 vcc, 0, v6
	v_mov_b32_e32 v4, 0x7f800001
	v_cndmask_b32_e32 v5, v4, v3, vcc
; %bb.10430:                            ;   in Loop: Header=BB6_8948 Depth=3
	s_or_b64 exec, exec, s[34:35]
.LBB6_10431:                            ;   in Loop: Header=BB6_8948 Depth=3
	s_or_b64 exec, exec, s[30:31]
.LBB6_10432:                            ;   in Loop: Header=BB6_8948 Depth=3
	s_or_b64 exec, exec, s[28:29]
	v_lshrrev_b16_e32 v3, 8, v18
	v_cmp_ne_u16_e32 vcc, 0, v3
	s_and_saveexec_b64 s[28:29], vcc
	s_cbranch_execz .LBB6_10440
; %bb.10433:                            ;   in Loop: Header=BB6_8948 Depth=3
	v_cmp_ne_u16_e32 vcc, s44, v3
	v_bfrev_b32_e32 v0, 1
	s_and_saveexec_b64 s[30:31], vcc
	s_cbranch_execz .LBB6_10439
; %bb.10434:                            ;   in Loop: Header=BB6_8948 Depth=3
	v_and_b32_e32 v0, 0x7c, v3
	v_and_b32_e32 v6, 3, v3
	v_cmp_ne_u32_e32 vcc, s81, v0
                                        ; implicit-def: $vgpr0
	s_and_saveexec_b64 s[34:35], vcc
	s_xor_b64 s[34:35], exec, s[34:35]
	s_cbranch_execz .LBB6_10436
; %bb.10435:                            ;   in Loop: Header=BB6_8948 Depth=3
	v_ffbh_u32_e32 v20, v6
	v_min_u32_e32 v20, 32, v20
	v_mov_b32_e32 v4, v34
	v_subrev_u32_e32 v21, 29, v20
	v_bfe_u32 v0, v3, 2, 5
	v_lshlrev_b64 v[3:4], v21, v[3:4]
	v_sub_u32_e32 v4, 30, v20
	v_cmp_eq_u32_e32 vcc, 0, v0
	v_cndmask_b32_e32 v0, v0, v4, vcc
	v_lshlrev_b32_e32 v4, 16, v18
	v_and_b32_e32 v3, 3, v3
	v_and_b32_e32 v4, 0x80000000, v4
	v_cndmask_b32_e32 v3, v6, v3, vcc
	v_lshl_add_u32 v0, v0, 23, v4
	v_lshl_or_b32 v0, v3, 21, v0
	v_add_u32_e32 v0, 0x38000000, v0
                                        ; implicit-def: $vgpr6
.LBB6_10436:                            ;   in Loop: Header=BB6_8948 Depth=3
	s_andn2_saveexec_b64 s[34:35], s[34:35]
; %bb.10437:                            ;   in Loop: Header=BB6_8948 Depth=3
	v_cmp_lt_i16_e32 vcc, -1, v18
	v_mov_b32_e32 v0, 0xff800000
	v_mov_b32_e32 v3, 0x7f800000
	v_cndmask_b32_e32 v0, v0, v3, vcc
	v_cmp_eq_u32_e32 vcc, 0, v6
	v_mov_b32_e32 v3, 0x7f800001
	v_cndmask_b32_e32 v0, v3, v0, vcc
; %bb.10438:                            ;   in Loop: Header=BB6_8948 Depth=3
	s_or_b64 exec, exec, s[34:35]
.LBB6_10439:                            ;   in Loop: Header=BB6_8948 Depth=3
	s_or_b64 exec, exec, s[30:31]
.LBB6_10440:                            ;   in Loop: Header=BB6_8948 Depth=3
	s_or_b64 exec, exec, s[28:29]
	v_mul_f32_e32 v5, v5, v0
	v_and_b32_e32 v20, 0x7f800000, v5
	v_mov_b32_e32 v21, v34
	v_cmp_ne_u64_e32 vcc, s[76:77], v[20:21]
	v_and_b32_e32 v3, 0x7fffff, v5
	v_mov_b32_e32 v4, v34
                                        ; implicit-def: $vgpr20
	s_and_saveexec_b64 s[28:29], vcc
	s_xor_b64 s[30:31], exec, s[28:29]
	s_cbranch_execz .LBB6_10454
; %bb.10441:                            ;   in Loop: Header=BB6_8948 Depth=3
	v_and_b32_e32 v20, 0x7fffffff, v5
	v_mov_b32_e32 v21, v34
	v_cmp_gt_u64_e32 vcc, s[78:79], v[20:21]
	v_and_b32_sdwa v0, v5, s44 dst_sel:DWORD dst_unused:UNUSED_PAD src0_sel:BYTE_3 src1_sel:DWORD
                                        ; implicit-def: $vgpr20
	s_and_saveexec_b64 s[28:29], vcc
	s_xor_b64 s[34:35], exec, s[28:29]
	s_cbranch_execz .LBB6_10451
; %bb.10442:                            ;   in Loop: Header=BB6_8948 Depth=3
	v_mov_b32_e32 v20, 0
	v_cmp_ne_u32_e32 vcc, 0, v5
	s_and_saveexec_b64 s[36:37], vcc
	s_cbranch_execz .LBB6_10450
; %bb.10443:                            ;   in Loop: Header=BB6_8948 Depth=3
	v_bfe_u32 v6, v5, 23, 8
	v_cmp_gt_u32_e64 s[28:29], s45, v6
	v_sub_u32_e32 v5, 0x71, v6
	v_cmp_eq_u32_e32 vcc, 0, v6
	v_cndmask_b32_e64 v5, 0, v5, s[28:29]
	v_mov_b32_e32 v20, 0x70
	v_cndmask_b32_e32 v20, v5, v20, vcc
	v_add_u32_e32 v5, 21, v20
	v_or_b32_e32 v21, 0x800000, v3
	v_lshlrev_b64 v[36:37], v5, -1
	v_cndmask_b32_e32 v3, v21, v3, vcc
	v_add_u32_e32 v5, 20, v20
	v_bfi_b32 v36, v36, 0, v3
	v_lshlrev_b64 v[38:39], v5, 1
	v_lshrrev_b64 v[3:4], v20, v[3:4]
	v_bfi_b32 v37, v37, 0, 0
	v_cmp_eq_u64_e64 s[28:29], v[36:37], v[38:39]
	v_mov_b32_e32 v5, v4
	v_mov_b32_e32 v4, v3
	s_and_saveexec_b64 s[38:39], s[28:29]
; %bb.10444:                            ;   in Loop: Header=BB6_8948 Depth=3
	v_bfe_u32 v4, v3, 21, 1
	v_add_co_u32_e64 v4, s[28:29], v3, v4
	v_add_co_u32_e64 v4, s[28:29], -1, v4
; %bb.10445:                            ;   in Loop: Header=BB6_8948 Depth=3
	s_or_b64 exec, exec, s[38:39]
	v_add_u32_e32 v5, 0xffffff81, v6
	v_mov_b32_e32 v6, 0xffffff82
	v_cndmask_b32_e32 v5, v5, v6, vcc
	v_lshrrev_b32_e32 v6, 23, v3
	v_add3_u32 v20, v20, v5, v6
	v_add_u32_e32 v6, 14, v20
	v_and_b32_e32 v4, 0x1fffff, v4
	v_add_u32_e32 v3, v4, v3
	v_mov_b32_e32 v4, v34
	v_cmp_ne_u32_e32 vcc, 0, v6
                                        ; implicit-def: $vgpr5
	s_and_saveexec_b64 s[28:29], vcc
	s_xor_b64 s[28:29], exec, s[28:29]
; %bb.10446:                            ;   in Loop: Header=BB6_8948 Depth=3
	v_cmp_lt_u64_e32 vcc, s[88:89], v[3:4]
	v_add_u32_e32 v5, 15, v20
	v_cndmask_b32_e32 v5, v6, v5, vcc
	v_cndmask_b32_e64 v6, 0, 1, vcc
	v_lshrrev_b64 v[3:4], v6, v[3:4]
; %bb.10447:                            ;   in Loop: Header=BB6_8948 Depth=3
	s_andn2_saveexec_b64 s[28:29], s[28:29]
; %bb.10448:                            ;   in Loop: Header=BB6_8948 Depth=3
	v_bfe_u32 v5, v3, 23, 1
; %bb.10449:                            ;   in Loop: Header=BB6_8948 Depth=3
	s_or_b64 exec, exec, s[28:29]
	v_lshrrev_b64 v[3:4], 21, v[3:4]
	v_cmp_gt_i32_e32 vcc, 32, v5
	v_cndmask_b32_e32 v4, 0, v4, vcc
	v_cndmask_b32_e32 v3, 3, v3, vcc
	v_cmp_eq_u64_e64 s[28:29], 0, v[3:4]
	v_min_i32_e32 v4, 31, v5
	v_lshlrev_b32_e32 v4, 2, v4
	v_cmp_eq_u32_e32 vcc, 0, v5
	v_and_b32_e32 v4, 0xfc, v4
	v_and_or_b32 v3, v3, 3, v4
	s_and_b64 s[28:29], vcc, s[28:29]
	v_cndmask_b32_e64 v3, v3, 0, s[28:29]
	v_or_b32_e32 v20, v3, v0
.LBB6_10450:                            ;   in Loop: Header=BB6_8948 Depth=3
	s_or_b64 exec, exec, s[36:37]
                                        ; implicit-def: $vgpr0
.LBB6_10451:                            ;   in Loop: Header=BB6_8948 Depth=3
	s_andn2_saveexec_b64 s[28:29], s[34:35]
; %bb.10452:                            ;   in Loop: Header=BB6_8948 Depth=3
	v_or_b32_e32 v20, 0x7b, v0
; %bb.10453:                            ;   in Loop: Header=BB6_8948 Depth=3
	s_or_b64 exec, exec, s[28:29]
                                        ; implicit-def: $vgpr5
                                        ; implicit-def: $vgpr3_vgpr4
.LBB6_10454:                            ;   in Loop: Header=BB6_8948 Depth=3
	s_andn2_saveexec_b64 s[28:29], s[30:31]
	s_cbranch_execz .LBB6_10460
; %bb.10455:                            ;   in Loop: Header=BB6_8948 Depth=3
	v_cmp_ne_u64_e32 vcc, 0, v[3:4]
                                        ; implicit-def: $vgpr20
	s_and_saveexec_b64 s[30:31], vcc
	s_xor_b64 vcc, exec, s[30:31]
; %bb.10456:                            ;   in Loop: Header=BB6_8948 Depth=3
	v_or_b32_sdwa v20, v5, s83 dst_sel:DWORD dst_unused:UNUSED_PAD src0_sel:BYTE_3 src1_sel:DWORD
                                        ; implicit-def: $vgpr5
; %bb.10457:                            ;   in Loop: Header=BB6_8948 Depth=3
	s_andn2_saveexec_b64 s[30:31], vcc
; %bb.10458:                            ;   in Loop: Header=BB6_8948 Depth=3
	v_cmp_lt_i32_e32 vcc, -1, v5
	v_bfrev_b32_e32 v0, 0.5
	v_mov_b32_e32 v3, 0x7c
	v_cndmask_b32_e32 v20, v0, v3, vcc
; %bb.10459:                            ;   in Loop: Header=BB6_8948 Depth=3
	s_or_b64 exec, exec, s[30:31]
.LBB6_10460:                            ;   in Loop: Header=BB6_8948 Depth=3
	s_or_b64 exec, exec, s[28:29]
	v_lshrrev_b32_e32 v0, 16, v22
	v_cmp_ne_u16_sdwa vcc, v0, v34 src0_sel:BYTE_0 src1_sel:DWORD
	v_mov_b32_e32 v3, 0
	v_mov_b32_e32 v4, 0
	s_and_saveexec_b64 s[28:29], vcc
	s_cbranch_execz .LBB6_10468
; %bb.10461:                            ;   in Loop: Header=BB6_8948 Depth=3
	v_cmp_ne_u16_sdwa vcc, v0, s44 src0_sel:BYTE_0 src1_sel:DWORD
	v_bfrev_b32_e32 v4, 1
	s_and_saveexec_b64 s[30:31], vcc
	s_cbranch_execz .LBB6_10467
; %bb.10462:                            ;   in Loop: Header=BB6_8948 Depth=3
	v_and_b32_e32 v4, 0x7c0000, v22
	v_bfe_u32 v5, v22, 16, 2
	v_cmp_ne_u32_e32 vcc, s9, v4
                                        ; implicit-def: $vgpr4
	s_and_saveexec_b64 s[34:35], vcc
	s_xor_b64 s[34:35], exec, s[34:35]
	s_cbranch_execz .LBB6_10464
; %bb.10463:                            ;   in Loop: Header=BB6_8948 Depth=3
	v_ffbh_u32_e32 v6, v5
	v_min_u32_e32 v6, 32, v6
	v_subrev_u32_e32 v21, 29, v6
	v_lshlrev_b64 v[36:37], v21, v[0:1]
	v_bfe_u32 v4, v22, 18, 5
	v_sub_u32_e32 v0, 30, v6
	v_and_b32_e32 v6, 3, v36
	v_cmp_eq_u32_e32 vcc, 0, v4
	v_cndmask_b32_e32 v0, v4, v0, vcc
	v_cndmask_b32_e32 v4, v5, v6, vcc
	v_lshlrev_b32_e32 v5, 8, v22
	v_and_b32_e32 v5, 0x80000000, v5
	v_lshl_add_u32 v0, v0, 23, v5
	v_lshl_or_b32 v0, v4, 21, v0
	v_add_u32_e32 v4, 0x38000000, v0
                                        ; implicit-def: $vgpr5
                                        ; implicit-def: $vgpr0
.LBB6_10464:                            ;   in Loop: Header=BB6_8948 Depth=3
	s_andn2_saveexec_b64 s[34:35], s[34:35]
; %bb.10465:                            ;   in Loop: Header=BB6_8948 Depth=3
	v_mov_b32_e32 v4, -1
	v_cmp_gt_i16_sdwa vcc, sext(v0), v4 src0_sel:BYTE_0 src1_sel:DWORD
	v_mov_b32_e32 v0, 0xff800000
	v_mov_b32_e32 v4, 0x7f800000
	v_cndmask_b32_e32 v0, v0, v4, vcc
	v_cmp_eq_u32_e32 vcc, 0, v5
	v_mov_b32_e32 v4, 0x7f800001
	v_cndmask_b32_e32 v4, v4, v0, vcc
; %bb.10466:                            ;   in Loop: Header=BB6_8948 Depth=3
	s_or_b64 exec, exec, s[34:35]
.LBB6_10467:                            ;   in Loop: Header=BB6_8948 Depth=3
	s_or_b64 exec, exec, s[30:31]
.LBB6_10468:                            ;   in Loop: Header=BB6_8948 Depth=3
	s_or_b64 exec, exec, s[28:29]
	v_lshrrev_b32_e32 v0, 16, v18
	v_cmp_ne_u16_sdwa vcc, v0, v34 src0_sel:BYTE_0 src1_sel:DWORD
	s_and_saveexec_b64 s[28:29], vcc
	s_cbranch_execz .LBB6_10476
; %bb.10469:                            ;   in Loop: Header=BB6_8948 Depth=3
	v_cmp_ne_u16_sdwa vcc, v0, s44 src0_sel:BYTE_0 src1_sel:DWORD
	v_bfrev_b32_e32 v3, 1
	s_and_saveexec_b64 s[30:31], vcc
	s_cbranch_execz .LBB6_10475
; %bb.10470:                            ;   in Loop: Header=BB6_8948 Depth=3
	v_and_b32_e32 v3, 0x7c0000, v18
	v_bfe_u32 v5, v18, 16, 2
	v_cmp_ne_u32_e32 vcc, s9, v3
                                        ; implicit-def: $vgpr3
	s_and_saveexec_b64 s[34:35], vcc
	s_xor_b64 s[34:35], exec, s[34:35]
	s_cbranch_execz .LBB6_10472
; %bb.10471:                            ;   in Loop: Header=BB6_8948 Depth=3
	v_ffbh_u32_e32 v6, v5
	v_min_u32_e32 v6, 32, v6
	v_subrev_u32_e32 v21, 29, v6
	v_lshlrev_b64 v[36:37], v21, v[0:1]
	v_bfe_u32 v3, v18, 18, 5
	v_sub_u32_e32 v0, 30, v6
	v_and_b32_e32 v6, 3, v36
	v_cmp_eq_u32_e32 vcc, 0, v3
	v_cndmask_b32_e32 v0, v3, v0, vcc
	v_cndmask_b32_e32 v3, v5, v6, vcc
	v_lshlrev_b32_e32 v5, 8, v18
	v_and_b32_e32 v5, 0x80000000, v5
	v_lshl_add_u32 v0, v0, 23, v5
	v_lshl_or_b32 v0, v3, 21, v0
	v_add_u32_e32 v3, 0x38000000, v0
                                        ; implicit-def: $vgpr5
                                        ; implicit-def: $vgpr0
.LBB6_10472:                            ;   in Loop: Header=BB6_8948 Depth=3
	s_andn2_saveexec_b64 s[34:35], s[34:35]
; %bb.10473:                            ;   in Loop: Header=BB6_8948 Depth=3
	v_mov_b32_e32 v3, -1
	v_cmp_gt_i16_sdwa vcc, sext(v0), v3 src0_sel:BYTE_0 src1_sel:DWORD
	v_mov_b32_e32 v0, 0xff800000
	v_mov_b32_e32 v3, 0x7f800000
	v_cndmask_b32_e32 v0, v0, v3, vcc
	v_cmp_eq_u32_e32 vcc, 0, v5
	v_mov_b32_e32 v3, 0x7f800001
	v_cndmask_b32_e32 v3, v3, v0, vcc
; %bb.10474:                            ;   in Loop: Header=BB6_8948 Depth=3
	s_or_b64 exec, exec, s[34:35]
.LBB6_10475:                            ;   in Loop: Header=BB6_8948 Depth=3
	s_or_b64 exec, exec, s[30:31]
.LBB6_10476:                            ;   in Loop: Header=BB6_8948 Depth=3
	s_or_b64 exec, exec, s[28:29]
	v_mul_f32_e32 v5, v4, v3
	v_and_b32_e32 v36, 0x7f800000, v5
	v_mov_b32_e32 v37, v34
	v_cmp_ne_u64_e32 vcc, s[76:77], v[36:37]
	v_and_b32_e32 v3, 0x7fffff, v5
	v_mov_b32_e32 v4, v34
                                        ; implicit-def: $vgpr21
	s_and_saveexec_b64 s[28:29], vcc
	s_xor_b64 s[30:31], exec, s[28:29]
	s_cbranch_execz .LBB6_10490
; %bb.10477:                            ;   in Loop: Header=BB6_8948 Depth=3
	v_and_b32_e32 v36, 0x7fffffff, v5
	v_mov_b32_e32 v37, v34
	v_cmp_gt_u64_e32 vcc, s[78:79], v[36:37]
	v_and_b32_sdwa v0, v5, s44 dst_sel:DWORD dst_unused:UNUSED_PAD src0_sel:BYTE_3 src1_sel:DWORD
                                        ; implicit-def: $vgpr21
	s_and_saveexec_b64 s[28:29], vcc
	s_xor_b64 s[34:35], exec, s[28:29]
	s_cbranch_execz .LBB6_10487
; %bb.10478:                            ;   in Loop: Header=BB6_8948 Depth=3
	v_mov_b32_e32 v21, 0
	v_cmp_ne_u32_e32 vcc, 0, v5
	s_and_saveexec_b64 s[36:37], vcc
	s_cbranch_execz .LBB6_10486
; %bb.10479:                            ;   in Loop: Header=BB6_8948 Depth=3
	v_bfe_u32 v6, v5, 23, 8
	v_cmp_gt_u32_e64 s[28:29], s45, v6
	v_sub_u32_e32 v5, 0x71, v6
	v_cmp_eq_u32_e32 vcc, 0, v6
	v_cndmask_b32_e64 v5, 0, v5, s[28:29]
	v_mov_b32_e32 v21, 0x70
	v_cndmask_b32_e32 v21, v5, v21, vcc
	v_add_u32_e32 v5, 21, v21
	v_or_b32_e32 v32, 0x800000, v3
	v_lshlrev_b64 v[36:37], v5, -1
	v_cndmask_b32_e32 v3, v32, v3, vcc
	v_add_u32_e32 v5, 20, v21
	v_bfi_b32 v36, v36, 0, v3
	v_lshlrev_b64 v[38:39], v5, 1
	v_lshrrev_b64 v[3:4], v21, v[3:4]
	v_bfi_b32 v37, v37, 0, 0
	v_cmp_eq_u64_e64 s[28:29], v[36:37], v[38:39]
	v_mov_b32_e32 v5, v4
	v_mov_b32_e32 v4, v3
	s_and_saveexec_b64 s[38:39], s[28:29]
; %bb.10480:                            ;   in Loop: Header=BB6_8948 Depth=3
	v_bfe_u32 v4, v3, 21, 1
	v_add_co_u32_e64 v4, s[28:29], v3, v4
	v_add_co_u32_e64 v4, s[28:29], -1, v4
; %bb.10481:                            ;   in Loop: Header=BB6_8948 Depth=3
	s_or_b64 exec, exec, s[38:39]
	v_add_u32_e32 v5, 0xffffff81, v6
	v_mov_b32_e32 v6, 0xffffff82
	v_cndmask_b32_e32 v5, v5, v6, vcc
	v_lshrrev_b32_e32 v6, 23, v3
	v_add3_u32 v21, v21, v5, v6
	v_add_u32_e32 v6, 14, v21
	v_and_b32_e32 v4, 0x1fffff, v4
	v_add_u32_e32 v3, v4, v3
	v_mov_b32_e32 v4, v34
	v_cmp_ne_u32_e32 vcc, 0, v6
                                        ; implicit-def: $vgpr5
	s_and_saveexec_b64 s[28:29], vcc
	s_xor_b64 s[28:29], exec, s[28:29]
; %bb.10482:                            ;   in Loop: Header=BB6_8948 Depth=3
	v_cmp_lt_u64_e32 vcc, s[88:89], v[3:4]
	v_add_u32_e32 v5, 15, v21
	v_cndmask_b32_e32 v5, v6, v5, vcc
	v_cndmask_b32_e64 v6, 0, 1, vcc
	v_lshrrev_b64 v[3:4], v6, v[3:4]
; %bb.10483:                            ;   in Loop: Header=BB6_8948 Depth=3
	s_andn2_saveexec_b64 s[28:29], s[28:29]
; %bb.10484:                            ;   in Loop: Header=BB6_8948 Depth=3
	v_bfe_u32 v5, v3, 23, 1
; %bb.10485:                            ;   in Loop: Header=BB6_8948 Depth=3
	s_or_b64 exec, exec, s[28:29]
	v_lshrrev_b64 v[3:4], 21, v[3:4]
	v_cmp_gt_i32_e32 vcc, 32, v5
	v_cndmask_b32_e32 v4, 0, v4, vcc
	v_cndmask_b32_e32 v3, 3, v3, vcc
	v_cmp_eq_u64_e64 s[28:29], 0, v[3:4]
	v_min_i32_e32 v4, 31, v5
	v_lshlrev_b32_e32 v4, 2, v4
	v_cmp_eq_u32_e32 vcc, 0, v5
	v_and_b32_e32 v4, 0xfc, v4
	v_and_or_b32 v3, v3, 3, v4
	s_and_b64 s[28:29], vcc, s[28:29]
	v_cndmask_b32_e64 v3, v3, 0, s[28:29]
	v_or_b32_e32 v21, v3, v0
.LBB6_10486:                            ;   in Loop: Header=BB6_8948 Depth=3
	s_or_b64 exec, exec, s[36:37]
                                        ; implicit-def: $vgpr0
.LBB6_10487:                            ;   in Loop: Header=BB6_8948 Depth=3
	s_andn2_saveexec_b64 s[28:29], s[34:35]
; %bb.10488:                            ;   in Loop: Header=BB6_8948 Depth=3
	v_or_b32_e32 v21, 0x7b, v0
; %bb.10489:                            ;   in Loop: Header=BB6_8948 Depth=3
	s_or_b64 exec, exec, s[28:29]
                                        ; implicit-def: $vgpr5
                                        ; implicit-def: $vgpr3_vgpr4
.LBB6_10490:                            ;   in Loop: Header=BB6_8948 Depth=3
	s_andn2_saveexec_b64 s[28:29], s[30:31]
	s_cbranch_execz .LBB6_10496
; %bb.10491:                            ;   in Loop: Header=BB6_8948 Depth=3
	v_cmp_ne_u64_e32 vcc, 0, v[3:4]
                                        ; implicit-def: $vgpr21
	s_and_saveexec_b64 s[30:31], vcc
	s_xor_b64 vcc, exec, s[30:31]
; %bb.10492:                            ;   in Loop: Header=BB6_8948 Depth=3
	v_or_b32_sdwa v21, v5, s83 dst_sel:DWORD dst_unused:UNUSED_PAD src0_sel:BYTE_3 src1_sel:DWORD
                                        ; implicit-def: $vgpr5
; %bb.10493:                            ;   in Loop: Header=BB6_8948 Depth=3
	s_andn2_saveexec_b64 s[30:31], vcc
; %bb.10494:                            ;   in Loop: Header=BB6_8948 Depth=3
	v_cmp_lt_i32_e32 vcc, -1, v5
	v_bfrev_b32_e32 v0, 0.5
	v_mov_b32_e32 v3, 0x7c
	v_cndmask_b32_e32 v21, v0, v3, vcc
; %bb.10495:                            ;   in Loop: Header=BB6_8948 Depth=3
	s_or_b64 exec, exec, s[30:31]
.LBB6_10496:                            ;   in Loop: Header=BB6_8948 Depth=3
	s_or_b64 exec, exec, s[28:29]
	v_cmp_lt_u32_e32 vcc, s57, v22
	v_mov_b32_e32 v3, 0
	v_mov_b32_e32 v4, 0
	s_and_saveexec_b64 s[28:29], vcc
	s_cbranch_execz .LBB6_10504
; %bb.10497:                            ;   in Loop: Header=BB6_8948 Depth=3
	v_lshrrev_b32_e32 v0, 24, v22
	v_cmp_ne_u32_e32 vcc, s44, v0
	v_bfrev_b32_e32 v4, 1
	s_and_saveexec_b64 s[30:31], vcc
	s_cbranch_execz .LBB6_10503
; %bb.10498:                            ;   in Loop: Header=BB6_8948 Depth=3
	v_and_b32_e32 v4, 0x7c000000, v22
	v_bfe_u32 v5, v22, 24, 2
	v_cmp_ne_u32_e32 vcc, s8, v4
                                        ; implicit-def: $vgpr4
	s_and_saveexec_b64 s[34:35], vcc
	s_xor_b64 s[34:35], exec, s[34:35]
	s_cbranch_execz .LBB6_10500
; %bb.10499:                            ;   in Loop: Header=BB6_8948 Depth=3
	v_ffbh_u32_e32 v6, v5
	v_min_u32_e32 v6, 32, v6
	v_subrev_u32_e32 v32, 29, v6
	v_lshlrev_b64 v[36:37], v32, v[0:1]
	v_bfe_u32 v4, v22, 26, 5
	v_sub_u32_e32 v0, 30, v6
	v_and_b32_e32 v6, 3, v36
	v_cmp_eq_u32_e32 vcc, 0, v4
	v_cndmask_b32_e32 v0, v4, v0, vcc
	v_cndmask_b32_e32 v4, v5, v6, vcc
	v_and_b32_e32 v5, 0x80000000, v22
	v_lshl_add_u32 v0, v0, 23, v5
	v_lshl_or_b32 v0, v4, 21, v0
	v_add_u32_e32 v4, 0x38000000, v0
                                        ; implicit-def: $vgpr5
.LBB6_10500:                            ;   in Loop: Header=BB6_8948 Depth=3
	s_andn2_saveexec_b64 s[34:35], s[34:35]
; %bb.10501:                            ;   in Loop: Header=BB6_8948 Depth=3
	v_cmp_lt_i32_e32 vcc, -1, v22
	v_mov_b32_e32 v0, 0xff800000
	v_mov_b32_e32 v4, 0x7f800000
	v_cndmask_b32_e32 v0, v0, v4, vcc
	v_cmp_eq_u32_e32 vcc, 0, v5
	v_mov_b32_e32 v4, 0x7f800001
	v_cndmask_b32_e32 v4, v4, v0, vcc
; %bb.10502:                            ;   in Loop: Header=BB6_8948 Depth=3
	s_or_b64 exec, exec, s[34:35]
.LBB6_10503:                            ;   in Loop: Header=BB6_8948 Depth=3
	s_or_b64 exec, exec, s[30:31]
.LBB6_10504:                            ;   in Loop: Header=BB6_8948 Depth=3
	s_or_b64 exec, exec, s[28:29]
	v_cmp_lt_u32_e32 vcc, s57, v18
	s_and_saveexec_b64 s[28:29], vcc
	s_cbranch_execz .LBB6_10512
; %bb.10505:                            ;   in Loop: Header=BB6_8948 Depth=3
	v_lshrrev_b32_e32 v0, 24, v18
	v_cmp_ne_u32_e32 vcc, s44, v0
	v_bfrev_b32_e32 v3, 1
	s_and_saveexec_b64 s[30:31], vcc
	s_cbranch_execz .LBB6_10511
; %bb.10506:                            ;   in Loop: Header=BB6_8948 Depth=3
	v_and_b32_e32 v3, 0x7c000000, v18
	v_bfe_u32 v5, v18, 24, 2
	v_cmp_ne_u32_e32 vcc, s8, v3
                                        ; implicit-def: $vgpr3
	s_and_saveexec_b64 s[34:35], vcc
	s_xor_b64 s[34:35], exec, s[34:35]
	s_cbranch_execz .LBB6_10508
; %bb.10507:                            ;   in Loop: Header=BB6_8948 Depth=3
	v_ffbh_u32_e32 v6, v5
	v_min_u32_e32 v6, 32, v6
	v_subrev_u32_e32 v32, 29, v6
	v_lshlrev_b64 v[36:37], v32, v[0:1]
	v_bfe_u32 v3, v18, 26, 5
	v_sub_u32_e32 v0, 30, v6
	v_and_b32_e32 v6, 3, v36
	v_cmp_eq_u32_e32 vcc, 0, v3
	v_cndmask_b32_e32 v0, v3, v0, vcc
	v_cndmask_b32_e32 v3, v5, v6, vcc
	v_and_b32_e32 v5, 0x80000000, v18
	v_lshl_add_u32 v0, v0, 23, v5
	v_lshl_or_b32 v0, v3, 21, v0
	v_add_u32_e32 v3, 0x38000000, v0
                                        ; implicit-def: $vgpr5
.LBB6_10508:                            ;   in Loop: Header=BB6_8948 Depth=3
	s_andn2_saveexec_b64 s[34:35], s[34:35]
; %bb.10509:                            ;   in Loop: Header=BB6_8948 Depth=3
	v_cmp_lt_i32_e32 vcc, -1, v18
	v_mov_b32_e32 v0, 0xff800000
	v_mov_b32_e32 v3, 0x7f800000
	v_cndmask_b32_e32 v0, v0, v3, vcc
	v_cmp_eq_u32_e32 vcc, 0, v5
	v_mov_b32_e32 v3, 0x7f800001
	v_cndmask_b32_e32 v3, v3, v0, vcc
; %bb.10510:                            ;   in Loop: Header=BB6_8948 Depth=3
	s_or_b64 exec, exec, s[34:35]
.LBB6_10511:                            ;   in Loop: Header=BB6_8948 Depth=3
	s_or_b64 exec, exec, s[30:31]
.LBB6_10512:                            ;   in Loop: Header=BB6_8948 Depth=3
	s_or_b64 exec, exec, s[28:29]
	v_mul_f32_e32 v5, v4, v3
	v_and_b32_e32 v36, 0x7f800000, v5
	v_mov_b32_e32 v37, v34
	v_cmp_ne_u64_e32 vcc, s[76:77], v[36:37]
	v_and_b32_e32 v3, 0x7fffff, v5
	v_mov_b32_e32 v4, v34
                                        ; implicit-def: $vgpr44
	s_and_saveexec_b64 s[28:29], vcc
	s_xor_b64 s[30:31], exec, s[28:29]
	s_cbranch_execz .LBB6_10526
; %bb.10513:                            ;   in Loop: Header=BB6_8948 Depth=3
	v_and_b32_e32 v36, 0x7fffffff, v5
	v_mov_b32_e32 v37, v34
	v_cmp_gt_u64_e32 vcc, s[78:79], v[36:37]
	v_and_b32_sdwa v0, v5, s44 dst_sel:DWORD dst_unused:UNUSED_PAD src0_sel:BYTE_3 src1_sel:DWORD
                                        ; implicit-def: $vgpr44
	s_and_saveexec_b64 s[28:29], vcc
	s_xor_b64 s[34:35], exec, s[28:29]
	s_cbranch_execz .LBB6_10523
; %bb.10514:                            ;   in Loop: Header=BB6_8948 Depth=3
	v_mov_b32_e32 v44, 0
	v_cmp_ne_u32_e32 vcc, 0, v5
	s_and_saveexec_b64 s[36:37], vcc
	s_cbranch_execz .LBB6_10522
; %bb.10515:                            ;   in Loop: Header=BB6_8948 Depth=3
	v_bfe_u32 v6, v5, 23, 8
	v_cmp_gt_u32_e64 s[28:29], s45, v6
	v_sub_u32_e32 v5, 0x71, v6
	v_cmp_eq_u32_e32 vcc, 0, v6
	v_cndmask_b32_e64 v5, 0, v5, s[28:29]
	v_mov_b32_e32 v33, 0x70
	v_cndmask_b32_e32 v36, v5, v33, vcc
	v_add_u32_e32 v5, 21, v36
	v_or_b32_e32 v32, 0x800000, v3
	v_lshlrev_b64 v[37:38], v5, -1
	v_cndmask_b32_e32 v3, v32, v3, vcc
	v_add_u32_e32 v5, 20, v36
	v_bfi_b32 v37, v37, 0, v3
	v_lshlrev_b64 v[48:49], v5, 1
	v_lshrrev_b64 v[3:4], v36, v[3:4]
	v_bfi_b32 v38, v38, 0, 0
	v_cmp_eq_u64_e64 s[28:29], v[37:38], v[48:49]
	v_mov_b32_e32 v5, v4
	v_mov_b32_e32 v4, v3
	s_and_saveexec_b64 s[38:39], s[28:29]
; %bb.10516:                            ;   in Loop: Header=BB6_8948 Depth=3
	v_bfe_u32 v4, v3, 21, 1
	v_add_co_u32_e64 v4, s[28:29], v3, v4
	v_add_co_u32_e64 v4, s[28:29], -1, v4
; %bb.10517:                            ;   in Loop: Header=BB6_8948 Depth=3
	s_or_b64 exec, exec, s[38:39]
	v_add_u32_e32 v5, 0xffffff81, v6
	v_mov_b32_e32 v6, 0xffffff82
	v_cndmask_b32_e32 v5, v5, v6, vcc
	v_lshrrev_b32_e32 v6, 23, v3
	v_add3_u32 v36, v36, v5, v6
	v_add_u32_e32 v6, 14, v36
	v_and_b32_e32 v4, 0x1fffff, v4
	v_add_u32_e32 v3, v4, v3
	v_mov_b32_e32 v4, v34
	v_cmp_ne_u32_e32 vcc, 0, v6
                                        ; implicit-def: $vgpr5
	s_and_saveexec_b64 s[28:29], vcc
	s_xor_b64 s[28:29], exec, s[28:29]
; %bb.10518:                            ;   in Loop: Header=BB6_8948 Depth=3
	v_cmp_lt_u64_e32 vcc, s[88:89], v[3:4]
	v_add_u32_e32 v5, 15, v36
	v_cndmask_b32_e32 v5, v6, v5, vcc
	v_cndmask_b32_e64 v6, 0, 1, vcc
	v_lshrrev_b64 v[3:4], v6, v[3:4]
; %bb.10519:                            ;   in Loop: Header=BB6_8948 Depth=3
	s_andn2_saveexec_b64 s[28:29], s[28:29]
; %bb.10520:                            ;   in Loop: Header=BB6_8948 Depth=3
	v_bfe_u32 v5, v3, 23, 1
; %bb.10521:                            ;   in Loop: Header=BB6_8948 Depth=3
	s_or_b64 exec, exec, s[28:29]
	v_lshrrev_b64 v[3:4], 21, v[3:4]
	v_cmp_gt_i32_e32 vcc, 32, v5
	v_cndmask_b32_e32 v4, 0, v4, vcc
	v_cndmask_b32_e32 v3, 3, v3, vcc
	v_cmp_eq_u64_e64 s[28:29], 0, v[3:4]
	v_min_i32_e32 v4, 31, v5
	v_lshlrev_b32_e32 v4, 2, v4
	v_cmp_eq_u32_e32 vcc, 0, v5
	v_and_b32_e32 v4, 0xfc, v4
	v_and_or_b32 v3, v3, 3, v4
	s_and_b64 s[28:29], vcc, s[28:29]
	v_cndmask_b32_e64 v3, v3, 0, s[28:29]
	v_or_b32_e32 v44, v3, v0
.LBB6_10522:                            ;   in Loop: Header=BB6_8948 Depth=3
	s_or_b64 exec, exec, s[36:37]
                                        ; implicit-def: $vgpr0
.LBB6_10523:                            ;   in Loop: Header=BB6_8948 Depth=3
	s_andn2_saveexec_b64 s[28:29], s[34:35]
; %bb.10524:                            ;   in Loop: Header=BB6_8948 Depth=3
	v_or_b32_e32 v44, 0x7b, v0
; %bb.10525:                            ;   in Loop: Header=BB6_8948 Depth=3
	s_or_b64 exec, exec, s[28:29]
                                        ; implicit-def: $vgpr5
                                        ; implicit-def: $vgpr3_vgpr4
.LBB6_10526:                            ;   in Loop: Header=BB6_8948 Depth=3
	s_andn2_saveexec_b64 s[28:29], s[30:31]
	s_cbranch_execz .LBB6_10532
; %bb.10527:                            ;   in Loop: Header=BB6_8948 Depth=3
	v_cmp_ne_u64_e32 vcc, 0, v[3:4]
                                        ; implicit-def: $vgpr44
	s_and_saveexec_b64 s[30:31], vcc
	s_xor_b64 vcc, exec, s[30:31]
; %bb.10528:                            ;   in Loop: Header=BB6_8948 Depth=3
	v_or_b32_sdwa v44, v5, s83 dst_sel:DWORD dst_unused:UNUSED_PAD src0_sel:BYTE_3 src1_sel:DWORD
                                        ; implicit-def: $vgpr5
; %bb.10529:                            ;   in Loop: Header=BB6_8948 Depth=3
	s_andn2_saveexec_b64 s[30:31], vcc
; %bb.10530:                            ;   in Loop: Header=BB6_8948 Depth=3
	v_cmp_lt_i32_e32 vcc, -1, v5
	v_bfrev_b32_e32 v0, 0.5
	v_mov_b32_e32 v3, 0x7c
	v_cndmask_b32_e32 v44, v0, v3, vcc
; %bb.10531:                            ;   in Loop: Header=BB6_8948 Depth=3
	s_or_b64 exec, exec, s[30:31]
.LBB6_10532:                            ;   in Loop: Header=BB6_8948 Depth=3
	s_or_b64 exec, exec, s[28:29]
	v_mov_b32_e32 v3, v23
	v_mov_b32_e32 v4, v34
	v_cmp_ne_u16_sdwa vcc, v23, v34 src0_sel:BYTE_0 src1_sel:DWORD
	v_mov_b32_e32 v5, 0
	v_mov_b32_e32 v0, 0
	s_and_saveexec_b64 s[28:29], vcc
	s_cbranch_execz .LBB6_10540
; %bb.10533:                            ;   in Loop: Header=BB6_8948 Depth=3
	v_cmp_ne_u16_sdwa vcc, v23, s44 src0_sel:BYTE_0 src1_sel:DWORD
	v_bfrev_b32_e32 v0, 1
	s_and_saveexec_b64 s[30:31], vcc
	s_cbranch_execz .LBB6_10539
; %bb.10534:                            ;   in Loop: Header=BB6_8948 Depth=3
	v_and_b32_e32 v0, 0x7c, v23
	v_and_b32_e32 v6, 3, v23
	v_cmp_ne_u32_e32 vcc, s81, v0
                                        ; implicit-def: $vgpr0
	s_and_saveexec_b64 s[34:35], vcc
	s_xor_b64 s[34:35], exec, s[34:35]
	s_cbranch_execz .LBB6_10536
; %bb.10535:                            ;   in Loop: Header=BB6_8948 Depth=3
	v_ffbh_u32_e32 v32, v6
	v_min_u32_e32 v32, 32, v32
	v_subrev_u32_e32 v33, 29, v32
	v_lshlrev_b64 v[36:37], v33, v[3:4]
	v_bfe_u32 v0, v23, 2, 5
	v_sub_u32_e32 v4, 30, v32
	v_and_b32_e32 v32, 3, v36
	v_cmp_eq_u32_e32 vcc, 0, v0
	v_cndmask_b32_e32 v0, v0, v4, vcc
	v_cndmask_b32_e32 v4, v6, v32, vcc
	v_lshlrev_b32_e32 v6, 24, v23
	v_and_b32_e32 v6, 0x80000000, v6
	v_lshl_add_u32 v0, v0, 23, v6
	v_lshl_or_b32 v0, v4, 21, v0
	v_add_u32_e32 v0, 0x38000000, v0
                                        ; implicit-def: $vgpr6
.LBB6_10536:                            ;   in Loop: Header=BB6_8948 Depth=3
	s_andn2_saveexec_b64 s[34:35], s[34:35]
; %bb.10537:                            ;   in Loop: Header=BB6_8948 Depth=3
	v_mov_b32_e32 v0, -1
	v_cmp_gt_i16_sdwa vcc, sext(v23), v0 src0_sel:BYTE_0 src1_sel:DWORD
	v_mov_b32_e32 v0, 0xff800000
	v_mov_b32_e32 v4, 0x7f800000
	v_cndmask_b32_e32 v0, v0, v4, vcc
	v_cmp_eq_u32_e32 vcc, 0, v6
	v_mov_b32_e32 v4, 0x7f800001
	v_cndmask_b32_e32 v0, v4, v0, vcc
; %bb.10538:                            ;   in Loop: Header=BB6_8948 Depth=3
	s_or_b64 exec, exec, s[34:35]
.LBB6_10539:                            ;   in Loop: Header=BB6_8948 Depth=3
	s_or_b64 exec, exec, s[30:31]
.LBB6_10540:                            ;   in Loop: Header=BB6_8948 Depth=3
	s_or_b64 exec, exec, s[28:29]
	v_cmp_ne_u16_sdwa vcc, v19, v34 src0_sel:BYTE_0 src1_sel:DWORD
	s_and_saveexec_b64 s[28:29], vcc
	s_cbranch_execz .LBB6_10548
; %bb.10541:                            ;   in Loop: Header=BB6_8948 Depth=3
	v_cmp_ne_u16_sdwa vcc, v19, s44 src0_sel:BYTE_0 src1_sel:DWORD
	v_bfrev_b32_e32 v5, 1
	s_and_saveexec_b64 s[30:31], vcc
	s_cbranch_execz .LBB6_10547
; %bb.10542:                            ;   in Loop: Header=BB6_8948 Depth=3
	v_and_b32_e32 v5, 0x7c, v19
	v_and_b32_e32 v4, 3, v19
	v_cmp_ne_u32_e32 vcc, s81, v5
                                        ; implicit-def: $vgpr5
	s_and_saveexec_b64 s[34:35], vcc
	s_xor_b64 s[34:35], exec, s[34:35]
	s_cbranch_execz .LBB6_10544
; %bb.10543:                            ;   in Loop: Header=BB6_8948 Depth=3
	v_ffbh_u32_e32 v33, v4
	v_min_u32_e32 v33, 32, v33
	v_mov_b32_e32 v5, v19
	v_mov_b32_e32 v6, v34
	v_subrev_u32_e32 v36, 29, v33
	v_lshlrev_b64 v[5:6], v36, v[5:6]
	v_bfe_u32 v32, v19, 2, 5
	v_and_b32_e32 v5, 3, v5
	v_cmp_eq_u32_e32 vcc, 0, v32
	v_sub_u32_e32 v6, 30, v33
	v_cndmask_b32_e32 v4, v4, v5, vcc
	v_lshlrev_b32_e32 v5, 24, v19
	v_cndmask_b32_e32 v6, v32, v6, vcc
	v_and_b32_e32 v5, 0x80000000, v5
	v_lshl_add_u32 v5, v6, 23, v5
	v_lshl_or_b32 v4, v4, 21, v5
	v_add_u32_e32 v5, 0x38000000, v4
                                        ; implicit-def: $vgpr4
.LBB6_10544:                            ;   in Loop: Header=BB6_8948 Depth=3
	s_andn2_saveexec_b64 s[34:35], s[34:35]
; %bb.10545:                            ;   in Loop: Header=BB6_8948 Depth=3
	v_mov_b32_e32 v5, -1
	v_cmp_gt_i16_sdwa vcc, sext(v19), v5 src0_sel:BYTE_0 src1_sel:DWORD
	v_mov_b32_e32 v5, 0xff800000
	v_mov_b32_e32 v6, 0x7f800000
	v_cndmask_b32_e32 v5, v5, v6, vcc
	v_cmp_eq_u32_e32 vcc, 0, v4
	v_mov_b32_e32 v4, 0x7f800001
	v_cndmask_b32_e32 v5, v4, v5, vcc
; %bb.10546:                            ;   in Loop: Header=BB6_8948 Depth=3
	s_or_b64 exec, exec, s[34:35]
.LBB6_10547:                            ;   in Loop: Header=BB6_8948 Depth=3
	s_or_b64 exec, exec, s[30:31]
.LBB6_10548:                            ;   in Loop: Header=BB6_8948 Depth=3
	s_or_b64 exec, exec, s[28:29]
	v_mul_f32_e32 v6, v0, v5
	v_and_b32_e32 v36, 0x7f800000, v6
	v_mov_b32_e32 v37, v34
	v_cmp_ne_u64_e32 vcc, s[76:77], v[36:37]
	v_and_b32_e32 v4, 0x7fffff, v6
	v_mov_b32_e32 v5, v34
                                        ; implicit-def: $vgpr36
	s_and_saveexec_b64 s[28:29], vcc
	s_xor_b64 s[30:31], exec, s[28:29]
	s_cbranch_execz .LBB6_10562
; %bb.10549:                            ;   in Loop: Header=BB6_8948 Depth=3
	v_and_b32_e32 v36, 0x7fffffff, v6
	v_mov_b32_e32 v37, v34
	v_cmp_gt_u64_e32 vcc, s[78:79], v[36:37]
	v_and_b32_sdwa v0, v6, s44 dst_sel:DWORD dst_unused:UNUSED_PAD src0_sel:BYTE_3 src1_sel:DWORD
                                        ; implicit-def: $vgpr36
	s_and_saveexec_b64 s[28:29], vcc
	s_xor_b64 s[34:35], exec, s[28:29]
	s_cbranch_execz .LBB6_10559
; %bb.10550:                            ;   in Loop: Header=BB6_8948 Depth=3
	v_mov_b32_e32 v36, 0
	v_cmp_ne_u32_e32 vcc, 0, v6
	s_and_saveexec_b64 s[36:37], vcc
	s_cbranch_execz .LBB6_10558
; %bb.10551:                            ;   in Loop: Header=BB6_8948 Depth=3
	v_bfe_u32 v36, v6, 23, 8
	v_cmp_gt_u32_e64 s[28:29], s45, v36
	v_sub_u32_e32 v6, 0x71, v36
	v_cmp_eq_u32_e32 vcc, 0, v36
	v_cndmask_b32_e64 v6, 0, v6, s[28:29]
	v_mov_b32_e32 v33, 0x70
	v_cndmask_b32_e32 v37, v6, v33, vcc
	v_add_u32_e32 v6, 21, v37
	v_or_b32_e32 v32, 0x800000, v4
	v_lshlrev_b64 v[38:39], v6, -1
	v_cndmask_b32_e32 v4, v32, v4, vcc
	v_add_u32_e32 v6, 20, v37
	v_bfi_b32 v38, v38, 0, v4
	v_lshlrev_b64 v[48:49], v6, 1
	v_lshrrev_b64 v[4:5], v37, v[4:5]
	v_bfi_b32 v39, v39, 0, 0
	v_cmp_eq_u64_e64 s[28:29], v[38:39], v[48:49]
	v_mov_b32_e32 v6, v5
	v_mov_b32_e32 v5, v4
	s_and_saveexec_b64 s[38:39], s[28:29]
; %bb.10552:                            ;   in Loop: Header=BB6_8948 Depth=3
	v_bfe_u32 v5, v4, 21, 1
	v_add_co_u32_e64 v5, s[28:29], v4, v5
	v_add_co_u32_e64 v5, s[28:29], -1, v5
; %bb.10553:                            ;   in Loop: Header=BB6_8948 Depth=3
	s_or_b64 exec, exec, s[38:39]
	v_add_u32_e32 v6, 0xffffff81, v36
	v_mov_b32_e32 v32, 0xffffff82
	v_cndmask_b32_e32 v6, v6, v32, vcc
	v_lshrrev_b32_e32 v32, 23, v4
	v_add3_u32 v37, v37, v6, v32
	v_add_u32_e32 v36, 14, v37
	v_and_b32_e32 v5, 0x1fffff, v5
	v_add_u32_e32 v4, v5, v4
	v_mov_b32_e32 v5, v34
	v_cmp_ne_u32_e32 vcc, 0, v36
                                        ; implicit-def: $vgpr6
	s_and_saveexec_b64 s[28:29], vcc
	s_xor_b64 s[28:29], exec, s[28:29]
; %bb.10554:                            ;   in Loop: Header=BB6_8948 Depth=3
	v_cmp_lt_u64_e32 vcc, s[88:89], v[4:5]
	v_add_u32_e32 v6, 15, v37
	v_cndmask_b32_e64 v32, 0, 1, vcc
	v_lshrrev_b64 v[4:5], v32, v[4:5]
	v_cndmask_b32_e32 v6, v36, v6, vcc
; %bb.10555:                            ;   in Loop: Header=BB6_8948 Depth=3
	s_andn2_saveexec_b64 s[28:29], s[28:29]
; %bb.10556:                            ;   in Loop: Header=BB6_8948 Depth=3
	v_bfe_u32 v6, v4, 23, 1
; %bb.10557:                            ;   in Loop: Header=BB6_8948 Depth=3
	s_or_b64 exec, exec, s[28:29]
	v_lshrrev_b64 v[4:5], 21, v[4:5]
	v_cmp_gt_i32_e32 vcc, 32, v6
	v_cndmask_b32_e32 v5, 0, v5, vcc
	v_cndmask_b32_e32 v4, 3, v4, vcc
	v_cmp_eq_u64_e64 s[28:29], 0, v[4:5]
	v_min_i32_e32 v5, 31, v6
	v_lshlrev_b32_e32 v5, 2, v5
	v_cmp_eq_u32_e32 vcc, 0, v6
	v_and_b32_e32 v5, 0xfc, v5
	v_and_or_b32 v4, v4, 3, v5
	s_and_b64 s[28:29], vcc, s[28:29]
	v_cndmask_b32_e64 v4, v4, 0, s[28:29]
	v_or_b32_e32 v36, v4, v0
.LBB6_10558:                            ;   in Loop: Header=BB6_8948 Depth=3
	s_or_b64 exec, exec, s[36:37]
                                        ; implicit-def: $vgpr0
.LBB6_10559:                            ;   in Loop: Header=BB6_8948 Depth=3
	s_andn2_saveexec_b64 s[28:29], s[34:35]
; %bb.10560:                            ;   in Loop: Header=BB6_8948 Depth=3
	v_or_b32_e32 v36, 0x7b, v0
; %bb.10561:                            ;   in Loop: Header=BB6_8948 Depth=3
	s_or_b64 exec, exec, s[28:29]
                                        ; implicit-def: $vgpr6
                                        ; implicit-def: $vgpr4_vgpr5
.LBB6_10562:                            ;   in Loop: Header=BB6_8948 Depth=3
	s_andn2_saveexec_b64 s[28:29], s[30:31]
	s_cbranch_execz .LBB6_10568
; %bb.10563:                            ;   in Loop: Header=BB6_8948 Depth=3
	v_cmp_ne_u64_e32 vcc, 0, v[4:5]
                                        ; implicit-def: $vgpr36
	s_and_saveexec_b64 s[30:31], vcc
	s_xor_b64 vcc, exec, s[30:31]
; %bb.10564:                            ;   in Loop: Header=BB6_8948 Depth=3
	v_or_b32_sdwa v36, v6, s83 dst_sel:DWORD dst_unused:UNUSED_PAD src0_sel:BYTE_3 src1_sel:DWORD
                                        ; implicit-def: $vgpr6
; %bb.10565:                            ;   in Loop: Header=BB6_8948 Depth=3
	s_andn2_saveexec_b64 s[30:31], vcc
; %bb.10566:                            ;   in Loop: Header=BB6_8948 Depth=3
	v_cmp_lt_i32_e32 vcc, -1, v6
	v_bfrev_b32_e32 v0, 0.5
	v_mov_b32_e32 v4, 0x7c
	v_cndmask_b32_e32 v36, v0, v4, vcc
; %bb.10567:                            ;   in Loop: Header=BB6_8948 Depth=3
	s_or_b64 exec, exec, s[30:31]
.LBB6_10568:                            ;   in Loop: Header=BB6_8948 Depth=3
	s_or_b64 exec, exec, s[28:29]
	v_lshrrev_b16_e32 v4, 8, v3
	v_cmp_ne_u16_e32 vcc, 0, v4
	v_mov_b32_e32 v0, 0
	v_mov_b32_e32 v5, 0
	s_and_saveexec_b64 s[28:29], vcc
	s_cbranch_execz .LBB6_10576
; %bb.10569:                            ;   in Loop: Header=BB6_8948 Depth=3
	v_cmp_ne_u16_e32 vcc, s44, v4
	v_bfrev_b32_e32 v5, 1
	s_and_saveexec_b64 s[30:31], vcc
	s_cbranch_execz .LBB6_10575
; %bb.10570:                            ;   in Loop: Header=BB6_8948 Depth=3
	v_and_b32_e32 v5, 0x7c, v4
	v_and_b32_e32 v6, 3, v4
	v_cmp_ne_u32_e32 vcc, s81, v5
                                        ; implicit-def: $vgpr5
	s_and_saveexec_b64 s[34:35], vcc
	s_xor_b64 s[34:35], exec, s[34:35]
	s_cbranch_execz .LBB6_10572
; %bb.10571:                            ;   in Loop: Header=BB6_8948 Depth=3
	v_ffbh_u32_e32 v33, v6
	v_min_u32_e32 v33, 32, v33
	v_mov_b32_e32 v5, v34
	v_subrev_u32_e32 v37, 29, v33
	v_bfe_u32 v32, v4, 2, 5
	v_lshlrev_b64 v[4:5], v37, v[4:5]
	v_sub_u32_e32 v5, 30, v33
	v_cmp_eq_u32_e32 vcc, 0, v32
	v_lshlrev_b32_e32 v3, 16, v3
	v_and_b32_e32 v4, 3, v4
	v_cndmask_b32_e32 v5, v32, v5, vcc
	v_and_b32_e32 v3, 0x80000000, v3
	v_cndmask_b32_e32 v4, v6, v4, vcc
	v_lshl_add_u32 v3, v5, 23, v3
	v_lshl_or_b32 v3, v4, 21, v3
	v_add_u32_e32 v5, 0x38000000, v3
                                        ; implicit-def: $vgpr6
                                        ; implicit-def: $vgpr3_vgpr4
.LBB6_10572:                            ;   in Loop: Header=BB6_8948 Depth=3
	s_andn2_saveexec_b64 s[34:35], s[34:35]
; %bb.10573:                            ;   in Loop: Header=BB6_8948 Depth=3
	v_cmp_lt_i16_e32 vcc, -1, v3
	v_mov_b32_e32 v3, 0xff800000
	v_mov_b32_e32 v4, 0x7f800000
	v_cndmask_b32_e32 v3, v3, v4, vcc
	v_cmp_eq_u32_e32 vcc, 0, v6
	v_mov_b32_e32 v4, 0x7f800001
	v_cndmask_b32_e32 v5, v4, v3, vcc
; %bb.10574:                            ;   in Loop: Header=BB6_8948 Depth=3
	s_or_b64 exec, exec, s[34:35]
.LBB6_10575:                            ;   in Loop: Header=BB6_8948 Depth=3
	s_or_b64 exec, exec, s[30:31]
.LBB6_10576:                            ;   in Loop: Header=BB6_8948 Depth=3
	s_or_b64 exec, exec, s[28:29]
	v_lshrrev_b16_e32 v3, 8, v19
	v_cmp_ne_u16_e32 vcc, 0, v3
	s_and_saveexec_b64 s[28:29], vcc
	s_cbranch_execz .LBB6_10584
; %bb.10577:                            ;   in Loop: Header=BB6_8948 Depth=3
	v_cmp_ne_u16_e32 vcc, s44, v3
	v_bfrev_b32_e32 v0, 1
	s_and_saveexec_b64 s[30:31], vcc
	s_cbranch_execz .LBB6_10583
; %bb.10578:                            ;   in Loop: Header=BB6_8948 Depth=3
	v_and_b32_e32 v0, 0x7c, v3
	v_and_b32_e32 v6, 3, v3
	v_cmp_ne_u32_e32 vcc, s81, v0
                                        ; implicit-def: $vgpr0
	s_and_saveexec_b64 s[34:35], vcc
	s_xor_b64 s[34:35], exec, s[34:35]
	s_cbranch_execz .LBB6_10580
; %bb.10579:                            ;   in Loop: Header=BB6_8948 Depth=3
	v_ffbh_u32_e32 v32, v6
	v_min_u32_e32 v32, 32, v32
	v_mov_b32_e32 v4, v34
	v_subrev_u32_e32 v33, 29, v32
	v_bfe_u32 v0, v3, 2, 5
	v_lshlrev_b64 v[3:4], v33, v[3:4]
	v_sub_u32_e32 v4, 30, v32
	v_cmp_eq_u32_e32 vcc, 0, v0
	v_cndmask_b32_e32 v0, v0, v4, vcc
	v_lshlrev_b32_e32 v4, 16, v19
	v_and_b32_e32 v3, 3, v3
	v_and_b32_e32 v4, 0x80000000, v4
	v_cndmask_b32_e32 v3, v6, v3, vcc
	v_lshl_add_u32 v0, v0, 23, v4
	v_lshl_or_b32 v0, v3, 21, v0
	v_add_u32_e32 v0, 0x38000000, v0
                                        ; implicit-def: $vgpr6
.LBB6_10580:                            ;   in Loop: Header=BB6_8948 Depth=3
	s_andn2_saveexec_b64 s[34:35], s[34:35]
; %bb.10581:                            ;   in Loop: Header=BB6_8948 Depth=3
	v_cmp_lt_i16_e32 vcc, -1, v19
	v_mov_b32_e32 v0, 0xff800000
	v_mov_b32_e32 v3, 0x7f800000
	v_cndmask_b32_e32 v0, v0, v3, vcc
	v_cmp_eq_u32_e32 vcc, 0, v6
	v_mov_b32_e32 v3, 0x7f800001
	v_cndmask_b32_e32 v0, v3, v0, vcc
; %bb.10582:                            ;   in Loop: Header=BB6_8948 Depth=3
	s_or_b64 exec, exec, s[34:35]
.LBB6_10583:                            ;   in Loop: Header=BB6_8948 Depth=3
	s_or_b64 exec, exec, s[30:31]
.LBB6_10584:                            ;   in Loop: Header=BB6_8948 Depth=3
	s_or_b64 exec, exec, s[28:29]
	v_mul_f32_e32 v5, v5, v0
	v_and_b32_e32 v37, 0x7f800000, v5
	v_mov_b32_e32 v38, v34
	v_cmp_ne_u64_e32 vcc, s[76:77], v[37:38]
	v_and_b32_e32 v3, 0x7fffff, v5
	v_mov_b32_e32 v4, v34
                                        ; implicit-def: $vgpr37
	s_and_saveexec_b64 s[28:29], vcc
	s_xor_b64 s[30:31], exec, s[28:29]
	s_cbranch_execz .LBB6_10598
; %bb.10585:                            ;   in Loop: Header=BB6_8948 Depth=3
	v_and_b32_e32 v37, 0x7fffffff, v5
	v_mov_b32_e32 v38, v34
	v_cmp_gt_u64_e32 vcc, s[78:79], v[37:38]
	v_and_b32_sdwa v0, v5, s44 dst_sel:DWORD dst_unused:UNUSED_PAD src0_sel:BYTE_3 src1_sel:DWORD
                                        ; implicit-def: $vgpr37
	s_and_saveexec_b64 s[28:29], vcc
	s_xor_b64 s[34:35], exec, s[28:29]
	s_cbranch_execz .LBB6_10595
; %bb.10586:                            ;   in Loop: Header=BB6_8948 Depth=3
	v_mov_b32_e32 v37, 0
	v_cmp_ne_u32_e32 vcc, 0, v5
	s_and_saveexec_b64 s[36:37], vcc
	s_cbranch_execz .LBB6_10594
; %bb.10587:                            ;   in Loop: Header=BB6_8948 Depth=3
	v_bfe_u32 v6, v5, 23, 8
	v_cmp_gt_u32_e64 s[28:29], s45, v6
	v_sub_u32_e32 v5, 0x71, v6
	v_cmp_eq_u32_e32 vcc, 0, v6
	v_cndmask_b32_e64 v5, 0, v5, s[28:29]
	v_mov_b32_e32 v33, 0x70
	v_cndmask_b32_e32 v37, v5, v33, vcc
	v_add_u32_e32 v5, 21, v37
	v_or_b32_e32 v32, 0x800000, v3
	v_lshlrev_b64 v[38:39], v5, -1
	v_cndmask_b32_e32 v3, v32, v3, vcc
	v_add_u32_e32 v5, 20, v37
	v_bfi_b32 v38, v38, 0, v3
	v_lshlrev_b64 v[48:49], v5, 1
	v_lshrrev_b64 v[3:4], v37, v[3:4]
	v_bfi_b32 v39, v39, 0, 0
	v_cmp_eq_u64_e64 s[28:29], v[38:39], v[48:49]
	v_mov_b32_e32 v5, v4
	v_mov_b32_e32 v4, v3
	s_and_saveexec_b64 s[38:39], s[28:29]
; %bb.10588:                            ;   in Loop: Header=BB6_8948 Depth=3
	v_bfe_u32 v4, v3, 21, 1
	v_add_co_u32_e64 v4, s[28:29], v3, v4
	v_add_co_u32_e64 v4, s[28:29], -1, v4
; %bb.10589:                            ;   in Loop: Header=BB6_8948 Depth=3
	s_or_b64 exec, exec, s[38:39]
	v_add_u32_e32 v5, 0xffffff81, v6
	v_mov_b32_e32 v6, 0xffffff82
	v_cndmask_b32_e32 v5, v5, v6, vcc
	v_lshrrev_b32_e32 v6, 23, v3
	v_add3_u32 v37, v37, v5, v6
	v_add_u32_e32 v6, 14, v37
	v_and_b32_e32 v4, 0x1fffff, v4
	v_add_u32_e32 v3, v4, v3
	v_mov_b32_e32 v4, v34
	v_cmp_ne_u32_e32 vcc, 0, v6
                                        ; implicit-def: $vgpr5
	s_and_saveexec_b64 s[28:29], vcc
	s_xor_b64 s[28:29], exec, s[28:29]
; %bb.10590:                            ;   in Loop: Header=BB6_8948 Depth=3
	v_cmp_lt_u64_e32 vcc, s[88:89], v[3:4]
	v_add_u32_e32 v5, 15, v37
	v_cndmask_b32_e32 v5, v6, v5, vcc
	v_cndmask_b32_e64 v6, 0, 1, vcc
	v_lshrrev_b64 v[3:4], v6, v[3:4]
; %bb.10591:                            ;   in Loop: Header=BB6_8948 Depth=3
	s_andn2_saveexec_b64 s[28:29], s[28:29]
; %bb.10592:                            ;   in Loop: Header=BB6_8948 Depth=3
	v_bfe_u32 v5, v3, 23, 1
; %bb.10593:                            ;   in Loop: Header=BB6_8948 Depth=3
	s_or_b64 exec, exec, s[28:29]
	v_lshrrev_b64 v[3:4], 21, v[3:4]
	v_cmp_gt_i32_e32 vcc, 32, v5
	v_cndmask_b32_e32 v4, 0, v4, vcc
	v_cndmask_b32_e32 v3, 3, v3, vcc
	v_cmp_eq_u64_e64 s[28:29], 0, v[3:4]
	v_min_i32_e32 v4, 31, v5
	v_lshlrev_b32_e32 v4, 2, v4
	v_cmp_eq_u32_e32 vcc, 0, v5
	v_and_b32_e32 v4, 0xfc, v4
	v_and_or_b32 v3, v3, 3, v4
	s_and_b64 s[28:29], vcc, s[28:29]
	v_cndmask_b32_e64 v3, v3, 0, s[28:29]
	v_or_b32_e32 v37, v3, v0
.LBB6_10594:                            ;   in Loop: Header=BB6_8948 Depth=3
	s_or_b64 exec, exec, s[36:37]
                                        ; implicit-def: $vgpr0
.LBB6_10595:                            ;   in Loop: Header=BB6_8948 Depth=3
	s_andn2_saveexec_b64 s[28:29], s[34:35]
; %bb.10596:                            ;   in Loop: Header=BB6_8948 Depth=3
	v_or_b32_e32 v37, 0x7b, v0
; %bb.10597:                            ;   in Loop: Header=BB6_8948 Depth=3
	s_or_b64 exec, exec, s[28:29]
                                        ; implicit-def: $vgpr5
                                        ; implicit-def: $vgpr3_vgpr4
.LBB6_10598:                            ;   in Loop: Header=BB6_8948 Depth=3
	s_andn2_saveexec_b64 s[28:29], s[30:31]
	s_cbranch_execz .LBB6_10604
; %bb.10599:                            ;   in Loop: Header=BB6_8948 Depth=3
	v_cmp_ne_u64_e32 vcc, 0, v[3:4]
                                        ; implicit-def: $vgpr37
	s_and_saveexec_b64 s[30:31], vcc
	s_xor_b64 vcc, exec, s[30:31]
; %bb.10600:                            ;   in Loop: Header=BB6_8948 Depth=3
	v_or_b32_sdwa v37, v5, s83 dst_sel:DWORD dst_unused:UNUSED_PAD src0_sel:BYTE_3 src1_sel:DWORD
                                        ; implicit-def: $vgpr5
; %bb.10601:                            ;   in Loop: Header=BB6_8948 Depth=3
	s_andn2_saveexec_b64 s[30:31], vcc
; %bb.10602:                            ;   in Loop: Header=BB6_8948 Depth=3
	v_cmp_lt_i32_e32 vcc, -1, v5
	v_bfrev_b32_e32 v0, 0.5
	v_mov_b32_e32 v3, 0x7c
	v_cndmask_b32_e32 v37, v0, v3, vcc
; %bb.10603:                            ;   in Loop: Header=BB6_8948 Depth=3
	s_or_b64 exec, exec, s[30:31]
.LBB6_10604:                            ;   in Loop: Header=BB6_8948 Depth=3
	s_or_b64 exec, exec, s[28:29]
	v_lshrrev_b32_e32 v0, 16, v23
	v_cmp_ne_u16_sdwa vcc, v0, v34 src0_sel:BYTE_0 src1_sel:DWORD
	v_mov_b32_e32 v3, 0
	v_mov_b32_e32 v4, 0
	s_and_saveexec_b64 s[28:29], vcc
	s_cbranch_execz .LBB6_10612
; %bb.10605:                            ;   in Loop: Header=BB6_8948 Depth=3
	v_cmp_ne_u16_sdwa vcc, v0, s44 src0_sel:BYTE_0 src1_sel:DWORD
	v_bfrev_b32_e32 v4, 1
	s_and_saveexec_b64 s[30:31], vcc
	s_cbranch_execz .LBB6_10611
; %bb.10606:                            ;   in Loop: Header=BB6_8948 Depth=3
	v_and_b32_e32 v4, 0x7c0000, v23
	v_bfe_u32 v5, v23, 16, 2
	v_cmp_ne_u32_e32 vcc, s9, v4
                                        ; implicit-def: $vgpr4
	s_and_saveexec_b64 s[34:35], vcc
	s_xor_b64 s[34:35], exec, s[34:35]
	s_cbranch_execz .LBB6_10608
; %bb.10607:                            ;   in Loop: Header=BB6_8948 Depth=3
	v_ffbh_u32_e32 v6, v5
	v_min_u32_e32 v6, 32, v6
	v_subrev_u32_e32 v32, 29, v6
	v_lshlrev_b64 v[38:39], v32, v[0:1]
	v_bfe_u32 v4, v23, 18, 5
	v_sub_u32_e32 v0, 30, v6
	v_and_b32_e32 v6, 3, v38
	v_cmp_eq_u32_e32 vcc, 0, v4
	v_cndmask_b32_e32 v0, v4, v0, vcc
	v_cndmask_b32_e32 v4, v5, v6, vcc
	v_lshlrev_b32_e32 v5, 8, v23
	v_and_b32_e32 v5, 0x80000000, v5
	v_lshl_add_u32 v0, v0, 23, v5
	v_lshl_or_b32 v0, v4, 21, v0
	v_add_u32_e32 v4, 0x38000000, v0
                                        ; implicit-def: $vgpr5
                                        ; implicit-def: $vgpr0
.LBB6_10608:                            ;   in Loop: Header=BB6_8948 Depth=3
	s_andn2_saveexec_b64 s[34:35], s[34:35]
; %bb.10609:                            ;   in Loop: Header=BB6_8948 Depth=3
	v_mov_b32_e32 v4, -1
	v_cmp_gt_i16_sdwa vcc, sext(v0), v4 src0_sel:BYTE_0 src1_sel:DWORD
	v_mov_b32_e32 v0, 0xff800000
	v_mov_b32_e32 v4, 0x7f800000
	v_cndmask_b32_e32 v0, v0, v4, vcc
	v_cmp_eq_u32_e32 vcc, 0, v5
	v_mov_b32_e32 v4, 0x7f800001
	v_cndmask_b32_e32 v4, v4, v0, vcc
; %bb.10610:                            ;   in Loop: Header=BB6_8948 Depth=3
	s_or_b64 exec, exec, s[34:35]
.LBB6_10611:                            ;   in Loop: Header=BB6_8948 Depth=3
	s_or_b64 exec, exec, s[30:31]
.LBB6_10612:                            ;   in Loop: Header=BB6_8948 Depth=3
	s_or_b64 exec, exec, s[28:29]
	v_lshrrev_b32_e32 v0, 16, v19
	v_cmp_ne_u16_sdwa vcc, v0, v34 src0_sel:BYTE_0 src1_sel:DWORD
	s_and_saveexec_b64 s[28:29], vcc
	s_cbranch_execz .LBB6_10620
; %bb.10613:                            ;   in Loop: Header=BB6_8948 Depth=3
	v_cmp_ne_u16_sdwa vcc, v0, s44 src0_sel:BYTE_0 src1_sel:DWORD
	v_bfrev_b32_e32 v3, 1
	s_and_saveexec_b64 s[30:31], vcc
	s_cbranch_execz .LBB6_10619
; %bb.10614:                            ;   in Loop: Header=BB6_8948 Depth=3
	v_and_b32_e32 v3, 0x7c0000, v19
	v_bfe_u32 v5, v19, 16, 2
	v_cmp_ne_u32_e32 vcc, s9, v3
                                        ; implicit-def: $vgpr3
	s_and_saveexec_b64 s[34:35], vcc
	s_xor_b64 s[34:35], exec, s[34:35]
	s_cbranch_execz .LBB6_10616
; %bb.10615:                            ;   in Loop: Header=BB6_8948 Depth=3
	v_ffbh_u32_e32 v6, v5
	v_min_u32_e32 v6, 32, v6
	v_subrev_u32_e32 v32, 29, v6
	v_lshlrev_b64 v[38:39], v32, v[0:1]
	v_bfe_u32 v3, v19, 18, 5
	v_sub_u32_e32 v0, 30, v6
	v_and_b32_e32 v6, 3, v38
	v_cmp_eq_u32_e32 vcc, 0, v3
	v_cndmask_b32_e32 v0, v3, v0, vcc
	v_cndmask_b32_e32 v3, v5, v6, vcc
	v_lshlrev_b32_e32 v5, 8, v19
	v_and_b32_e32 v5, 0x80000000, v5
	v_lshl_add_u32 v0, v0, 23, v5
	v_lshl_or_b32 v0, v3, 21, v0
	v_add_u32_e32 v3, 0x38000000, v0
                                        ; implicit-def: $vgpr5
                                        ; implicit-def: $vgpr0
.LBB6_10616:                            ;   in Loop: Header=BB6_8948 Depth=3
	s_andn2_saveexec_b64 s[34:35], s[34:35]
; %bb.10617:                            ;   in Loop: Header=BB6_8948 Depth=3
	v_mov_b32_e32 v3, -1
	v_cmp_gt_i16_sdwa vcc, sext(v0), v3 src0_sel:BYTE_0 src1_sel:DWORD
	v_mov_b32_e32 v0, 0xff800000
	v_mov_b32_e32 v3, 0x7f800000
	v_cndmask_b32_e32 v0, v0, v3, vcc
	v_cmp_eq_u32_e32 vcc, 0, v5
	v_mov_b32_e32 v3, 0x7f800001
	v_cndmask_b32_e32 v3, v3, v0, vcc
; %bb.10618:                            ;   in Loop: Header=BB6_8948 Depth=3
	s_or_b64 exec, exec, s[34:35]
.LBB6_10619:                            ;   in Loop: Header=BB6_8948 Depth=3
	s_or_b64 exec, exec, s[30:31]
.LBB6_10620:                            ;   in Loop: Header=BB6_8948 Depth=3
	s_or_b64 exec, exec, s[28:29]
	v_mul_f32_e32 v5, v4, v3
	v_and_b32_e32 v38, 0x7f800000, v5
	v_mov_b32_e32 v39, v34
	v_cmp_ne_u64_e32 vcc, s[76:77], v[38:39]
	v_and_b32_e32 v3, 0x7fffff, v5
	v_mov_b32_e32 v4, v34
                                        ; implicit-def: $vgpr48
	s_and_saveexec_b64 s[28:29], vcc
	s_xor_b64 s[30:31], exec, s[28:29]
	s_cbranch_execz .LBB6_10634
; %bb.10621:                            ;   in Loop: Header=BB6_8948 Depth=3
	v_and_b32_e32 v38, 0x7fffffff, v5
	v_mov_b32_e32 v39, v34
	v_cmp_gt_u64_e32 vcc, s[78:79], v[38:39]
	v_and_b32_sdwa v0, v5, s44 dst_sel:DWORD dst_unused:UNUSED_PAD src0_sel:BYTE_3 src1_sel:DWORD
                                        ; implicit-def: $vgpr48
	s_and_saveexec_b64 s[28:29], vcc
	s_xor_b64 s[34:35], exec, s[28:29]
	s_cbranch_execz .LBB6_10631
; %bb.10622:                            ;   in Loop: Header=BB6_8948 Depth=3
	v_mov_b32_e32 v48, 0
	v_cmp_ne_u32_e32 vcc, 0, v5
	s_and_saveexec_b64 s[36:37], vcc
	s_cbranch_execz .LBB6_10630
; %bb.10623:                            ;   in Loop: Header=BB6_8948 Depth=3
	v_bfe_u32 v6, v5, 23, 8
	v_cmp_gt_u32_e64 s[28:29], s45, v6
	v_sub_u32_e32 v5, 0x71, v6
	v_cmp_eq_u32_e32 vcc, 0, v6
	v_cndmask_b32_e64 v5, 0, v5, s[28:29]
	v_mov_b32_e32 v33, 0x70
	v_cndmask_b32_e32 v38, v5, v33, vcc
	v_add_u32_e32 v5, 21, v38
	v_or_b32_e32 v32, 0x800000, v3
	v_lshlrev_b64 v[48:49], v5, -1
	v_cndmask_b32_e32 v3, v32, v3, vcc
	v_add_u32_e32 v5, 20, v38
	v_bfi_b32 v48, v48, 0, v3
	v_lshlrev_b64 v[45:46], v5, 1
	v_lshrrev_b64 v[3:4], v38, v[3:4]
	v_bfi_b32 v49, v49, 0, 0
	v_cmp_eq_u64_e64 s[28:29], v[48:49], v[45:46]
	v_mov_b32_e32 v5, v4
	v_mov_b32_e32 v4, v3
	s_and_saveexec_b64 s[38:39], s[28:29]
; %bb.10624:                            ;   in Loop: Header=BB6_8948 Depth=3
	v_bfe_u32 v4, v3, 21, 1
	v_add_co_u32_e64 v4, s[28:29], v3, v4
	v_add_co_u32_e64 v4, s[28:29], -1, v4
; %bb.10625:                            ;   in Loop: Header=BB6_8948 Depth=3
	s_or_b64 exec, exec, s[38:39]
	v_add_u32_e32 v5, 0xffffff81, v6
	v_mov_b32_e32 v6, 0xffffff82
	v_cndmask_b32_e32 v5, v5, v6, vcc
	v_lshrrev_b32_e32 v6, 23, v3
	v_add3_u32 v38, v38, v5, v6
	v_add_u32_e32 v6, 14, v38
	v_and_b32_e32 v4, 0x1fffff, v4
	v_add_u32_e32 v3, v4, v3
	v_mov_b32_e32 v4, v34
	v_cmp_ne_u32_e32 vcc, 0, v6
                                        ; implicit-def: $vgpr5
	s_and_saveexec_b64 s[28:29], vcc
	s_xor_b64 s[28:29], exec, s[28:29]
; %bb.10626:                            ;   in Loop: Header=BB6_8948 Depth=3
	v_cmp_lt_u64_e32 vcc, s[88:89], v[3:4]
	v_add_u32_e32 v5, 15, v38
	v_cndmask_b32_e32 v5, v6, v5, vcc
	v_cndmask_b32_e64 v6, 0, 1, vcc
	v_lshrrev_b64 v[3:4], v6, v[3:4]
; %bb.10627:                            ;   in Loop: Header=BB6_8948 Depth=3
	s_andn2_saveexec_b64 s[28:29], s[28:29]
; %bb.10628:                            ;   in Loop: Header=BB6_8948 Depth=3
	v_bfe_u32 v5, v3, 23, 1
; %bb.10629:                            ;   in Loop: Header=BB6_8948 Depth=3
	s_or_b64 exec, exec, s[28:29]
	v_lshrrev_b64 v[3:4], 21, v[3:4]
	v_cmp_gt_i32_e32 vcc, 32, v5
	v_cndmask_b32_e32 v4, 0, v4, vcc
	v_cndmask_b32_e32 v3, 3, v3, vcc
	v_cmp_eq_u64_e64 s[28:29], 0, v[3:4]
	v_min_i32_e32 v4, 31, v5
	v_lshlrev_b32_e32 v4, 2, v4
	v_cmp_eq_u32_e32 vcc, 0, v5
	v_and_b32_e32 v4, 0xfc, v4
	v_and_or_b32 v3, v3, 3, v4
	s_and_b64 s[28:29], vcc, s[28:29]
	v_cndmask_b32_e64 v3, v3, 0, s[28:29]
	v_or_b32_e32 v48, v3, v0
.LBB6_10630:                            ;   in Loop: Header=BB6_8948 Depth=3
	s_or_b64 exec, exec, s[36:37]
                                        ; implicit-def: $vgpr0
.LBB6_10631:                            ;   in Loop: Header=BB6_8948 Depth=3
	s_andn2_saveexec_b64 s[28:29], s[34:35]
; %bb.10632:                            ;   in Loop: Header=BB6_8948 Depth=3
	v_or_b32_e32 v48, 0x7b, v0
; %bb.10633:                            ;   in Loop: Header=BB6_8948 Depth=3
	s_or_b64 exec, exec, s[28:29]
                                        ; implicit-def: $vgpr5
                                        ; implicit-def: $vgpr3_vgpr4
.LBB6_10634:                            ;   in Loop: Header=BB6_8948 Depth=3
	s_andn2_saveexec_b64 s[28:29], s[30:31]
	s_cbranch_execz .LBB6_10640
; %bb.10635:                            ;   in Loop: Header=BB6_8948 Depth=3
	v_cmp_ne_u64_e32 vcc, 0, v[3:4]
                                        ; implicit-def: $vgpr48
	s_and_saveexec_b64 s[30:31], vcc
	s_xor_b64 vcc, exec, s[30:31]
; %bb.10636:                            ;   in Loop: Header=BB6_8948 Depth=3
	v_or_b32_sdwa v48, v5, s83 dst_sel:DWORD dst_unused:UNUSED_PAD src0_sel:BYTE_3 src1_sel:DWORD
                                        ; implicit-def: $vgpr5
; %bb.10637:                            ;   in Loop: Header=BB6_8948 Depth=3
	s_andn2_saveexec_b64 s[30:31], vcc
; %bb.10638:                            ;   in Loop: Header=BB6_8948 Depth=3
	v_cmp_lt_i32_e32 vcc, -1, v5
	v_bfrev_b32_e32 v0, 0.5
	v_mov_b32_e32 v3, 0x7c
	v_cndmask_b32_e32 v48, v0, v3, vcc
; %bb.10639:                            ;   in Loop: Header=BB6_8948 Depth=3
	s_or_b64 exec, exec, s[30:31]
.LBB6_10640:                            ;   in Loop: Header=BB6_8948 Depth=3
	s_or_b64 exec, exec, s[28:29]
	v_cmp_lt_u64_e32 vcc, s[56:57], v[22:23]
	v_mov_b32_e32 v3, 0
	v_mov_b32_e32 v4, 0
	s_and_saveexec_b64 s[28:29], vcc
	s_cbranch_execz .LBB6_10648
; %bb.10641:                            ;   in Loop: Header=BB6_8948 Depth=3
	v_lshrrev_b32_e32 v0, 24, v23
	v_cmp_ne_u32_e32 vcc, s44, v0
	v_bfrev_b32_e32 v4, 1
	s_and_saveexec_b64 s[30:31], vcc
	s_cbranch_execz .LBB6_10647
; %bb.10642:                            ;   in Loop: Header=BB6_8948 Depth=3
	v_and_b32_e32 v4, 0x7c000000, v23
	v_bfe_u32 v5, v23, 24, 2
	v_cmp_ne_u32_e32 vcc, s8, v4
                                        ; implicit-def: $vgpr4
	s_and_saveexec_b64 s[34:35], vcc
	s_xor_b64 s[34:35], exec, s[34:35]
	s_cbranch_execz .LBB6_10644
; %bb.10643:                            ;   in Loop: Header=BB6_8948 Depth=3
	v_ffbh_u32_e32 v6, v5
	v_min_u32_e32 v6, 32, v6
	v_subrev_u32_e32 v22, 29, v6
	v_lshlrev_b64 v[38:39], v22, v[0:1]
	v_bfe_u32 v4, v23, 26, 5
	v_sub_u32_e32 v0, 30, v6
	v_and_b32_e32 v6, 3, v38
	v_cmp_eq_u32_e32 vcc, 0, v4
	v_cndmask_b32_e32 v0, v4, v0, vcc
	v_cndmask_b32_e32 v4, v5, v6, vcc
	v_and_b32_e32 v5, 0x80000000, v23
	v_lshl_add_u32 v0, v0, 23, v5
	v_lshl_or_b32 v0, v4, 21, v0
	v_add_u32_e32 v4, 0x38000000, v0
                                        ; implicit-def: $vgpr5
                                        ; implicit-def: $vgpr22_vgpr23
.LBB6_10644:                            ;   in Loop: Header=BB6_8948 Depth=3
	s_andn2_saveexec_b64 s[34:35], s[34:35]
; %bb.10645:                            ;   in Loop: Header=BB6_8948 Depth=3
	v_cmp_lt_i64_e32 vcc, -1, v[22:23]
	v_mov_b32_e32 v0, 0xff800000
	v_mov_b32_e32 v4, 0x7f800000
	v_cndmask_b32_e32 v0, v0, v4, vcc
	v_cmp_eq_u32_e32 vcc, 0, v5
	v_mov_b32_e32 v4, 0x7f800001
	v_cndmask_b32_e32 v4, v4, v0, vcc
; %bb.10646:                            ;   in Loop: Header=BB6_8948 Depth=3
	s_or_b64 exec, exec, s[34:35]
.LBB6_10647:                            ;   in Loop: Header=BB6_8948 Depth=3
	s_or_b64 exec, exec, s[30:31]
.LBB6_10648:                            ;   in Loop: Header=BB6_8948 Depth=3
	s_or_b64 exec, exec, s[28:29]
	v_cmp_lt_u64_e32 vcc, s[56:57], v[18:19]
	s_and_saveexec_b64 s[28:29], vcc
	s_cbranch_execz .LBB6_10656
; %bb.10649:                            ;   in Loop: Header=BB6_8948 Depth=3
	v_lshrrev_b32_e32 v0, 24, v19
	v_cmp_ne_u32_e32 vcc, s44, v0
	v_bfrev_b32_e32 v3, 1
	s_and_saveexec_b64 s[30:31], vcc
	s_cbranch_execz .LBB6_10655
; %bb.10650:                            ;   in Loop: Header=BB6_8948 Depth=3
	v_and_b32_e32 v3, 0x7c000000, v19
	v_bfe_u32 v5, v19, 24, 2
	v_cmp_ne_u32_e32 vcc, s8, v3
                                        ; implicit-def: $vgpr3
	s_and_saveexec_b64 s[34:35], vcc
	s_xor_b64 s[34:35], exec, s[34:35]
	s_cbranch_execz .LBB6_10652
; %bb.10651:                            ;   in Loop: Header=BB6_8948 Depth=3
	v_ffbh_u32_e32 v6, v5
	v_min_u32_e32 v6, 32, v6
	v_subrev_u32_e32 v18, 29, v6
	v_lshlrev_b64 v[22:23], v18, v[0:1]
	v_bfe_u32 v3, v19, 26, 5
	v_sub_u32_e32 v0, 30, v6
	v_and_b32_e32 v6, 3, v22
	v_cmp_eq_u32_e32 vcc, 0, v3
	v_cndmask_b32_e32 v0, v3, v0, vcc
	v_cndmask_b32_e32 v3, v5, v6, vcc
	v_and_b32_e32 v5, 0x80000000, v19
	v_lshl_add_u32 v0, v0, 23, v5
	v_lshl_or_b32 v0, v3, 21, v0
	v_add_u32_e32 v3, 0x38000000, v0
                                        ; implicit-def: $vgpr5
                                        ; implicit-def: $vgpr18_vgpr19
.LBB6_10652:                            ;   in Loop: Header=BB6_8948 Depth=3
	s_andn2_saveexec_b64 s[34:35], s[34:35]
; %bb.10653:                            ;   in Loop: Header=BB6_8948 Depth=3
	v_cmp_lt_i64_e32 vcc, -1, v[18:19]
	v_mov_b32_e32 v0, 0xff800000
	v_mov_b32_e32 v3, 0x7f800000
	v_cndmask_b32_e32 v0, v0, v3, vcc
	v_cmp_eq_u32_e32 vcc, 0, v5
	v_mov_b32_e32 v3, 0x7f800001
	v_cndmask_b32_e32 v3, v3, v0, vcc
; %bb.10654:                            ;   in Loop: Header=BB6_8948 Depth=3
	s_or_b64 exec, exec, s[34:35]
.LBB6_10655:                            ;   in Loop: Header=BB6_8948 Depth=3
	s_or_b64 exec, exec, s[30:31]
.LBB6_10656:                            ;   in Loop: Header=BB6_8948 Depth=3
	s_or_b64 exec, exec, s[28:29]
	v_mul_f32_e32 v5, v4, v3
	v_and_b32_e32 v18, 0x7f800000, v5
	v_mov_b32_e32 v19, v34
	v_cmp_ne_u64_e32 vcc, s[76:77], v[18:19]
	v_and_b32_e32 v3, 0x7fffff, v5
	v_mov_b32_e32 v4, v34
                                        ; implicit-def: $vgpr18
	s_and_saveexec_b64 s[28:29], vcc
	s_xor_b64 s[30:31], exec, s[28:29]
	s_cbranch_execz .LBB6_10670
; %bb.10657:                            ;   in Loop: Header=BB6_8948 Depth=3
	v_and_b32_e32 v18, 0x7fffffff, v5
	v_mov_b32_e32 v19, v34
	v_cmp_gt_u64_e32 vcc, s[78:79], v[18:19]
	v_and_b32_sdwa v0, v5, s44 dst_sel:DWORD dst_unused:UNUSED_PAD src0_sel:BYTE_3 src1_sel:DWORD
                                        ; implicit-def: $vgpr18
	s_and_saveexec_b64 s[28:29], vcc
	s_xor_b64 s[34:35], exec, s[28:29]
	s_cbranch_execz .LBB6_10667
; %bb.10658:                            ;   in Loop: Header=BB6_8948 Depth=3
	v_mov_b32_e32 v18, 0
	v_cmp_ne_u32_e32 vcc, 0, v5
	s_and_saveexec_b64 s[36:37], vcc
	s_cbranch_execz .LBB6_10666
; %bb.10659:                            ;   in Loop: Header=BB6_8948 Depth=3
	v_bfe_u32 v6, v5, 23, 8
	v_cmp_gt_u32_e64 s[28:29], s45, v6
	v_sub_u32_e32 v5, 0x71, v6
	v_cmp_eq_u32_e32 vcc, 0, v6
	v_cndmask_b32_e64 v5, 0, v5, s[28:29]
	v_mov_b32_e32 v18, 0x70
	v_cndmask_b32_e32 v18, v5, v18, vcc
	v_add_u32_e32 v5, 21, v18
	v_or_b32_e32 v19, 0x800000, v3
	v_lshlrev_b64 v[22:23], v5, -1
	v_cndmask_b32_e32 v3, v19, v3, vcc
	v_add_u32_e32 v5, 20, v18
	v_bfi_b32 v22, v22, 0, v3
	v_lshlrev_b64 v[38:39], v5, 1
	v_lshrrev_b64 v[3:4], v18, v[3:4]
	v_bfi_b32 v23, v23, 0, 0
	v_cmp_eq_u64_e64 s[28:29], v[22:23], v[38:39]
	v_mov_b32_e32 v5, v4
	v_mov_b32_e32 v4, v3
	s_and_saveexec_b64 s[38:39], s[28:29]
; %bb.10660:                            ;   in Loop: Header=BB6_8948 Depth=3
	v_bfe_u32 v4, v3, 21, 1
	v_add_co_u32_e64 v4, s[28:29], v3, v4
	v_add_co_u32_e64 v4, s[28:29], -1, v4
; %bb.10661:                            ;   in Loop: Header=BB6_8948 Depth=3
	s_or_b64 exec, exec, s[38:39]
	v_add_u32_e32 v5, 0xffffff81, v6
	v_mov_b32_e32 v6, 0xffffff82
	v_cndmask_b32_e32 v5, v5, v6, vcc
	v_lshrrev_b32_e32 v6, 23, v3
	v_add3_u32 v18, v18, v5, v6
	v_add_u32_e32 v6, 14, v18
	v_and_b32_e32 v4, 0x1fffff, v4
	v_add_u32_e32 v3, v4, v3
	v_mov_b32_e32 v4, v34
	v_cmp_ne_u32_e32 vcc, 0, v6
                                        ; implicit-def: $vgpr5
	s_and_saveexec_b64 s[28:29], vcc
	s_xor_b64 s[28:29], exec, s[28:29]
; %bb.10662:                            ;   in Loop: Header=BB6_8948 Depth=3
	v_cmp_lt_u64_e32 vcc, s[88:89], v[3:4]
	v_add_u32_e32 v5, 15, v18
	v_cndmask_b32_e32 v5, v6, v5, vcc
	v_cndmask_b32_e64 v6, 0, 1, vcc
	v_lshrrev_b64 v[3:4], v6, v[3:4]
; %bb.10663:                            ;   in Loop: Header=BB6_8948 Depth=3
	s_andn2_saveexec_b64 s[28:29], s[28:29]
; %bb.10664:                            ;   in Loop: Header=BB6_8948 Depth=3
	v_bfe_u32 v5, v3, 23, 1
; %bb.10665:                            ;   in Loop: Header=BB6_8948 Depth=3
	s_or_b64 exec, exec, s[28:29]
	v_lshrrev_b64 v[3:4], 21, v[3:4]
	v_cmp_gt_i32_e32 vcc, 32, v5
	v_cndmask_b32_e32 v4, 0, v4, vcc
	v_cndmask_b32_e32 v3, 3, v3, vcc
	v_cmp_eq_u64_e64 s[28:29], 0, v[3:4]
	v_min_i32_e32 v4, 31, v5
	v_lshlrev_b32_e32 v4, 2, v4
	v_cmp_eq_u32_e32 vcc, 0, v5
	v_and_b32_e32 v4, 0xfc, v4
	v_and_or_b32 v3, v3, 3, v4
	s_and_b64 s[28:29], vcc, s[28:29]
	v_cndmask_b32_e64 v3, v3, 0, s[28:29]
	v_or_b32_e32 v18, v3, v0
.LBB6_10666:                            ;   in Loop: Header=BB6_8948 Depth=3
	s_or_b64 exec, exec, s[36:37]
                                        ; implicit-def: $vgpr0
.LBB6_10667:                            ;   in Loop: Header=BB6_8948 Depth=3
	s_andn2_saveexec_b64 s[28:29], s[34:35]
; %bb.10668:                            ;   in Loop: Header=BB6_8948 Depth=3
	v_or_b32_e32 v18, 0x7b, v0
; %bb.10669:                            ;   in Loop: Header=BB6_8948 Depth=3
	s_or_b64 exec, exec, s[28:29]
                                        ; implicit-def: $vgpr5
                                        ; implicit-def: $vgpr3_vgpr4
.LBB6_10670:                            ;   in Loop: Header=BB6_8948 Depth=3
	s_andn2_saveexec_b64 s[28:29], s[30:31]
	s_cbranch_execz .LBB6_10676
; %bb.10671:                            ;   in Loop: Header=BB6_8948 Depth=3
	v_cmp_ne_u64_e32 vcc, 0, v[3:4]
                                        ; implicit-def: $vgpr18
	s_and_saveexec_b64 s[30:31], vcc
	s_xor_b64 vcc, exec, s[30:31]
; %bb.10672:                            ;   in Loop: Header=BB6_8948 Depth=3
	v_or_b32_sdwa v18, v5, s83 dst_sel:DWORD dst_unused:UNUSED_PAD src0_sel:BYTE_3 src1_sel:DWORD
                                        ; implicit-def: $vgpr5
; %bb.10673:                            ;   in Loop: Header=BB6_8948 Depth=3
	s_andn2_saveexec_b64 s[30:31], vcc
; %bb.10674:                            ;   in Loop: Header=BB6_8948 Depth=3
	v_cmp_lt_i32_e32 vcc, -1, v5
	v_bfrev_b32_e32 v0, 0.5
	v_mov_b32_e32 v3, 0x7c
	v_cndmask_b32_e32 v18, v0, v3, vcc
; %bb.10675:                            ;   in Loop: Header=BB6_8948 Depth=3
	s_or_b64 exec, exec, s[30:31]
.LBB6_10676:                            ;   in Loop: Header=BB6_8948 Depth=3
	s_or_b64 exec, exec, s[28:29]
	v_cmp_ne_u16_sdwa vcc, v12, v34 src0_sel:BYTE_0 src1_sel:DWORD
	v_mov_b32_e32 v0, 0
	v_mov_b32_e32 v3, 0
	s_and_saveexec_b64 s[28:29], vcc
	s_cbranch_execz .LBB6_10684
; %bb.10677:                            ;   in Loop: Header=BB6_8948 Depth=3
	v_cmp_ne_u16_sdwa vcc, sext(v12), s80 src0_sel:BYTE_0 src1_sel:DWORD
	v_bfrev_b32_e32 v3, 1
	s_and_saveexec_b64 s[30:31], vcc
	s_cbranch_execz .LBB6_10683
; %bb.10678:                            ;   in Loop: Header=BB6_8948 Depth=3
	v_and_b32_e32 v3, 0x7c, v12
	v_and_b32_e32 v4, 3, v12
	v_cmp_ne_u32_e32 vcc, s81, v3
                                        ; implicit-def: $vgpr3
	s_and_saveexec_b64 s[34:35], vcc
	s_xor_b64 s[34:35], exec, s[34:35]
	s_cbranch_execz .LBB6_10680
; %bb.10679:                            ;   in Loop: Header=BB6_8948 Depth=3
	v_ffbh_u32_e32 v5, v4
	v_min_u32_e32 v19, 32, v5
	v_subrev_u32_e32 v5, 29, v19
	v_lshlrev_b64 v[5:6], v5, v[12:13]
	v_bfe_u32 v3, v12, 2, 5
	v_and_b32_e32 v5, 3, v5
	v_cmp_eq_u32_e32 vcc, 0, v3
	v_sub_u32_e32 v6, 30, v19
	v_cndmask_b32_e32 v4, v4, v5, vcc
	v_lshlrev_b32_e32 v5, 24, v12
	v_cndmask_b32_e32 v3, v3, v6, vcc
	v_and_b32_e32 v5, 0x80000000, v5
	v_lshl_add_u32 v3, v3, 23, v5
	v_lshl_or_b32 v3, v4, 21, v3
	v_add_u32_e32 v3, 0x38000000, v3
                                        ; implicit-def: $vgpr4
.LBB6_10680:                            ;   in Loop: Header=BB6_8948 Depth=3
	s_andn2_saveexec_b64 s[34:35], s[34:35]
; %bb.10681:                            ;   in Loop: Header=BB6_8948 Depth=3
	v_mov_b32_e32 v3, -1
	v_cmp_gt_i16_sdwa vcc, sext(v12), v3 src0_sel:BYTE_0 src1_sel:DWORD
	v_mov_b32_e32 v3, 0xff800000
	v_mov_b32_e32 v5, 0x7f800000
	v_cndmask_b32_e32 v3, v3, v5, vcc
	v_cmp_eq_u32_e32 vcc, 0, v4
	v_mov_b32_e32 v4, 0x7f800001
	v_cndmask_b32_e32 v3, v4, v3, vcc
; %bb.10682:                            ;   in Loop: Header=BB6_8948 Depth=3
	s_or_b64 exec, exec, s[34:35]
.LBB6_10683:                            ;   in Loop: Header=BB6_8948 Depth=3
	s_or_b64 exec, exec, s[30:31]
.LBB6_10684:                            ;   in Loop: Header=BB6_8948 Depth=3
	s_or_b64 exec, exec, s[28:29]
	s_waitcnt vmcnt(0)
	v_cmp_ne_u16_sdwa vcc, v8, v34 src0_sel:BYTE_0 src1_sel:DWORD
	s_and_saveexec_b64 s[28:29], vcc
	s_cbranch_execz .LBB6_10692
; %bb.10685:                            ;   in Loop: Header=BB6_8948 Depth=3
	v_cmp_ne_u16_sdwa vcc, sext(v8), s80 src0_sel:BYTE_0 src1_sel:DWORD
	v_bfrev_b32_e32 v0, 1
	s_and_saveexec_b64 s[30:31], vcc
	s_cbranch_execz .LBB6_10691
; %bb.10686:                            ;   in Loop: Header=BB6_8948 Depth=3
	v_and_b32_e32 v0, 0x7c, v8
	v_and_b32_e32 v4, 3, v8
	v_cmp_ne_u32_e32 vcc, s81, v0
                                        ; implicit-def: $vgpr0
	s_and_saveexec_b64 s[34:35], vcc
	s_xor_b64 s[34:35], exec, s[34:35]
	s_cbranch_execz .LBB6_10688
; %bb.10687:                            ;   in Loop: Header=BB6_8948 Depth=3
	v_ffbh_u32_e32 v5, v4
	v_min_u32_e32 v19, 32, v5
	v_subrev_u32_e32 v5, 29, v19
	v_lshlrev_b64 v[5:6], v5, v[8:9]
	v_bfe_u32 v0, v8, 2, 5
	v_and_b32_e32 v5, 3, v5
	v_cmp_eq_u32_e32 vcc, 0, v0
	v_sub_u32_e32 v6, 30, v19
	v_cndmask_b32_e32 v4, v4, v5, vcc
	v_lshlrev_b32_e32 v5, 24, v8
	v_cndmask_b32_e32 v0, v0, v6, vcc
	v_and_b32_e32 v5, 0x80000000, v5
	v_lshl_add_u32 v0, v0, 23, v5
	v_lshl_or_b32 v0, v4, 21, v0
	v_add_u32_e32 v0, 0x38000000, v0
                                        ; implicit-def: $vgpr4
.LBB6_10688:                            ;   in Loop: Header=BB6_8948 Depth=3
	s_andn2_saveexec_b64 s[34:35], s[34:35]
; %bb.10689:                            ;   in Loop: Header=BB6_8948 Depth=3
	v_mov_b32_e32 v0, -1
	v_cmp_gt_i16_sdwa vcc, sext(v8), v0 src0_sel:BYTE_0 src1_sel:DWORD
	v_mov_b32_e32 v0, 0xff800000
	v_mov_b32_e32 v5, 0x7f800000
	v_cndmask_b32_e32 v0, v0, v5, vcc
	v_cmp_eq_u32_e32 vcc, 0, v4
	v_mov_b32_e32 v4, 0x7f800001
	v_cndmask_b32_e32 v0, v4, v0, vcc
; %bb.10690:                            ;   in Loop: Header=BB6_8948 Depth=3
	s_or_b64 exec, exec, s[34:35]
.LBB6_10691:                            ;   in Loop: Header=BB6_8948 Depth=3
	s_or_b64 exec, exec, s[30:31]
.LBB6_10692:                            ;   in Loop: Header=BB6_8948 Depth=3
	s_or_b64 exec, exec, s[28:29]
	v_mul_f32_e32 v5, v3, v0
	v_and_b32_e32 v22, 0x7f800000, v5
	v_mov_b32_e32 v23, v34
	v_cmp_ne_u64_e32 vcc, s[76:77], v[22:23]
	v_and_b32_e32 v3, 0x7fffff, v5
	v_mov_b32_e32 v4, v34
                                        ; implicit-def: $vgpr19
	s_and_saveexec_b64 s[28:29], vcc
	s_xor_b64 s[30:31], exec, s[28:29]
	s_cbranch_execz .LBB6_10706
; %bb.10693:                            ;   in Loop: Header=BB6_8948 Depth=3
	v_and_b32_e32 v22, 0x7fffffff, v5
	v_mov_b32_e32 v23, v34
	v_cmp_gt_u64_e32 vcc, s[78:79], v[22:23]
	v_and_b32_sdwa v0, v5, s44 dst_sel:DWORD dst_unused:UNUSED_PAD src0_sel:BYTE_3 src1_sel:DWORD
                                        ; implicit-def: $vgpr19
	s_and_saveexec_b64 s[28:29], vcc
	s_xor_b64 s[34:35], exec, s[28:29]
	s_cbranch_execz .LBB6_10703
; %bb.10694:                            ;   in Loop: Header=BB6_8948 Depth=3
	v_mov_b32_e32 v19, 0
	v_cmp_ne_u32_e32 vcc, 0, v5
	s_and_saveexec_b64 s[36:37], vcc
	s_cbranch_execz .LBB6_10702
; %bb.10695:                            ;   in Loop: Header=BB6_8948 Depth=3
	v_bfe_u32 v6, v5, 23, 8
	v_cmp_gt_u32_e64 s[28:29], s45, v6
	v_sub_u32_e32 v5, 0x71, v6
	v_cmp_eq_u32_e32 vcc, 0, v6
	v_cndmask_b32_e64 v5, 0, v5, s[28:29]
	v_mov_b32_e32 v19, 0x70
	v_cndmask_b32_e32 v19, v5, v19, vcc
	v_or_b32_e32 v22, 0x800000, v3
	v_add_u32_e32 v5, 21, v19
	v_cndmask_b32_e32 v3, v22, v3, vcc
	v_lshlrev_b64 v[22:23], v5, -1
	v_add_u32_e32 v5, 20, v19
	v_bfi_b32 v22, v22, 0, v3
	v_lshlrev_b64 v[38:39], v5, 1
	v_lshrrev_b64 v[3:4], v19, v[3:4]
	v_bfi_b32 v23, v23, 0, 0
	v_cmp_eq_u64_e64 s[28:29], v[22:23], v[38:39]
	v_mov_b32_e32 v5, v4
	v_mov_b32_e32 v4, v3
	s_and_saveexec_b64 s[38:39], s[28:29]
; %bb.10696:                            ;   in Loop: Header=BB6_8948 Depth=3
	v_bfe_u32 v4, v3, 21, 1
	v_add_co_u32_e64 v4, s[28:29], v3, v4
	v_add_co_u32_e64 v4, s[28:29], -1, v4
; %bb.10697:                            ;   in Loop: Header=BB6_8948 Depth=3
	s_or_b64 exec, exec, s[38:39]
	v_add_u32_e32 v5, 0xffffff81, v6
	v_mov_b32_e32 v6, 0xffffff82
	v_cndmask_b32_e32 v5, v5, v6, vcc
	v_lshrrev_b32_e32 v6, 23, v3
	v_add3_u32 v19, v19, v5, v6
	v_add_u32_e32 v6, 14, v19
	v_and_b32_e32 v4, 0x1fffff, v4
	v_add_u32_e32 v3, v4, v3
	v_mov_b32_e32 v4, v34
	v_cmp_ne_u32_e32 vcc, 0, v6
                                        ; implicit-def: $vgpr5
	s_and_saveexec_b64 s[28:29], vcc
	s_xor_b64 s[28:29], exec, s[28:29]
; %bb.10698:                            ;   in Loop: Header=BB6_8948 Depth=3
	v_cmp_lt_u64_e32 vcc, s[88:89], v[3:4]
	v_add_u32_e32 v5, 15, v19
	v_cndmask_b32_e32 v5, v6, v5, vcc
	v_cndmask_b32_e64 v6, 0, 1, vcc
	v_lshrrev_b64 v[3:4], v6, v[3:4]
; %bb.10699:                            ;   in Loop: Header=BB6_8948 Depth=3
	s_andn2_saveexec_b64 s[28:29], s[28:29]
; %bb.10700:                            ;   in Loop: Header=BB6_8948 Depth=3
	v_bfe_u32 v5, v3, 23, 1
; %bb.10701:                            ;   in Loop: Header=BB6_8948 Depth=3
	s_or_b64 exec, exec, s[28:29]
	v_lshrrev_b64 v[3:4], 21, v[3:4]
	v_cmp_gt_i32_e32 vcc, 32, v5
	v_cndmask_b32_e32 v4, 0, v4, vcc
	v_cndmask_b32_e32 v3, 3, v3, vcc
	v_cmp_eq_u64_e64 s[28:29], 0, v[3:4]
	v_min_i32_e32 v4, 31, v5
	v_lshlrev_b32_e32 v4, 2, v4
	v_cmp_eq_u32_e32 vcc, 0, v5
	v_and_b32_e32 v4, 0xfc, v4
	v_and_or_b32 v3, v3, 3, v4
	s_and_b64 s[28:29], vcc, s[28:29]
	v_cndmask_b32_e64 v3, v3, 0, s[28:29]
	v_or_b32_e32 v19, v3, v0
.LBB6_10702:                            ;   in Loop: Header=BB6_8948 Depth=3
	s_or_b64 exec, exec, s[36:37]
                                        ; implicit-def: $vgpr0
.LBB6_10703:                            ;   in Loop: Header=BB6_8948 Depth=3
	s_andn2_saveexec_b64 s[28:29], s[34:35]
; %bb.10704:                            ;   in Loop: Header=BB6_8948 Depth=3
	v_or_b32_e32 v19, 0x7b, v0
; %bb.10705:                            ;   in Loop: Header=BB6_8948 Depth=3
	s_or_b64 exec, exec, s[28:29]
                                        ; implicit-def: $vgpr5
                                        ; implicit-def: $vgpr3_vgpr4
.LBB6_10706:                            ;   in Loop: Header=BB6_8948 Depth=3
	s_andn2_saveexec_b64 s[28:29], s[30:31]
	s_cbranch_execz .LBB6_10712
; %bb.10707:                            ;   in Loop: Header=BB6_8948 Depth=3
	v_cmp_ne_u64_e32 vcc, 0, v[3:4]
                                        ; implicit-def: $vgpr19
	s_and_saveexec_b64 s[30:31], vcc
	s_xor_b64 vcc, exec, s[30:31]
; %bb.10708:                            ;   in Loop: Header=BB6_8948 Depth=3
	v_or_b32_sdwa v19, v5, s83 dst_sel:DWORD dst_unused:UNUSED_PAD src0_sel:BYTE_3 src1_sel:DWORD
                                        ; implicit-def: $vgpr5
; %bb.10709:                            ;   in Loop: Header=BB6_8948 Depth=3
	s_andn2_saveexec_b64 s[30:31], vcc
; %bb.10710:                            ;   in Loop: Header=BB6_8948 Depth=3
	v_cmp_lt_i32_e32 vcc, -1, v5
	v_bfrev_b32_e32 v0, 0.5
	v_mov_b32_e32 v3, 0x7c
	v_cndmask_b32_e32 v19, v0, v3, vcc
; %bb.10711:                            ;   in Loop: Header=BB6_8948 Depth=3
	s_or_b64 exec, exec, s[30:31]
.LBB6_10712:                            ;   in Loop: Header=BB6_8948 Depth=3
	s_or_b64 exec, exec, s[28:29]
	v_lshrrev_b16_e32 v3, 8, v12
	v_cmp_ne_u16_e32 vcc, 0, v3
	v_mov_b32_e32 v0, 0
	v_mov_b32_e32 v5, 0
	s_and_saveexec_b64 s[28:29], vcc
	s_cbranch_execz .LBB6_10720
; %bb.10713:                            ;   in Loop: Header=BB6_8948 Depth=3
	v_cmp_ne_u16_e32 vcc, s44, v3
	v_bfrev_b32_e32 v5, 1
	s_and_saveexec_b64 s[30:31], vcc
	s_cbranch_execz .LBB6_10719
; %bb.10714:                            ;   in Loop: Header=BB6_8948 Depth=3
	v_and_b32_e32 v4, 0x7c, v3
	v_and_b32_e32 v6, 3, v3
	v_cmp_ne_u32_e32 vcc, s81, v4
                                        ; implicit-def: $vgpr5
	s_and_saveexec_b64 s[34:35], vcc
	s_xor_b64 s[34:35], exec, s[34:35]
	s_cbranch_execz .LBB6_10716
; %bb.10715:                            ;   in Loop: Header=BB6_8948 Depth=3
	v_ffbh_u32_e32 v22, v6
	v_min_u32_e32 v22, 32, v22
	v_mov_b32_e32 v4, v34
	v_subrev_u32_e32 v23, 29, v22
	v_bfe_u32 v5, v3, 2, 5
	v_lshlrev_b64 v[3:4], v23, v[3:4]
	v_sub_u32_e32 v4, 30, v22
	v_cmp_eq_u32_e32 vcc, 0, v5
	v_cndmask_b32_e32 v4, v5, v4, vcc
	v_lshlrev_b32_e32 v5, 16, v12
	v_and_b32_e32 v3, 3, v3
	v_and_b32_e32 v5, 0x80000000, v5
	v_cndmask_b32_e32 v3, v6, v3, vcc
	v_lshl_add_u32 v4, v4, 23, v5
	v_lshl_or_b32 v3, v3, 21, v4
	v_add_u32_e32 v5, 0x38000000, v3
                                        ; implicit-def: $vgpr6
.LBB6_10716:                            ;   in Loop: Header=BB6_8948 Depth=3
	s_andn2_saveexec_b64 s[34:35], s[34:35]
; %bb.10717:                            ;   in Loop: Header=BB6_8948 Depth=3
	v_cmp_lt_i16_e32 vcc, -1, v12
	v_mov_b32_e32 v3, 0xff800000
	v_mov_b32_e32 v4, 0x7f800000
	v_cndmask_b32_e32 v3, v3, v4, vcc
	v_cmp_eq_u32_e32 vcc, 0, v6
	v_mov_b32_e32 v4, 0x7f800001
	v_cndmask_b32_e32 v5, v4, v3, vcc
; %bb.10718:                            ;   in Loop: Header=BB6_8948 Depth=3
	s_or_b64 exec, exec, s[34:35]
.LBB6_10719:                            ;   in Loop: Header=BB6_8948 Depth=3
	s_or_b64 exec, exec, s[30:31]
.LBB6_10720:                            ;   in Loop: Header=BB6_8948 Depth=3
	s_or_b64 exec, exec, s[28:29]
	v_lshrrev_b16_e32 v3, 8, v8
	v_cmp_ne_u16_e32 vcc, 0, v3
	s_and_saveexec_b64 s[28:29], vcc
	s_cbranch_execz .LBB6_10728
; %bb.10721:                            ;   in Loop: Header=BB6_8948 Depth=3
	v_cmp_ne_u16_e32 vcc, s44, v3
	v_bfrev_b32_e32 v0, 1
	s_and_saveexec_b64 s[30:31], vcc
	s_cbranch_execz .LBB6_10727
; %bb.10722:                            ;   in Loop: Header=BB6_8948 Depth=3
	v_and_b32_e32 v0, 0x7c, v3
	v_and_b32_e32 v6, 3, v3
	v_cmp_ne_u32_e32 vcc, s81, v0
                                        ; implicit-def: $vgpr0
	s_and_saveexec_b64 s[34:35], vcc
	s_xor_b64 s[34:35], exec, s[34:35]
	s_cbranch_execz .LBB6_10724
; %bb.10723:                            ;   in Loop: Header=BB6_8948 Depth=3
	v_ffbh_u32_e32 v22, v6
	v_min_u32_e32 v22, 32, v22
	v_mov_b32_e32 v4, v34
	v_subrev_u32_e32 v23, 29, v22
	v_bfe_u32 v0, v3, 2, 5
	v_lshlrev_b64 v[3:4], v23, v[3:4]
	v_sub_u32_e32 v4, 30, v22
	v_cmp_eq_u32_e32 vcc, 0, v0
	v_cndmask_b32_e32 v0, v0, v4, vcc
	v_lshlrev_b32_e32 v4, 16, v8
	v_and_b32_e32 v3, 3, v3
	v_and_b32_e32 v4, 0x80000000, v4
	v_cndmask_b32_e32 v3, v6, v3, vcc
	v_lshl_add_u32 v0, v0, 23, v4
	v_lshl_or_b32 v0, v3, 21, v0
	v_add_u32_e32 v0, 0x38000000, v0
                                        ; implicit-def: $vgpr6
.LBB6_10724:                            ;   in Loop: Header=BB6_8948 Depth=3
	s_andn2_saveexec_b64 s[34:35], s[34:35]
; %bb.10725:                            ;   in Loop: Header=BB6_8948 Depth=3
	v_cmp_lt_i16_e32 vcc, -1, v8
	v_mov_b32_e32 v0, 0xff800000
	v_mov_b32_e32 v3, 0x7f800000
	v_cndmask_b32_e32 v0, v0, v3, vcc
	v_cmp_eq_u32_e32 vcc, 0, v6
	v_mov_b32_e32 v3, 0x7f800001
	v_cndmask_b32_e32 v0, v3, v0, vcc
; %bb.10726:                            ;   in Loop: Header=BB6_8948 Depth=3
	s_or_b64 exec, exec, s[34:35]
.LBB6_10727:                            ;   in Loop: Header=BB6_8948 Depth=3
	s_or_b64 exec, exec, s[30:31]
.LBB6_10728:                            ;   in Loop: Header=BB6_8948 Depth=3
	s_or_b64 exec, exec, s[28:29]
	v_mul_f32_e32 v5, v5, v0
	v_and_b32_e32 v22, 0x7f800000, v5
	v_mov_b32_e32 v23, v34
	v_cmp_ne_u64_e32 vcc, s[76:77], v[22:23]
	v_and_b32_e32 v3, 0x7fffff, v5
	v_mov_b32_e32 v4, v34
                                        ; implicit-def: $vgpr22
	s_and_saveexec_b64 s[28:29], vcc
	s_xor_b64 s[30:31], exec, s[28:29]
	s_cbranch_execz .LBB6_10742
; %bb.10729:                            ;   in Loop: Header=BB6_8948 Depth=3
	v_and_b32_e32 v22, 0x7fffffff, v5
	v_mov_b32_e32 v23, v34
	v_cmp_gt_u64_e32 vcc, s[78:79], v[22:23]
	v_and_b32_sdwa v0, v5, s44 dst_sel:DWORD dst_unused:UNUSED_PAD src0_sel:BYTE_3 src1_sel:DWORD
                                        ; implicit-def: $vgpr22
	s_and_saveexec_b64 s[28:29], vcc
	s_xor_b64 s[34:35], exec, s[28:29]
	s_cbranch_execz .LBB6_10739
; %bb.10730:                            ;   in Loop: Header=BB6_8948 Depth=3
	v_mov_b32_e32 v22, 0
	v_cmp_ne_u32_e32 vcc, 0, v5
	s_and_saveexec_b64 s[36:37], vcc
	s_cbranch_execz .LBB6_10738
; %bb.10731:                            ;   in Loop: Header=BB6_8948 Depth=3
	v_bfe_u32 v6, v5, 23, 8
	v_cmp_gt_u32_e64 s[28:29], s45, v6
	v_sub_u32_e32 v5, 0x71, v6
	v_cmp_eq_u32_e32 vcc, 0, v6
	v_cndmask_b32_e64 v5, 0, v5, s[28:29]
	v_mov_b32_e32 v22, 0x70
	v_cndmask_b32_e32 v22, v5, v22, vcc
	v_add_u32_e32 v5, 21, v22
	v_or_b32_e32 v23, 0x800000, v3
	v_lshlrev_b64 v[38:39], v5, -1
	v_cndmask_b32_e32 v3, v23, v3, vcc
	v_add_u32_e32 v5, 20, v22
	v_bfi_b32 v38, v38, 0, v3
	v_lshlrev_b64 v[49:50], v5, 1
	v_lshrrev_b64 v[3:4], v22, v[3:4]
	v_bfi_b32 v39, v39, 0, 0
	v_cmp_eq_u64_e64 s[28:29], v[38:39], v[49:50]
	v_mov_b32_e32 v5, v4
	v_mov_b32_e32 v4, v3
	s_and_saveexec_b64 s[38:39], s[28:29]
; %bb.10732:                            ;   in Loop: Header=BB6_8948 Depth=3
	v_bfe_u32 v4, v3, 21, 1
	v_add_co_u32_e64 v4, s[28:29], v3, v4
	v_add_co_u32_e64 v4, s[28:29], -1, v4
; %bb.10733:                            ;   in Loop: Header=BB6_8948 Depth=3
	s_or_b64 exec, exec, s[38:39]
	v_add_u32_e32 v5, 0xffffff81, v6
	v_mov_b32_e32 v6, 0xffffff82
	v_cndmask_b32_e32 v5, v5, v6, vcc
	v_lshrrev_b32_e32 v6, 23, v3
	v_add3_u32 v22, v22, v5, v6
	v_add_u32_e32 v6, 14, v22
	v_and_b32_e32 v4, 0x1fffff, v4
	v_add_u32_e32 v3, v4, v3
	v_mov_b32_e32 v4, v34
	v_cmp_ne_u32_e32 vcc, 0, v6
                                        ; implicit-def: $vgpr5
	s_and_saveexec_b64 s[28:29], vcc
	s_xor_b64 s[28:29], exec, s[28:29]
; %bb.10734:                            ;   in Loop: Header=BB6_8948 Depth=3
	v_cmp_lt_u64_e32 vcc, s[88:89], v[3:4]
	v_add_u32_e32 v5, 15, v22
	v_cndmask_b32_e32 v5, v6, v5, vcc
	v_cndmask_b32_e64 v6, 0, 1, vcc
	v_lshrrev_b64 v[3:4], v6, v[3:4]
; %bb.10735:                            ;   in Loop: Header=BB6_8948 Depth=3
	s_andn2_saveexec_b64 s[28:29], s[28:29]
; %bb.10736:                            ;   in Loop: Header=BB6_8948 Depth=3
	v_bfe_u32 v5, v3, 23, 1
; %bb.10737:                            ;   in Loop: Header=BB6_8948 Depth=3
	s_or_b64 exec, exec, s[28:29]
	v_lshrrev_b64 v[3:4], 21, v[3:4]
	v_cmp_gt_i32_e32 vcc, 32, v5
	v_cndmask_b32_e32 v4, 0, v4, vcc
	v_cndmask_b32_e32 v3, 3, v3, vcc
	v_cmp_eq_u64_e64 s[28:29], 0, v[3:4]
	v_min_i32_e32 v4, 31, v5
	v_lshlrev_b32_e32 v4, 2, v4
	v_cmp_eq_u32_e32 vcc, 0, v5
	v_and_b32_e32 v4, 0xfc, v4
	v_and_or_b32 v3, v3, 3, v4
	s_and_b64 s[28:29], vcc, s[28:29]
	v_cndmask_b32_e64 v3, v3, 0, s[28:29]
	v_or_b32_e32 v22, v3, v0
.LBB6_10738:                            ;   in Loop: Header=BB6_8948 Depth=3
	s_or_b64 exec, exec, s[36:37]
                                        ; implicit-def: $vgpr0
.LBB6_10739:                            ;   in Loop: Header=BB6_8948 Depth=3
	s_andn2_saveexec_b64 s[28:29], s[34:35]
; %bb.10740:                            ;   in Loop: Header=BB6_8948 Depth=3
	v_or_b32_e32 v22, 0x7b, v0
; %bb.10741:                            ;   in Loop: Header=BB6_8948 Depth=3
	s_or_b64 exec, exec, s[28:29]
                                        ; implicit-def: $vgpr5
                                        ; implicit-def: $vgpr3_vgpr4
.LBB6_10742:                            ;   in Loop: Header=BB6_8948 Depth=3
	s_andn2_saveexec_b64 s[28:29], s[30:31]
	s_cbranch_execz .LBB6_10748
; %bb.10743:                            ;   in Loop: Header=BB6_8948 Depth=3
	v_cmp_ne_u64_e32 vcc, 0, v[3:4]
                                        ; implicit-def: $vgpr22
	s_and_saveexec_b64 s[30:31], vcc
	s_xor_b64 vcc, exec, s[30:31]
; %bb.10744:                            ;   in Loop: Header=BB6_8948 Depth=3
	v_or_b32_sdwa v22, v5, s83 dst_sel:DWORD dst_unused:UNUSED_PAD src0_sel:BYTE_3 src1_sel:DWORD
                                        ; implicit-def: $vgpr5
; %bb.10745:                            ;   in Loop: Header=BB6_8948 Depth=3
	s_andn2_saveexec_b64 s[30:31], vcc
; %bb.10746:                            ;   in Loop: Header=BB6_8948 Depth=3
	v_cmp_lt_i32_e32 vcc, -1, v5
	v_bfrev_b32_e32 v0, 0.5
	v_mov_b32_e32 v3, 0x7c
	v_cndmask_b32_e32 v22, v0, v3, vcc
; %bb.10747:                            ;   in Loop: Header=BB6_8948 Depth=3
	s_or_b64 exec, exec, s[30:31]
.LBB6_10748:                            ;   in Loop: Header=BB6_8948 Depth=3
	s_or_b64 exec, exec, s[28:29]
	v_lshrrev_b32_e32 v0, 16, v12
	v_cmp_ne_u16_sdwa vcc, v0, v34 src0_sel:BYTE_0 src1_sel:DWORD
	v_mov_b32_e32 v3, 0
	v_mov_b32_e32 v4, 0
	s_and_saveexec_b64 s[28:29], vcc
	s_cbranch_execz .LBB6_10756
; %bb.10749:                            ;   in Loop: Header=BB6_8948 Depth=3
	v_cmp_ne_u16_sdwa vcc, v0, s44 src0_sel:BYTE_0 src1_sel:DWORD
	v_bfrev_b32_e32 v4, 1
	s_and_saveexec_b64 s[30:31], vcc
	s_cbranch_execz .LBB6_10755
; %bb.10750:                            ;   in Loop: Header=BB6_8948 Depth=3
	v_and_b32_e32 v4, 0x7c0000, v12
	v_bfe_u32 v5, v12, 16, 2
	v_cmp_ne_u32_e32 vcc, s9, v4
                                        ; implicit-def: $vgpr4
	s_and_saveexec_b64 s[34:35], vcc
	s_xor_b64 s[34:35], exec, s[34:35]
	s_cbranch_execz .LBB6_10752
; %bb.10751:                            ;   in Loop: Header=BB6_8948 Depth=3
	v_ffbh_u32_e32 v6, v5
	v_min_u32_e32 v6, 32, v6
	v_subrev_u32_e32 v23, 29, v6
	v_lshlrev_b64 v[38:39], v23, v[0:1]
	v_bfe_u32 v4, v12, 18, 5
	v_sub_u32_e32 v0, 30, v6
	v_and_b32_e32 v6, 3, v38
	v_cmp_eq_u32_e32 vcc, 0, v4
	v_cndmask_b32_e32 v0, v4, v0, vcc
	v_cndmask_b32_e32 v4, v5, v6, vcc
	v_lshlrev_b32_e32 v5, 8, v12
	v_and_b32_e32 v5, 0x80000000, v5
	v_lshl_add_u32 v0, v0, 23, v5
	v_lshl_or_b32 v0, v4, 21, v0
	v_add_u32_e32 v4, 0x38000000, v0
                                        ; implicit-def: $vgpr5
                                        ; implicit-def: $vgpr0
.LBB6_10752:                            ;   in Loop: Header=BB6_8948 Depth=3
	s_andn2_saveexec_b64 s[34:35], s[34:35]
; %bb.10753:                            ;   in Loop: Header=BB6_8948 Depth=3
	v_mov_b32_e32 v4, -1
	v_cmp_gt_i16_sdwa vcc, sext(v0), v4 src0_sel:BYTE_0 src1_sel:DWORD
	v_mov_b32_e32 v0, 0xff800000
	v_mov_b32_e32 v4, 0x7f800000
	v_cndmask_b32_e32 v0, v0, v4, vcc
	v_cmp_eq_u32_e32 vcc, 0, v5
	v_mov_b32_e32 v4, 0x7f800001
	v_cndmask_b32_e32 v4, v4, v0, vcc
; %bb.10754:                            ;   in Loop: Header=BB6_8948 Depth=3
	s_or_b64 exec, exec, s[34:35]
.LBB6_10755:                            ;   in Loop: Header=BB6_8948 Depth=3
	s_or_b64 exec, exec, s[30:31]
.LBB6_10756:                            ;   in Loop: Header=BB6_8948 Depth=3
	s_or_b64 exec, exec, s[28:29]
	v_lshrrev_b32_e32 v0, 16, v8
	v_cmp_ne_u16_sdwa vcc, v0, v34 src0_sel:BYTE_0 src1_sel:DWORD
	s_and_saveexec_b64 s[28:29], vcc
	s_cbranch_execz .LBB6_10764
; %bb.10757:                            ;   in Loop: Header=BB6_8948 Depth=3
	v_cmp_ne_u16_sdwa vcc, v0, s44 src0_sel:BYTE_0 src1_sel:DWORD
	v_bfrev_b32_e32 v3, 1
	s_and_saveexec_b64 s[30:31], vcc
	s_cbranch_execz .LBB6_10763
; %bb.10758:                            ;   in Loop: Header=BB6_8948 Depth=3
	v_and_b32_e32 v3, 0x7c0000, v8
	v_bfe_u32 v5, v8, 16, 2
	v_cmp_ne_u32_e32 vcc, s9, v3
                                        ; implicit-def: $vgpr3
	s_and_saveexec_b64 s[34:35], vcc
	s_xor_b64 s[34:35], exec, s[34:35]
	s_cbranch_execz .LBB6_10760
; %bb.10759:                            ;   in Loop: Header=BB6_8948 Depth=3
	v_ffbh_u32_e32 v6, v5
	v_min_u32_e32 v6, 32, v6
	v_subrev_u32_e32 v23, 29, v6
	v_lshlrev_b64 v[38:39], v23, v[0:1]
	v_bfe_u32 v3, v8, 18, 5
	v_sub_u32_e32 v0, 30, v6
	v_and_b32_e32 v6, 3, v38
	v_cmp_eq_u32_e32 vcc, 0, v3
	v_cndmask_b32_e32 v0, v3, v0, vcc
	v_cndmask_b32_e32 v3, v5, v6, vcc
	v_lshlrev_b32_e32 v5, 8, v8
	v_and_b32_e32 v5, 0x80000000, v5
	v_lshl_add_u32 v0, v0, 23, v5
	v_lshl_or_b32 v0, v3, 21, v0
	v_add_u32_e32 v3, 0x38000000, v0
                                        ; implicit-def: $vgpr5
                                        ; implicit-def: $vgpr0
.LBB6_10760:                            ;   in Loop: Header=BB6_8948 Depth=3
	s_andn2_saveexec_b64 s[34:35], s[34:35]
; %bb.10761:                            ;   in Loop: Header=BB6_8948 Depth=3
	v_mov_b32_e32 v3, -1
	v_cmp_gt_i16_sdwa vcc, sext(v0), v3 src0_sel:BYTE_0 src1_sel:DWORD
	v_mov_b32_e32 v0, 0xff800000
	v_mov_b32_e32 v3, 0x7f800000
	v_cndmask_b32_e32 v0, v0, v3, vcc
	v_cmp_eq_u32_e32 vcc, 0, v5
	v_mov_b32_e32 v3, 0x7f800001
	v_cndmask_b32_e32 v3, v3, v0, vcc
; %bb.10762:                            ;   in Loop: Header=BB6_8948 Depth=3
	s_or_b64 exec, exec, s[34:35]
.LBB6_10763:                            ;   in Loop: Header=BB6_8948 Depth=3
	s_or_b64 exec, exec, s[30:31]
.LBB6_10764:                            ;   in Loop: Header=BB6_8948 Depth=3
	s_or_b64 exec, exec, s[28:29]
	v_mul_f32_e32 v5, v4, v3
	v_and_b32_e32 v38, 0x7f800000, v5
	v_mov_b32_e32 v39, v34
	v_cmp_ne_u64_e32 vcc, s[76:77], v[38:39]
	v_and_b32_e32 v3, 0x7fffff, v5
	v_mov_b32_e32 v4, v34
                                        ; implicit-def: $vgpr23
	s_and_saveexec_b64 s[28:29], vcc
	s_xor_b64 s[30:31], exec, s[28:29]
	s_cbranch_execz .LBB6_10778
; %bb.10765:                            ;   in Loop: Header=BB6_8948 Depth=3
	v_and_b32_e32 v38, 0x7fffffff, v5
	v_mov_b32_e32 v39, v34
	v_cmp_gt_u64_e32 vcc, s[78:79], v[38:39]
	v_and_b32_sdwa v0, v5, s44 dst_sel:DWORD dst_unused:UNUSED_PAD src0_sel:BYTE_3 src1_sel:DWORD
                                        ; implicit-def: $vgpr23
	s_and_saveexec_b64 s[28:29], vcc
	s_xor_b64 s[34:35], exec, s[28:29]
	s_cbranch_execz .LBB6_10775
; %bb.10766:                            ;   in Loop: Header=BB6_8948 Depth=3
	v_mov_b32_e32 v23, 0
	v_cmp_ne_u32_e32 vcc, 0, v5
	s_and_saveexec_b64 s[36:37], vcc
	s_cbranch_execz .LBB6_10774
; %bb.10767:                            ;   in Loop: Header=BB6_8948 Depth=3
	v_bfe_u32 v6, v5, 23, 8
	v_cmp_gt_u32_e64 s[28:29], s45, v6
	v_sub_u32_e32 v5, 0x71, v6
	v_cmp_eq_u32_e32 vcc, 0, v6
	v_cndmask_b32_e64 v5, 0, v5, s[28:29]
	v_mov_b32_e32 v23, 0x70
	v_cndmask_b32_e32 v23, v5, v23, vcc
	v_add_u32_e32 v5, 21, v23
	v_or_b32_e32 v32, 0x800000, v3
	v_lshlrev_b64 v[38:39], v5, -1
	v_cndmask_b32_e32 v3, v32, v3, vcc
	v_add_u32_e32 v5, 20, v23
	v_bfi_b32 v38, v38, 0, v3
	v_lshlrev_b64 v[49:50], v5, 1
	v_lshrrev_b64 v[3:4], v23, v[3:4]
	v_bfi_b32 v39, v39, 0, 0
	v_cmp_eq_u64_e64 s[28:29], v[38:39], v[49:50]
	v_mov_b32_e32 v5, v4
	v_mov_b32_e32 v4, v3
	s_and_saveexec_b64 s[38:39], s[28:29]
; %bb.10768:                            ;   in Loop: Header=BB6_8948 Depth=3
	v_bfe_u32 v4, v3, 21, 1
	v_add_co_u32_e64 v4, s[28:29], v3, v4
	v_add_co_u32_e64 v4, s[28:29], -1, v4
; %bb.10769:                            ;   in Loop: Header=BB6_8948 Depth=3
	s_or_b64 exec, exec, s[38:39]
	v_add_u32_e32 v5, 0xffffff81, v6
	v_mov_b32_e32 v6, 0xffffff82
	v_cndmask_b32_e32 v5, v5, v6, vcc
	v_lshrrev_b32_e32 v6, 23, v3
	v_add3_u32 v23, v23, v5, v6
	v_add_u32_e32 v6, 14, v23
	v_and_b32_e32 v4, 0x1fffff, v4
	v_add_u32_e32 v3, v4, v3
	v_mov_b32_e32 v4, v34
	v_cmp_ne_u32_e32 vcc, 0, v6
                                        ; implicit-def: $vgpr5
	s_and_saveexec_b64 s[28:29], vcc
	s_xor_b64 s[28:29], exec, s[28:29]
; %bb.10770:                            ;   in Loop: Header=BB6_8948 Depth=3
	v_cmp_lt_u64_e32 vcc, s[88:89], v[3:4]
	v_add_u32_e32 v5, 15, v23
	v_cndmask_b32_e32 v5, v6, v5, vcc
	v_cndmask_b32_e64 v6, 0, 1, vcc
	v_lshrrev_b64 v[3:4], v6, v[3:4]
; %bb.10771:                            ;   in Loop: Header=BB6_8948 Depth=3
	s_andn2_saveexec_b64 s[28:29], s[28:29]
; %bb.10772:                            ;   in Loop: Header=BB6_8948 Depth=3
	v_bfe_u32 v5, v3, 23, 1
; %bb.10773:                            ;   in Loop: Header=BB6_8948 Depth=3
	s_or_b64 exec, exec, s[28:29]
	v_lshrrev_b64 v[3:4], 21, v[3:4]
	v_cmp_gt_i32_e32 vcc, 32, v5
	v_cndmask_b32_e32 v4, 0, v4, vcc
	v_cndmask_b32_e32 v3, 3, v3, vcc
	v_cmp_eq_u64_e64 s[28:29], 0, v[3:4]
	v_min_i32_e32 v4, 31, v5
	v_lshlrev_b32_e32 v4, 2, v4
	v_cmp_eq_u32_e32 vcc, 0, v5
	v_and_b32_e32 v4, 0xfc, v4
	v_and_or_b32 v3, v3, 3, v4
	s_and_b64 s[28:29], vcc, s[28:29]
	v_cndmask_b32_e64 v3, v3, 0, s[28:29]
	v_or_b32_e32 v23, v3, v0
.LBB6_10774:                            ;   in Loop: Header=BB6_8948 Depth=3
	s_or_b64 exec, exec, s[36:37]
                                        ; implicit-def: $vgpr0
.LBB6_10775:                            ;   in Loop: Header=BB6_8948 Depth=3
	s_andn2_saveexec_b64 s[28:29], s[34:35]
; %bb.10776:                            ;   in Loop: Header=BB6_8948 Depth=3
	v_or_b32_e32 v23, 0x7b, v0
; %bb.10777:                            ;   in Loop: Header=BB6_8948 Depth=3
	s_or_b64 exec, exec, s[28:29]
                                        ; implicit-def: $vgpr5
                                        ; implicit-def: $vgpr3_vgpr4
.LBB6_10778:                            ;   in Loop: Header=BB6_8948 Depth=3
	s_andn2_saveexec_b64 s[28:29], s[30:31]
	s_cbranch_execz .LBB6_10784
; %bb.10779:                            ;   in Loop: Header=BB6_8948 Depth=3
	v_cmp_ne_u64_e32 vcc, 0, v[3:4]
                                        ; implicit-def: $vgpr23
	s_and_saveexec_b64 s[30:31], vcc
	s_xor_b64 vcc, exec, s[30:31]
; %bb.10780:                            ;   in Loop: Header=BB6_8948 Depth=3
	v_or_b32_sdwa v23, v5, s83 dst_sel:DWORD dst_unused:UNUSED_PAD src0_sel:BYTE_3 src1_sel:DWORD
                                        ; implicit-def: $vgpr5
; %bb.10781:                            ;   in Loop: Header=BB6_8948 Depth=3
	s_andn2_saveexec_b64 s[30:31], vcc
; %bb.10782:                            ;   in Loop: Header=BB6_8948 Depth=3
	v_cmp_lt_i32_e32 vcc, -1, v5
	v_bfrev_b32_e32 v0, 0.5
	v_mov_b32_e32 v3, 0x7c
	v_cndmask_b32_e32 v23, v0, v3, vcc
; %bb.10783:                            ;   in Loop: Header=BB6_8948 Depth=3
	s_or_b64 exec, exec, s[30:31]
.LBB6_10784:                            ;   in Loop: Header=BB6_8948 Depth=3
	s_or_b64 exec, exec, s[28:29]
	v_cmp_lt_u32_e32 vcc, s57, v12
	v_mov_b32_e32 v3, 0
	v_mov_b32_e32 v4, 0
	s_and_saveexec_b64 s[28:29], vcc
	s_cbranch_execz .LBB6_10792
; %bb.10785:                            ;   in Loop: Header=BB6_8948 Depth=3
	v_lshrrev_b32_e32 v0, 24, v12
	v_cmp_ne_u32_e32 vcc, s44, v0
	v_bfrev_b32_e32 v4, 1
	s_and_saveexec_b64 s[30:31], vcc
	s_cbranch_execz .LBB6_10791
; %bb.10786:                            ;   in Loop: Header=BB6_8948 Depth=3
	v_and_b32_e32 v4, 0x7c000000, v12
	v_bfe_u32 v5, v12, 24, 2
	v_cmp_ne_u32_e32 vcc, s8, v4
                                        ; implicit-def: $vgpr4
	s_and_saveexec_b64 s[34:35], vcc
	s_xor_b64 s[34:35], exec, s[34:35]
	s_cbranch_execz .LBB6_10788
; %bb.10787:                            ;   in Loop: Header=BB6_8948 Depth=3
	v_ffbh_u32_e32 v6, v5
	v_min_u32_e32 v6, 32, v6
	v_subrev_u32_e32 v32, 29, v6
	v_lshlrev_b64 v[38:39], v32, v[0:1]
	v_bfe_u32 v4, v12, 26, 5
	v_sub_u32_e32 v0, 30, v6
	v_and_b32_e32 v6, 3, v38
	v_cmp_eq_u32_e32 vcc, 0, v4
	v_cndmask_b32_e32 v0, v4, v0, vcc
	v_cndmask_b32_e32 v4, v5, v6, vcc
	v_and_b32_e32 v5, 0x80000000, v12
	v_lshl_add_u32 v0, v0, 23, v5
	v_lshl_or_b32 v0, v4, 21, v0
	v_add_u32_e32 v4, 0x38000000, v0
                                        ; implicit-def: $vgpr5
.LBB6_10788:                            ;   in Loop: Header=BB6_8948 Depth=3
	s_andn2_saveexec_b64 s[34:35], s[34:35]
; %bb.10789:                            ;   in Loop: Header=BB6_8948 Depth=3
	v_cmp_lt_i32_e32 vcc, -1, v12
	v_mov_b32_e32 v0, 0xff800000
	v_mov_b32_e32 v4, 0x7f800000
	v_cndmask_b32_e32 v0, v0, v4, vcc
	v_cmp_eq_u32_e32 vcc, 0, v5
	v_mov_b32_e32 v4, 0x7f800001
	v_cndmask_b32_e32 v4, v4, v0, vcc
; %bb.10790:                            ;   in Loop: Header=BB6_8948 Depth=3
	s_or_b64 exec, exec, s[34:35]
.LBB6_10791:                            ;   in Loop: Header=BB6_8948 Depth=3
	s_or_b64 exec, exec, s[30:31]
.LBB6_10792:                            ;   in Loop: Header=BB6_8948 Depth=3
	s_or_b64 exec, exec, s[28:29]
	v_cmp_lt_u32_e32 vcc, s57, v8
	s_and_saveexec_b64 s[28:29], vcc
	s_cbranch_execz .LBB6_10800
; %bb.10793:                            ;   in Loop: Header=BB6_8948 Depth=3
	v_lshrrev_b32_e32 v0, 24, v8
	v_cmp_ne_u32_e32 vcc, s44, v0
	v_bfrev_b32_e32 v3, 1
	s_and_saveexec_b64 s[30:31], vcc
	s_cbranch_execz .LBB6_10799
; %bb.10794:                            ;   in Loop: Header=BB6_8948 Depth=3
	v_and_b32_e32 v3, 0x7c000000, v8
	v_bfe_u32 v5, v8, 24, 2
	v_cmp_ne_u32_e32 vcc, s8, v3
                                        ; implicit-def: $vgpr3
	s_and_saveexec_b64 s[34:35], vcc
	s_xor_b64 s[34:35], exec, s[34:35]
	s_cbranch_execz .LBB6_10796
; %bb.10795:                            ;   in Loop: Header=BB6_8948 Depth=3
	v_ffbh_u32_e32 v6, v5
	v_min_u32_e32 v6, 32, v6
	v_subrev_u32_e32 v32, 29, v6
	v_lshlrev_b64 v[38:39], v32, v[0:1]
	v_bfe_u32 v3, v8, 26, 5
	v_sub_u32_e32 v0, 30, v6
	v_and_b32_e32 v6, 3, v38
	v_cmp_eq_u32_e32 vcc, 0, v3
	v_cndmask_b32_e32 v0, v3, v0, vcc
	v_cndmask_b32_e32 v3, v5, v6, vcc
	v_and_b32_e32 v5, 0x80000000, v8
	v_lshl_add_u32 v0, v0, 23, v5
	v_lshl_or_b32 v0, v3, 21, v0
	v_add_u32_e32 v3, 0x38000000, v0
                                        ; implicit-def: $vgpr5
.LBB6_10796:                            ;   in Loop: Header=BB6_8948 Depth=3
	s_andn2_saveexec_b64 s[34:35], s[34:35]
; %bb.10797:                            ;   in Loop: Header=BB6_8948 Depth=3
	v_cmp_lt_i32_e32 vcc, -1, v8
	v_mov_b32_e32 v0, 0xff800000
	v_mov_b32_e32 v3, 0x7f800000
	v_cndmask_b32_e32 v0, v0, v3, vcc
	v_cmp_eq_u32_e32 vcc, 0, v5
	v_mov_b32_e32 v3, 0x7f800001
	v_cndmask_b32_e32 v3, v3, v0, vcc
; %bb.10798:                            ;   in Loop: Header=BB6_8948 Depth=3
	s_or_b64 exec, exec, s[34:35]
.LBB6_10799:                            ;   in Loop: Header=BB6_8948 Depth=3
	s_or_b64 exec, exec, s[30:31]
.LBB6_10800:                            ;   in Loop: Header=BB6_8948 Depth=3
	s_or_b64 exec, exec, s[28:29]
	v_mul_f32_e32 v5, v4, v3
	v_and_b32_e32 v38, 0x7f800000, v5
	v_mov_b32_e32 v39, v34
	v_cmp_ne_u64_e32 vcc, s[76:77], v[38:39]
	v_and_b32_e32 v3, 0x7fffff, v5
	v_mov_b32_e32 v4, v34
                                        ; implicit-def: $vgpr49
	s_and_saveexec_b64 s[28:29], vcc
	s_xor_b64 s[30:31], exec, s[28:29]
	s_cbranch_execz .LBB6_10814
; %bb.10801:                            ;   in Loop: Header=BB6_8948 Depth=3
	v_and_b32_e32 v38, 0x7fffffff, v5
	v_mov_b32_e32 v39, v34
	v_cmp_gt_u64_e32 vcc, s[78:79], v[38:39]
	v_and_b32_sdwa v0, v5, s44 dst_sel:DWORD dst_unused:UNUSED_PAD src0_sel:BYTE_3 src1_sel:DWORD
                                        ; implicit-def: $vgpr49
	s_and_saveexec_b64 s[28:29], vcc
	s_xor_b64 s[34:35], exec, s[28:29]
	s_cbranch_execz .LBB6_10811
; %bb.10802:                            ;   in Loop: Header=BB6_8948 Depth=3
	v_mov_b32_e32 v49, 0
	v_cmp_ne_u32_e32 vcc, 0, v5
	s_and_saveexec_b64 s[36:37], vcc
	s_cbranch_execz .LBB6_10810
; %bb.10803:                            ;   in Loop: Header=BB6_8948 Depth=3
	v_bfe_u32 v6, v5, 23, 8
	v_cmp_gt_u32_e64 s[28:29], s45, v6
	v_sub_u32_e32 v5, 0x71, v6
	v_cmp_eq_u32_e32 vcc, 0, v6
	v_cndmask_b32_e64 v5, 0, v5, s[28:29]
	v_mov_b32_e32 v33, 0x70
	v_cndmask_b32_e32 v38, v5, v33, vcc
	v_add_u32_e32 v5, 21, v38
	v_or_b32_e32 v32, 0x800000, v3
	v_lshlrev_b64 v[49:50], v5, -1
	v_cndmask_b32_e32 v3, v32, v3, vcc
	v_add_u32_e32 v5, 20, v38
	v_bfi_b32 v49, v49, 0, v3
	v_lshlrev_b64 v[45:46], v5, 1
	v_lshrrev_b64 v[3:4], v38, v[3:4]
	v_bfi_b32 v50, v50, 0, 0
	v_cmp_eq_u64_e64 s[28:29], v[49:50], v[45:46]
	v_mov_b32_e32 v5, v4
	v_mov_b32_e32 v4, v3
	s_and_saveexec_b64 s[38:39], s[28:29]
; %bb.10804:                            ;   in Loop: Header=BB6_8948 Depth=3
	v_bfe_u32 v4, v3, 21, 1
	v_add_co_u32_e64 v4, s[28:29], v3, v4
	v_add_co_u32_e64 v4, s[28:29], -1, v4
; %bb.10805:                            ;   in Loop: Header=BB6_8948 Depth=3
	s_or_b64 exec, exec, s[38:39]
	v_add_u32_e32 v5, 0xffffff81, v6
	v_mov_b32_e32 v6, 0xffffff82
	v_cndmask_b32_e32 v5, v5, v6, vcc
	v_lshrrev_b32_e32 v6, 23, v3
	v_add3_u32 v38, v38, v5, v6
	v_add_u32_e32 v6, 14, v38
	v_and_b32_e32 v4, 0x1fffff, v4
	v_add_u32_e32 v3, v4, v3
	v_mov_b32_e32 v4, v34
	v_cmp_ne_u32_e32 vcc, 0, v6
                                        ; implicit-def: $vgpr5
	s_and_saveexec_b64 s[28:29], vcc
	s_xor_b64 s[28:29], exec, s[28:29]
; %bb.10806:                            ;   in Loop: Header=BB6_8948 Depth=3
	v_cmp_lt_u64_e32 vcc, s[88:89], v[3:4]
	v_add_u32_e32 v5, 15, v38
	v_cndmask_b32_e32 v5, v6, v5, vcc
	v_cndmask_b32_e64 v6, 0, 1, vcc
	v_lshrrev_b64 v[3:4], v6, v[3:4]
; %bb.10807:                            ;   in Loop: Header=BB6_8948 Depth=3
	s_andn2_saveexec_b64 s[28:29], s[28:29]
; %bb.10808:                            ;   in Loop: Header=BB6_8948 Depth=3
	v_bfe_u32 v5, v3, 23, 1
; %bb.10809:                            ;   in Loop: Header=BB6_8948 Depth=3
	s_or_b64 exec, exec, s[28:29]
	v_lshrrev_b64 v[3:4], 21, v[3:4]
	v_cmp_gt_i32_e32 vcc, 32, v5
	v_cndmask_b32_e32 v4, 0, v4, vcc
	v_cndmask_b32_e32 v3, 3, v3, vcc
	v_cmp_eq_u64_e64 s[28:29], 0, v[3:4]
	v_min_i32_e32 v4, 31, v5
	v_lshlrev_b32_e32 v4, 2, v4
	v_cmp_eq_u32_e32 vcc, 0, v5
	v_and_b32_e32 v4, 0xfc, v4
	v_and_or_b32 v3, v3, 3, v4
	s_and_b64 s[28:29], vcc, s[28:29]
	v_cndmask_b32_e64 v3, v3, 0, s[28:29]
	v_or_b32_e32 v49, v3, v0
.LBB6_10810:                            ;   in Loop: Header=BB6_8948 Depth=3
	s_or_b64 exec, exec, s[36:37]
                                        ; implicit-def: $vgpr0
.LBB6_10811:                            ;   in Loop: Header=BB6_8948 Depth=3
	s_andn2_saveexec_b64 s[28:29], s[34:35]
; %bb.10812:                            ;   in Loop: Header=BB6_8948 Depth=3
	v_or_b32_e32 v49, 0x7b, v0
; %bb.10813:                            ;   in Loop: Header=BB6_8948 Depth=3
	s_or_b64 exec, exec, s[28:29]
                                        ; implicit-def: $vgpr5
                                        ; implicit-def: $vgpr3_vgpr4
.LBB6_10814:                            ;   in Loop: Header=BB6_8948 Depth=3
	s_andn2_saveexec_b64 s[28:29], s[30:31]
	s_cbranch_execz .LBB6_10820
; %bb.10815:                            ;   in Loop: Header=BB6_8948 Depth=3
	v_cmp_ne_u64_e32 vcc, 0, v[3:4]
                                        ; implicit-def: $vgpr49
	s_and_saveexec_b64 s[30:31], vcc
	s_xor_b64 vcc, exec, s[30:31]
; %bb.10816:                            ;   in Loop: Header=BB6_8948 Depth=3
	v_or_b32_sdwa v49, v5, s83 dst_sel:DWORD dst_unused:UNUSED_PAD src0_sel:BYTE_3 src1_sel:DWORD
                                        ; implicit-def: $vgpr5
; %bb.10817:                            ;   in Loop: Header=BB6_8948 Depth=3
	s_andn2_saveexec_b64 s[30:31], vcc
; %bb.10818:                            ;   in Loop: Header=BB6_8948 Depth=3
	v_cmp_lt_i32_e32 vcc, -1, v5
	v_bfrev_b32_e32 v0, 0.5
	v_mov_b32_e32 v3, 0x7c
	v_cndmask_b32_e32 v49, v0, v3, vcc
; %bb.10819:                            ;   in Loop: Header=BB6_8948 Depth=3
	s_or_b64 exec, exec, s[30:31]
.LBB6_10820:                            ;   in Loop: Header=BB6_8948 Depth=3
	s_or_b64 exec, exec, s[28:29]
	v_mov_b32_e32 v3, v13
	v_mov_b32_e32 v4, v34
	v_cmp_ne_u16_sdwa vcc, v13, v34 src0_sel:BYTE_0 src1_sel:DWORD
	v_mov_b32_e32 v5, 0
	v_mov_b32_e32 v0, 0
	s_and_saveexec_b64 s[28:29], vcc
	s_cbranch_execz .LBB6_10828
; %bb.10821:                            ;   in Loop: Header=BB6_8948 Depth=3
	v_cmp_ne_u16_sdwa vcc, v13, s44 src0_sel:BYTE_0 src1_sel:DWORD
	v_bfrev_b32_e32 v0, 1
	s_and_saveexec_b64 s[30:31], vcc
	s_cbranch_execz .LBB6_10827
; %bb.10822:                            ;   in Loop: Header=BB6_8948 Depth=3
	v_and_b32_e32 v0, 0x7c, v13
	v_and_b32_e32 v6, 3, v13
	v_cmp_ne_u32_e32 vcc, s81, v0
                                        ; implicit-def: $vgpr0
	s_and_saveexec_b64 s[34:35], vcc
	s_xor_b64 s[34:35], exec, s[34:35]
	s_cbranch_execz .LBB6_10824
; %bb.10823:                            ;   in Loop: Header=BB6_8948 Depth=3
	v_ffbh_u32_e32 v32, v6
	v_min_u32_e32 v32, 32, v32
	v_subrev_u32_e32 v33, 29, v32
	v_lshlrev_b64 v[38:39], v33, v[3:4]
	v_bfe_u32 v0, v13, 2, 5
	v_sub_u32_e32 v4, 30, v32
	v_and_b32_e32 v32, 3, v38
	v_cmp_eq_u32_e32 vcc, 0, v0
	v_cndmask_b32_e32 v0, v0, v4, vcc
	v_cndmask_b32_e32 v4, v6, v32, vcc
	v_lshlrev_b32_e32 v6, 24, v13
	v_and_b32_e32 v6, 0x80000000, v6
	v_lshl_add_u32 v0, v0, 23, v6
	v_lshl_or_b32 v0, v4, 21, v0
	v_add_u32_e32 v0, 0x38000000, v0
                                        ; implicit-def: $vgpr6
.LBB6_10824:                            ;   in Loop: Header=BB6_8948 Depth=3
	s_andn2_saveexec_b64 s[34:35], s[34:35]
; %bb.10825:                            ;   in Loop: Header=BB6_8948 Depth=3
	v_mov_b32_e32 v0, -1
	v_cmp_gt_i16_sdwa vcc, sext(v13), v0 src0_sel:BYTE_0 src1_sel:DWORD
	v_mov_b32_e32 v0, 0xff800000
	v_mov_b32_e32 v4, 0x7f800000
	v_cndmask_b32_e32 v0, v0, v4, vcc
	v_cmp_eq_u32_e32 vcc, 0, v6
	v_mov_b32_e32 v4, 0x7f800001
	v_cndmask_b32_e32 v0, v4, v0, vcc
; %bb.10826:                            ;   in Loop: Header=BB6_8948 Depth=3
	s_or_b64 exec, exec, s[34:35]
.LBB6_10827:                            ;   in Loop: Header=BB6_8948 Depth=3
	s_or_b64 exec, exec, s[30:31]
.LBB6_10828:                            ;   in Loop: Header=BB6_8948 Depth=3
	s_or_b64 exec, exec, s[28:29]
	v_cmp_ne_u16_sdwa vcc, v9, v34 src0_sel:BYTE_0 src1_sel:DWORD
	s_and_saveexec_b64 s[28:29], vcc
	s_cbranch_execz .LBB6_10836
; %bb.10829:                            ;   in Loop: Header=BB6_8948 Depth=3
	v_cmp_ne_u16_sdwa vcc, v9, s44 src0_sel:BYTE_0 src1_sel:DWORD
	v_bfrev_b32_e32 v5, 1
	s_and_saveexec_b64 s[30:31], vcc
	s_cbranch_execz .LBB6_10835
; %bb.10830:                            ;   in Loop: Header=BB6_8948 Depth=3
	v_and_b32_e32 v5, 0x7c, v9
	v_and_b32_e32 v4, 3, v9
	v_cmp_ne_u32_e32 vcc, s81, v5
                                        ; implicit-def: $vgpr5
	s_and_saveexec_b64 s[34:35], vcc
	s_xor_b64 s[34:35], exec, s[34:35]
	s_cbranch_execz .LBB6_10832
; %bb.10831:                            ;   in Loop: Header=BB6_8948 Depth=3
	v_ffbh_u32_e32 v33, v4
	v_min_u32_e32 v33, 32, v33
	v_mov_b32_e32 v5, v9
	v_mov_b32_e32 v6, v34
	v_subrev_u32_e32 v38, 29, v33
	v_lshlrev_b64 v[5:6], v38, v[5:6]
	v_bfe_u32 v32, v9, 2, 5
	v_and_b32_e32 v5, 3, v5
	v_cmp_eq_u32_e32 vcc, 0, v32
	v_sub_u32_e32 v6, 30, v33
	v_cndmask_b32_e32 v4, v4, v5, vcc
	v_lshlrev_b32_e32 v5, 24, v9
	v_cndmask_b32_e32 v6, v32, v6, vcc
	v_and_b32_e32 v5, 0x80000000, v5
	v_lshl_add_u32 v5, v6, 23, v5
	v_lshl_or_b32 v4, v4, 21, v5
	v_add_u32_e32 v5, 0x38000000, v4
                                        ; implicit-def: $vgpr4
.LBB6_10832:                            ;   in Loop: Header=BB6_8948 Depth=3
	s_andn2_saveexec_b64 s[34:35], s[34:35]
; %bb.10833:                            ;   in Loop: Header=BB6_8948 Depth=3
	v_mov_b32_e32 v5, -1
	v_cmp_gt_i16_sdwa vcc, sext(v9), v5 src0_sel:BYTE_0 src1_sel:DWORD
	v_mov_b32_e32 v5, 0xff800000
	v_mov_b32_e32 v6, 0x7f800000
	v_cndmask_b32_e32 v5, v5, v6, vcc
	v_cmp_eq_u32_e32 vcc, 0, v4
	v_mov_b32_e32 v4, 0x7f800001
	v_cndmask_b32_e32 v5, v4, v5, vcc
; %bb.10834:                            ;   in Loop: Header=BB6_8948 Depth=3
	s_or_b64 exec, exec, s[34:35]
.LBB6_10835:                            ;   in Loop: Header=BB6_8948 Depth=3
	s_or_b64 exec, exec, s[30:31]
.LBB6_10836:                            ;   in Loop: Header=BB6_8948 Depth=3
	s_or_b64 exec, exec, s[28:29]
	v_mul_f32_e32 v6, v0, v5
	v_and_b32_e32 v38, 0x7f800000, v6
	v_mov_b32_e32 v39, v34
	v_cmp_ne_u64_e32 vcc, s[76:77], v[38:39]
	v_and_b32_e32 v4, 0x7fffff, v6
	v_mov_b32_e32 v5, v34
                                        ; implicit-def: $vgpr45
	s_and_saveexec_b64 s[28:29], vcc
	s_xor_b64 s[30:31], exec, s[28:29]
	s_cbranch_execz .LBB6_10850
; %bb.10837:                            ;   in Loop: Header=BB6_8948 Depth=3
	v_and_b32_e32 v38, 0x7fffffff, v6
	v_mov_b32_e32 v39, v34
	v_cmp_gt_u64_e32 vcc, s[78:79], v[38:39]
	v_and_b32_sdwa v0, v6, s44 dst_sel:DWORD dst_unused:UNUSED_PAD src0_sel:BYTE_3 src1_sel:DWORD
                                        ; implicit-def: $vgpr45
	s_and_saveexec_b64 s[28:29], vcc
	s_xor_b64 s[34:35], exec, s[28:29]
	s_cbranch_execz .LBB6_10847
; %bb.10838:                            ;   in Loop: Header=BB6_8948 Depth=3
	v_mov_b32_e32 v45, 0
	v_cmp_ne_u32_e32 vcc, 0, v6
	s_and_saveexec_b64 s[36:37], vcc
	s_cbranch_execz .LBB6_10846
; %bb.10839:                            ;   in Loop: Header=BB6_8948 Depth=3
	v_bfe_u32 v38, v6, 23, 8
	v_cmp_gt_u32_e64 s[28:29], s45, v38
	v_sub_u32_e32 v6, 0x71, v38
	v_cmp_eq_u32_e32 vcc, 0, v38
	v_cndmask_b32_e64 v6, 0, v6, s[28:29]
	v_mov_b32_e32 v33, 0x70
	v_cndmask_b32_e32 v39, v6, v33, vcc
	v_add_u32_e32 v6, 21, v39
	v_or_b32_e32 v32, 0x800000, v4
	v_lshlrev_b64 v[45:46], v6, -1
	v_cndmask_b32_e32 v4, v32, v4, vcc
	v_add_u32_e32 v6, 20, v39
	v_bfi_b32 v45, v45, 0, v4
	v_lshlrev_b64 v[50:51], v6, 1
	v_lshrrev_b64 v[4:5], v39, v[4:5]
	v_bfi_b32 v46, v46, 0, 0
	v_cmp_eq_u64_e64 s[28:29], v[45:46], v[50:51]
	v_mov_b32_e32 v6, v5
	v_mov_b32_e32 v5, v4
	s_and_saveexec_b64 s[38:39], s[28:29]
; %bb.10840:                            ;   in Loop: Header=BB6_8948 Depth=3
	v_bfe_u32 v5, v4, 21, 1
	v_add_co_u32_e64 v5, s[28:29], v4, v5
	v_add_co_u32_e64 v5, s[28:29], -1, v5
; %bb.10841:                            ;   in Loop: Header=BB6_8948 Depth=3
	s_or_b64 exec, exec, s[38:39]
	v_add_u32_e32 v6, 0xffffff81, v38
	v_mov_b32_e32 v32, 0xffffff82
	v_cndmask_b32_e32 v6, v6, v32, vcc
	v_lshrrev_b32_e32 v32, 23, v4
	v_add3_u32 v39, v39, v6, v32
	v_add_u32_e32 v38, 14, v39
	v_and_b32_e32 v5, 0x1fffff, v5
	v_add_u32_e32 v4, v5, v4
	v_mov_b32_e32 v5, v34
	v_cmp_ne_u32_e32 vcc, 0, v38
                                        ; implicit-def: $vgpr6
	s_and_saveexec_b64 s[28:29], vcc
	s_xor_b64 s[28:29], exec, s[28:29]
; %bb.10842:                            ;   in Loop: Header=BB6_8948 Depth=3
	v_cmp_lt_u64_e32 vcc, s[88:89], v[4:5]
	v_add_u32_e32 v6, 15, v39
	v_cndmask_b32_e64 v32, 0, 1, vcc
	v_lshrrev_b64 v[4:5], v32, v[4:5]
	v_cndmask_b32_e32 v6, v38, v6, vcc
; %bb.10843:                            ;   in Loop: Header=BB6_8948 Depth=3
	s_andn2_saveexec_b64 s[28:29], s[28:29]
; %bb.10844:                            ;   in Loop: Header=BB6_8948 Depth=3
	v_bfe_u32 v6, v4, 23, 1
; %bb.10845:                            ;   in Loop: Header=BB6_8948 Depth=3
	s_or_b64 exec, exec, s[28:29]
	v_lshrrev_b64 v[4:5], 21, v[4:5]
	v_cmp_gt_i32_e32 vcc, 32, v6
	v_cndmask_b32_e32 v5, 0, v5, vcc
	v_cndmask_b32_e32 v4, 3, v4, vcc
	v_cmp_eq_u64_e64 s[28:29], 0, v[4:5]
	v_min_i32_e32 v5, 31, v6
	v_lshlrev_b32_e32 v5, 2, v5
	v_cmp_eq_u32_e32 vcc, 0, v6
	v_and_b32_e32 v5, 0xfc, v5
	v_and_or_b32 v4, v4, 3, v5
	s_and_b64 s[28:29], vcc, s[28:29]
	v_cndmask_b32_e64 v4, v4, 0, s[28:29]
	v_or_b32_e32 v45, v4, v0
.LBB6_10846:                            ;   in Loop: Header=BB6_8948 Depth=3
	s_or_b64 exec, exec, s[36:37]
                                        ; implicit-def: $vgpr0
.LBB6_10847:                            ;   in Loop: Header=BB6_8948 Depth=3
	s_andn2_saveexec_b64 s[28:29], s[34:35]
; %bb.10848:                            ;   in Loop: Header=BB6_8948 Depth=3
	v_or_b32_e32 v45, 0x7b, v0
; %bb.10849:                            ;   in Loop: Header=BB6_8948 Depth=3
	s_or_b64 exec, exec, s[28:29]
                                        ; implicit-def: $vgpr6
                                        ; implicit-def: $vgpr4_vgpr5
.LBB6_10850:                            ;   in Loop: Header=BB6_8948 Depth=3
	s_andn2_saveexec_b64 s[28:29], s[30:31]
	s_cbranch_execz .LBB6_10856
; %bb.10851:                            ;   in Loop: Header=BB6_8948 Depth=3
	v_cmp_ne_u64_e32 vcc, 0, v[4:5]
                                        ; implicit-def: $vgpr45
	s_and_saveexec_b64 s[30:31], vcc
	s_xor_b64 vcc, exec, s[30:31]
; %bb.10852:                            ;   in Loop: Header=BB6_8948 Depth=3
	v_or_b32_sdwa v45, v6, s83 dst_sel:DWORD dst_unused:UNUSED_PAD src0_sel:BYTE_3 src1_sel:DWORD
                                        ; implicit-def: $vgpr6
; %bb.10853:                            ;   in Loop: Header=BB6_8948 Depth=3
	s_andn2_saveexec_b64 s[30:31], vcc
; %bb.10854:                            ;   in Loop: Header=BB6_8948 Depth=3
	v_cmp_lt_i32_e32 vcc, -1, v6
	v_bfrev_b32_e32 v0, 0.5
	v_mov_b32_e32 v4, 0x7c
	v_cndmask_b32_e32 v45, v0, v4, vcc
; %bb.10855:                            ;   in Loop: Header=BB6_8948 Depth=3
	s_or_b64 exec, exec, s[30:31]
.LBB6_10856:                            ;   in Loop: Header=BB6_8948 Depth=3
	s_or_b64 exec, exec, s[28:29]
	v_lshrrev_b16_e32 v4, 8, v3
	v_cmp_ne_u16_e32 vcc, 0, v4
	v_mov_b32_e32 v0, 0
	v_mov_b32_e32 v5, 0
	s_and_saveexec_b64 s[28:29], vcc
	s_cbranch_execz .LBB6_10864
; %bb.10857:                            ;   in Loop: Header=BB6_8948 Depth=3
	v_cmp_ne_u16_e32 vcc, s44, v4
	v_bfrev_b32_e32 v5, 1
	s_and_saveexec_b64 s[30:31], vcc
	s_cbranch_execz .LBB6_10863
; %bb.10858:                            ;   in Loop: Header=BB6_8948 Depth=3
	v_and_b32_e32 v5, 0x7c, v4
	v_and_b32_e32 v6, 3, v4
	v_cmp_ne_u32_e32 vcc, s81, v5
                                        ; implicit-def: $vgpr5
	s_and_saveexec_b64 s[34:35], vcc
	s_xor_b64 s[34:35], exec, s[34:35]
	s_cbranch_execz .LBB6_10860
; %bb.10859:                            ;   in Loop: Header=BB6_8948 Depth=3
	v_ffbh_u32_e32 v33, v6
	v_min_u32_e32 v33, 32, v33
	v_mov_b32_e32 v5, v34
	v_subrev_u32_e32 v38, 29, v33
	v_bfe_u32 v32, v4, 2, 5
	v_lshlrev_b64 v[4:5], v38, v[4:5]
	v_sub_u32_e32 v5, 30, v33
	v_cmp_eq_u32_e32 vcc, 0, v32
	v_lshlrev_b32_e32 v3, 16, v3
	v_and_b32_e32 v4, 3, v4
	v_cndmask_b32_e32 v5, v32, v5, vcc
	v_and_b32_e32 v3, 0x80000000, v3
	v_cndmask_b32_e32 v4, v6, v4, vcc
	v_lshl_add_u32 v3, v5, 23, v3
	v_lshl_or_b32 v3, v4, 21, v3
	v_add_u32_e32 v5, 0x38000000, v3
                                        ; implicit-def: $vgpr6
                                        ; implicit-def: $vgpr3_vgpr4
.LBB6_10860:                            ;   in Loop: Header=BB6_8948 Depth=3
	s_andn2_saveexec_b64 s[34:35], s[34:35]
; %bb.10861:                            ;   in Loop: Header=BB6_8948 Depth=3
	v_cmp_lt_i16_e32 vcc, -1, v3
	v_mov_b32_e32 v3, 0xff800000
	v_mov_b32_e32 v4, 0x7f800000
	v_cndmask_b32_e32 v3, v3, v4, vcc
	v_cmp_eq_u32_e32 vcc, 0, v6
	v_mov_b32_e32 v4, 0x7f800001
	v_cndmask_b32_e32 v5, v4, v3, vcc
; %bb.10862:                            ;   in Loop: Header=BB6_8948 Depth=3
	s_or_b64 exec, exec, s[34:35]
.LBB6_10863:                            ;   in Loop: Header=BB6_8948 Depth=3
	s_or_b64 exec, exec, s[30:31]
.LBB6_10864:                            ;   in Loop: Header=BB6_8948 Depth=3
	s_or_b64 exec, exec, s[28:29]
	v_lshrrev_b16_e32 v3, 8, v9
	v_cmp_ne_u16_e32 vcc, 0, v3
	s_and_saveexec_b64 s[28:29], vcc
	s_cbranch_execz .LBB6_10872
; %bb.10865:                            ;   in Loop: Header=BB6_8948 Depth=3
	v_cmp_ne_u16_e32 vcc, s44, v3
	v_bfrev_b32_e32 v0, 1
	s_and_saveexec_b64 s[30:31], vcc
	s_cbranch_execz .LBB6_10871
; %bb.10866:                            ;   in Loop: Header=BB6_8948 Depth=3
	v_and_b32_e32 v0, 0x7c, v3
	v_and_b32_e32 v6, 3, v3
	v_cmp_ne_u32_e32 vcc, s81, v0
                                        ; implicit-def: $vgpr0
	s_and_saveexec_b64 s[34:35], vcc
	s_xor_b64 s[34:35], exec, s[34:35]
	s_cbranch_execz .LBB6_10868
; %bb.10867:                            ;   in Loop: Header=BB6_8948 Depth=3
	v_ffbh_u32_e32 v32, v6
	v_min_u32_e32 v32, 32, v32
	v_mov_b32_e32 v4, v34
	v_subrev_u32_e32 v33, 29, v32
	v_bfe_u32 v0, v3, 2, 5
	v_lshlrev_b64 v[3:4], v33, v[3:4]
	v_sub_u32_e32 v4, 30, v32
	v_cmp_eq_u32_e32 vcc, 0, v0
	v_cndmask_b32_e32 v0, v0, v4, vcc
	v_lshlrev_b32_e32 v4, 16, v9
	v_and_b32_e32 v3, 3, v3
	v_and_b32_e32 v4, 0x80000000, v4
	v_cndmask_b32_e32 v3, v6, v3, vcc
	v_lshl_add_u32 v0, v0, 23, v4
	v_lshl_or_b32 v0, v3, 21, v0
	v_add_u32_e32 v0, 0x38000000, v0
                                        ; implicit-def: $vgpr6
.LBB6_10868:                            ;   in Loop: Header=BB6_8948 Depth=3
	s_andn2_saveexec_b64 s[34:35], s[34:35]
; %bb.10869:                            ;   in Loop: Header=BB6_8948 Depth=3
	v_cmp_lt_i16_e32 vcc, -1, v9
	v_mov_b32_e32 v0, 0xff800000
	v_mov_b32_e32 v3, 0x7f800000
	v_cndmask_b32_e32 v0, v0, v3, vcc
	v_cmp_eq_u32_e32 vcc, 0, v6
	v_mov_b32_e32 v3, 0x7f800001
	v_cndmask_b32_e32 v0, v3, v0, vcc
; %bb.10870:                            ;   in Loop: Header=BB6_8948 Depth=3
	s_or_b64 exec, exec, s[34:35]
.LBB6_10871:                            ;   in Loop: Header=BB6_8948 Depth=3
	s_or_b64 exec, exec, s[30:31]
.LBB6_10872:                            ;   in Loop: Header=BB6_8948 Depth=3
	s_or_b64 exec, exec, s[28:29]
	v_mul_f32_e32 v5, v5, v0
	v_and_b32_e32 v38, 0x7f800000, v5
	v_mov_b32_e32 v39, v34
	v_cmp_ne_u64_e32 vcc, s[76:77], v[38:39]
	v_and_b32_e32 v3, 0x7fffff, v5
	v_mov_b32_e32 v4, v34
                                        ; implicit-def: $vgpr46
	s_and_saveexec_b64 s[28:29], vcc
	s_xor_b64 s[30:31], exec, s[28:29]
	s_cbranch_execz .LBB6_10886
; %bb.10873:                            ;   in Loop: Header=BB6_8948 Depth=3
	v_and_b32_e32 v38, 0x7fffffff, v5
	v_mov_b32_e32 v39, v34
	v_cmp_gt_u64_e32 vcc, s[78:79], v[38:39]
	v_and_b32_sdwa v0, v5, s44 dst_sel:DWORD dst_unused:UNUSED_PAD src0_sel:BYTE_3 src1_sel:DWORD
                                        ; implicit-def: $vgpr46
	s_and_saveexec_b64 s[28:29], vcc
	s_xor_b64 s[34:35], exec, s[28:29]
	s_cbranch_execz .LBB6_10883
; %bb.10874:                            ;   in Loop: Header=BB6_8948 Depth=3
	v_mov_b32_e32 v46, 0
	v_cmp_ne_u32_e32 vcc, 0, v5
	s_and_saveexec_b64 s[36:37], vcc
	s_cbranch_execz .LBB6_10882
; %bb.10875:                            ;   in Loop: Header=BB6_8948 Depth=3
	v_bfe_u32 v6, v5, 23, 8
	v_cmp_gt_u32_e64 s[28:29], s45, v6
	v_sub_u32_e32 v5, 0x71, v6
	v_cmp_eq_u32_e32 vcc, 0, v6
	v_cndmask_b32_e64 v5, 0, v5, s[28:29]
	v_mov_b32_e32 v33, 0x70
	v_cndmask_b32_e32 v38, v5, v33, vcc
	v_add_u32_e32 v5, 21, v38
	v_or_b32_e32 v32, 0x800000, v3
	v_lshlrev_b64 v[50:51], v5, -1
	v_cndmask_b32_e32 v3, v32, v3, vcc
	v_add_u32_e32 v5, 20, v38
	v_bfi_b32 v50, v50, 0, v3
	v_lshlrev_b64 v[46:47], v5, 1
	v_lshrrev_b64 v[3:4], v38, v[3:4]
	v_bfi_b32 v51, v51, 0, 0
	v_cmp_eq_u64_e64 s[28:29], v[50:51], v[46:47]
	v_mov_b32_e32 v5, v4
	v_mov_b32_e32 v4, v3
	s_and_saveexec_b64 s[38:39], s[28:29]
; %bb.10876:                            ;   in Loop: Header=BB6_8948 Depth=3
	v_bfe_u32 v4, v3, 21, 1
	v_add_co_u32_e64 v4, s[28:29], v3, v4
	v_add_co_u32_e64 v4, s[28:29], -1, v4
; %bb.10877:                            ;   in Loop: Header=BB6_8948 Depth=3
	s_or_b64 exec, exec, s[38:39]
	v_add_u32_e32 v5, 0xffffff81, v6
	v_mov_b32_e32 v6, 0xffffff82
	v_cndmask_b32_e32 v5, v5, v6, vcc
	v_lshrrev_b32_e32 v6, 23, v3
	v_add3_u32 v38, v38, v5, v6
	v_add_u32_e32 v6, 14, v38
	v_and_b32_e32 v4, 0x1fffff, v4
	v_add_u32_e32 v3, v4, v3
	v_mov_b32_e32 v4, v34
	v_cmp_ne_u32_e32 vcc, 0, v6
                                        ; implicit-def: $vgpr5
	s_and_saveexec_b64 s[28:29], vcc
	s_xor_b64 s[28:29], exec, s[28:29]
; %bb.10878:                            ;   in Loop: Header=BB6_8948 Depth=3
	v_cmp_lt_u64_e32 vcc, s[88:89], v[3:4]
	v_add_u32_e32 v5, 15, v38
	v_cndmask_b32_e32 v5, v6, v5, vcc
	v_cndmask_b32_e64 v6, 0, 1, vcc
	v_lshrrev_b64 v[3:4], v6, v[3:4]
; %bb.10879:                            ;   in Loop: Header=BB6_8948 Depth=3
	s_andn2_saveexec_b64 s[28:29], s[28:29]
; %bb.10880:                            ;   in Loop: Header=BB6_8948 Depth=3
	v_bfe_u32 v5, v3, 23, 1
; %bb.10881:                            ;   in Loop: Header=BB6_8948 Depth=3
	s_or_b64 exec, exec, s[28:29]
	v_lshrrev_b64 v[3:4], 21, v[3:4]
	v_cmp_gt_i32_e32 vcc, 32, v5
	v_cndmask_b32_e32 v4, 0, v4, vcc
	v_cndmask_b32_e32 v3, 3, v3, vcc
	v_cmp_eq_u64_e64 s[28:29], 0, v[3:4]
	v_min_i32_e32 v4, 31, v5
	v_lshlrev_b32_e32 v4, 2, v4
	v_cmp_eq_u32_e32 vcc, 0, v5
	v_and_b32_e32 v4, 0xfc, v4
	v_and_or_b32 v3, v3, 3, v4
	s_and_b64 s[28:29], vcc, s[28:29]
	v_cndmask_b32_e64 v3, v3, 0, s[28:29]
	v_or_b32_e32 v46, v3, v0
.LBB6_10882:                            ;   in Loop: Header=BB6_8948 Depth=3
	s_or_b64 exec, exec, s[36:37]
                                        ; implicit-def: $vgpr0
.LBB6_10883:                            ;   in Loop: Header=BB6_8948 Depth=3
	s_andn2_saveexec_b64 s[28:29], s[34:35]
; %bb.10884:                            ;   in Loop: Header=BB6_8948 Depth=3
	v_or_b32_e32 v46, 0x7b, v0
; %bb.10885:                            ;   in Loop: Header=BB6_8948 Depth=3
	s_or_b64 exec, exec, s[28:29]
                                        ; implicit-def: $vgpr5
                                        ; implicit-def: $vgpr3_vgpr4
.LBB6_10886:                            ;   in Loop: Header=BB6_8948 Depth=3
	s_andn2_saveexec_b64 s[28:29], s[30:31]
	s_cbranch_execz .LBB6_10892
; %bb.10887:                            ;   in Loop: Header=BB6_8948 Depth=3
	v_cmp_ne_u64_e32 vcc, 0, v[3:4]
                                        ; implicit-def: $vgpr46
	s_and_saveexec_b64 s[30:31], vcc
	s_xor_b64 vcc, exec, s[30:31]
; %bb.10888:                            ;   in Loop: Header=BB6_8948 Depth=3
	v_or_b32_sdwa v46, v5, s83 dst_sel:DWORD dst_unused:UNUSED_PAD src0_sel:BYTE_3 src1_sel:DWORD
                                        ; implicit-def: $vgpr5
; %bb.10889:                            ;   in Loop: Header=BB6_8948 Depth=3
	s_andn2_saveexec_b64 s[30:31], vcc
; %bb.10890:                            ;   in Loop: Header=BB6_8948 Depth=3
	v_cmp_lt_i32_e32 vcc, -1, v5
	v_bfrev_b32_e32 v0, 0.5
	v_mov_b32_e32 v3, 0x7c
	v_cndmask_b32_e32 v46, v0, v3, vcc
; %bb.10891:                            ;   in Loop: Header=BB6_8948 Depth=3
	s_or_b64 exec, exec, s[30:31]
.LBB6_10892:                            ;   in Loop: Header=BB6_8948 Depth=3
	s_or_b64 exec, exec, s[28:29]
	v_lshrrev_b32_e32 v0, 16, v13
	v_cmp_ne_u16_sdwa vcc, v0, v34 src0_sel:BYTE_0 src1_sel:DWORD
	v_mov_b32_e32 v3, 0
	v_mov_b32_e32 v4, 0
	s_and_saveexec_b64 s[28:29], vcc
	s_cbranch_execz .LBB6_10900
; %bb.10893:                            ;   in Loop: Header=BB6_8948 Depth=3
	v_cmp_ne_u16_sdwa vcc, v0, s44 src0_sel:BYTE_0 src1_sel:DWORD
	v_bfrev_b32_e32 v4, 1
	s_and_saveexec_b64 s[30:31], vcc
	s_cbranch_execz .LBB6_10899
; %bb.10894:                            ;   in Loop: Header=BB6_8948 Depth=3
	v_and_b32_e32 v4, 0x7c0000, v13
	v_bfe_u32 v5, v13, 16, 2
	v_cmp_ne_u32_e32 vcc, s9, v4
                                        ; implicit-def: $vgpr4
	s_and_saveexec_b64 s[34:35], vcc
	s_xor_b64 s[34:35], exec, s[34:35]
	s_cbranch_execz .LBB6_10896
; %bb.10895:                            ;   in Loop: Header=BB6_8948 Depth=3
	v_ffbh_u32_e32 v6, v5
	v_min_u32_e32 v6, 32, v6
	v_subrev_u32_e32 v32, 29, v6
	v_lshlrev_b64 v[38:39], v32, v[0:1]
	v_bfe_u32 v4, v13, 18, 5
	v_sub_u32_e32 v0, 30, v6
	v_and_b32_e32 v6, 3, v38
	v_cmp_eq_u32_e32 vcc, 0, v4
	v_cndmask_b32_e32 v0, v4, v0, vcc
	v_cndmask_b32_e32 v4, v5, v6, vcc
	v_lshlrev_b32_e32 v5, 8, v13
	v_and_b32_e32 v5, 0x80000000, v5
	v_lshl_add_u32 v0, v0, 23, v5
	v_lshl_or_b32 v0, v4, 21, v0
	v_add_u32_e32 v4, 0x38000000, v0
                                        ; implicit-def: $vgpr5
                                        ; implicit-def: $vgpr0
.LBB6_10896:                            ;   in Loop: Header=BB6_8948 Depth=3
	s_andn2_saveexec_b64 s[34:35], s[34:35]
; %bb.10897:                            ;   in Loop: Header=BB6_8948 Depth=3
	v_mov_b32_e32 v4, -1
	v_cmp_gt_i16_sdwa vcc, sext(v0), v4 src0_sel:BYTE_0 src1_sel:DWORD
	v_mov_b32_e32 v0, 0xff800000
	v_mov_b32_e32 v4, 0x7f800000
	v_cndmask_b32_e32 v0, v0, v4, vcc
	v_cmp_eq_u32_e32 vcc, 0, v5
	v_mov_b32_e32 v4, 0x7f800001
	v_cndmask_b32_e32 v4, v4, v0, vcc
; %bb.10898:                            ;   in Loop: Header=BB6_8948 Depth=3
	s_or_b64 exec, exec, s[34:35]
.LBB6_10899:                            ;   in Loop: Header=BB6_8948 Depth=3
	s_or_b64 exec, exec, s[30:31]
.LBB6_10900:                            ;   in Loop: Header=BB6_8948 Depth=3
	s_or_b64 exec, exec, s[28:29]
	v_lshrrev_b32_e32 v0, 16, v9
	v_cmp_ne_u16_sdwa vcc, v0, v34 src0_sel:BYTE_0 src1_sel:DWORD
	s_and_saveexec_b64 s[28:29], vcc
	s_cbranch_execz .LBB6_10908
; %bb.10901:                            ;   in Loop: Header=BB6_8948 Depth=3
	v_cmp_ne_u16_sdwa vcc, v0, s44 src0_sel:BYTE_0 src1_sel:DWORD
	v_bfrev_b32_e32 v3, 1
	s_and_saveexec_b64 s[30:31], vcc
	s_cbranch_execz .LBB6_10907
; %bb.10902:                            ;   in Loop: Header=BB6_8948 Depth=3
	v_and_b32_e32 v3, 0x7c0000, v9
	v_bfe_u32 v5, v9, 16, 2
	v_cmp_ne_u32_e32 vcc, s9, v3
                                        ; implicit-def: $vgpr3
	s_and_saveexec_b64 s[34:35], vcc
	s_xor_b64 s[34:35], exec, s[34:35]
	s_cbranch_execz .LBB6_10904
; %bb.10903:                            ;   in Loop: Header=BB6_8948 Depth=3
	v_ffbh_u32_e32 v6, v5
	v_min_u32_e32 v6, 32, v6
	v_subrev_u32_e32 v32, 29, v6
	v_lshlrev_b64 v[38:39], v32, v[0:1]
	v_bfe_u32 v3, v9, 18, 5
	v_sub_u32_e32 v0, 30, v6
	v_and_b32_e32 v6, 3, v38
	v_cmp_eq_u32_e32 vcc, 0, v3
	v_cndmask_b32_e32 v0, v3, v0, vcc
	v_cndmask_b32_e32 v3, v5, v6, vcc
	v_lshlrev_b32_e32 v5, 8, v9
	v_and_b32_e32 v5, 0x80000000, v5
	v_lshl_add_u32 v0, v0, 23, v5
	v_lshl_or_b32 v0, v3, 21, v0
	v_add_u32_e32 v3, 0x38000000, v0
                                        ; implicit-def: $vgpr5
                                        ; implicit-def: $vgpr0
.LBB6_10904:                            ;   in Loop: Header=BB6_8948 Depth=3
	s_andn2_saveexec_b64 s[34:35], s[34:35]
; %bb.10905:                            ;   in Loop: Header=BB6_8948 Depth=3
	v_mov_b32_e32 v3, -1
	v_cmp_gt_i16_sdwa vcc, sext(v0), v3 src0_sel:BYTE_0 src1_sel:DWORD
	v_mov_b32_e32 v0, 0xff800000
	v_mov_b32_e32 v3, 0x7f800000
	v_cndmask_b32_e32 v0, v0, v3, vcc
	v_cmp_eq_u32_e32 vcc, 0, v5
	v_mov_b32_e32 v3, 0x7f800001
	v_cndmask_b32_e32 v3, v3, v0, vcc
; %bb.10906:                            ;   in Loop: Header=BB6_8948 Depth=3
	s_or_b64 exec, exec, s[34:35]
.LBB6_10907:                            ;   in Loop: Header=BB6_8948 Depth=3
	s_or_b64 exec, exec, s[30:31]
.LBB6_10908:                            ;   in Loop: Header=BB6_8948 Depth=3
	s_or_b64 exec, exec, s[28:29]
	v_mul_f32_e32 v5, v4, v3
	v_and_b32_e32 v38, 0x7f800000, v5
	v_mov_b32_e32 v39, v34
	v_cmp_ne_u64_e32 vcc, s[76:77], v[38:39]
	v_and_b32_e32 v3, 0x7fffff, v5
	v_mov_b32_e32 v4, v34
                                        ; implicit-def: $vgpr47
	s_and_saveexec_b64 s[28:29], vcc
	s_xor_b64 s[30:31], exec, s[28:29]
	s_cbranch_execz .LBB6_10922
; %bb.10909:                            ;   in Loop: Header=BB6_8948 Depth=3
	v_and_b32_e32 v38, 0x7fffffff, v5
	v_mov_b32_e32 v39, v34
	v_cmp_gt_u64_e32 vcc, s[78:79], v[38:39]
	v_and_b32_sdwa v0, v5, s44 dst_sel:DWORD dst_unused:UNUSED_PAD src0_sel:BYTE_3 src1_sel:DWORD
                                        ; implicit-def: $vgpr47
	s_and_saveexec_b64 s[28:29], vcc
	s_xor_b64 s[34:35], exec, s[28:29]
	s_cbranch_execz .LBB6_10919
; %bb.10910:                            ;   in Loop: Header=BB6_8948 Depth=3
	v_mov_b32_e32 v47, 0
	v_cmp_ne_u32_e32 vcc, 0, v5
	s_and_saveexec_b64 s[36:37], vcc
	s_cbranch_execz .LBB6_10918
; %bb.10911:                            ;   in Loop: Header=BB6_8948 Depth=3
	v_bfe_u32 v6, v5, 23, 8
	v_cmp_gt_u32_e64 s[28:29], s45, v6
	v_sub_u32_e32 v5, 0x71, v6
	v_cmp_eq_u32_e32 vcc, 0, v6
	v_cndmask_b32_e64 v5, 0, v5, s[28:29]
	v_mov_b32_e32 v33, 0x70
	v_cndmask_b32_e32 v38, v5, v33, vcc
	v_add_u32_e32 v5, 21, v38
	v_or_b32_e32 v32, 0x800000, v3
	v_lshlrev_b64 v[50:51], v5, -1
	v_cndmask_b32_e32 v3, v32, v3, vcc
	v_add_u32_e32 v5, 20, v38
	v_bfi_b32 v50, v50, 0, v3
	v_lshlrev_b64 v[56:57], v5, 1
	v_lshrrev_b64 v[3:4], v38, v[3:4]
	v_bfi_b32 v51, v51, 0, 0
	v_cmp_eq_u64_e64 s[28:29], v[50:51], v[56:57]
	v_mov_b32_e32 v5, v4
	v_mov_b32_e32 v4, v3
	s_and_saveexec_b64 s[38:39], s[28:29]
; %bb.10912:                            ;   in Loop: Header=BB6_8948 Depth=3
	v_bfe_u32 v4, v3, 21, 1
	v_add_co_u32_e64 v4, s[28:29], v3, v4
	v_add_co_u32_e64 v4, s[28:29], -1, v4
; %bb.10913:                            ;   in Loop: Header=BB6_8948 Depth=3
	s_or_b64 exec, exec, s[38:39]
	v_add_u32_e32 v5, 0xffffff81, v6
	v_mov_b32_e32 v6, 0xffffff82
	v_cndmask_b32_e32 v5, v5, v6, vcc
	v_lshrrev_b32_e32 v6, 23, v3
	v_add3_u32 v38, v38, v5, v6
	v_add_u32_e32 v6, 14, v38
	v_and_b32_e32 v4, 0x1fffff, v4
	v_add_u32_e32 v3, v4, v3
	v_mov_b32_e32 v4, v34
	v_cmp_ne_u32_e32 vcc, 0, v6
                                        ; implicit-def: $vgpr5
	s_and_saveexec_b64 s[28:29], vcc
	s_xor_b64 s[28:29], exec, s[28:29]
; %bb.10914:                            ;   in Loop: Header=BB6_8948 Depth=3
	v_cmp_lt_u64_e32 vcc, s[88:89], v[3:4]
	v_add_u32_e32 v5, 15, v38
	v_cndmask_b32_e32 v5, v6, v5, vcc
	v_cndmask_b32_e64 v6, 0, 1, vcc
	v_lshrrev_b64 v[3:4], v6, v[3:4]
; %bb.10915:                            ;   in Loop: Header=BB6_8948 Depth=3
	s_andn2_saveexec_b64 s[28:29], s[28:29]
; %bb.10916:                            ;   in Loop: Header=BB6_8948 Depth=3
	v_bfe_u32 v5, v3, 23, 1
; %bb.10917:                            ;   in Loop: Header=BB6_8948 Depth=3
	s_or_b64 exec, exec, s[28:29]
	v_lshrrev_b64 v[3:4], 21, v[3:4]
	v_cmp_gt_i32_e32 vcc, 32, v5
	v_cndmask_b32_e32 v4, 0, v4, vcc
	v_cndmask_b32_e32 v3, 3, v3, vcc
	v_cmp_eq_u64_e64 s[28:29], 0, v[3:4]
	v_min_i32_e32 v4, 31, v5
	v_lshlrev_b32_e32 v4, 2, v4
	v_cmp_eq_u32_e32 vcc, 0, v5
	v_and_b32_e32 v4, 0xfc, v4
	v_and_or_b32 v3, v3, 3, v4
	s_and_b64 s[28:29], vcc, s[28:29]
	v_cndmask_b32_e64 v3, v3, 0, s[28:29]
	v_or_b32_e32 v47, v3, v0
.LBB6_10918:                            ;   in Loop: Header=BB6_8948 Depth=3
	s_or_b64 exec, exec, s[36:37]
                                        ; implicit-def: $vgpr0
.LBB6_10919:                            ;   in Loop: Header=BB6_8948 Depth=3
	s_andn2_saveexec_b64 s[28:29], s[34:35]
; %bb.10920:                            ;   in Loop: Header=BB6_8948 Depth=3
	v_or_b32_e32 v47, 0x7b, v0
; %bb.10921:                            ;   in Loop: Header=BB6_8948 Depth=3
	s_or_b64 exec, exec, s[28:29]
                                        ; implicit-def: $vgpr5
                                        ; implicit-def: $vgpr3_vgpr4
.LBB6_10922:                            ;   in Loop: Header=BB6_8948 Depth=3
	s_andn2_saveexec_b64 s[28:29], s[30:31]
	s_cbranch_execz .LBB6_10928
; %bb.10923:                            ;   in Loop: Header=BB6_8948 Depth=3
	v_cmp_ne_u64_e32 vcc, 0, v[3:4]
                                        ; implicit-def: $vgpr47
	s_and_saveexec_b64 s[30:31], vcc
	s_xor_b64 vcc, exec, s[30:31]
; %bb.10924:                            ;   in Loop: Header=BB6_8948 Depth=3
	v_or_b32_sdwa v47, v5, s83 dst_sel:DWORD dst_unused:UNUSED_PAD src0_sel:BYTE_3 src1_sel:DWORD
                                        ; implicit-def: $vgpr5
; %bb.10925:                            ;   in Loop: Header=BB6_8948 Depth=3
	s_andn2_saveexec_b64 s[30:31], vcc
; %bb.10926:                            ;   in Loop: Header=BB6_8948 Depth=3
	v_cmp_lt_i32_e32 vcc, -1, v5
	v_bfrev_b32_e32 v0, 0.5
	v_mov_b32_e32 v3, 0x7c
	v_cndmask_b32_e32 v47, v0, v3, vcc
; %bb.10927:                            ;   in Loop: Header=BB6_8948 Depth=3
	s_or_b64 exec, exec, s[30:31]
.LBB6_10928:                            ;   in Loop: Header=BB6_8948 Depth=3
	s_or_b64 exec, exec, s[28:29]
	v_cmp_lt_u64_e32 vcc, s[56:57], v[12:13]
	v_mov_b32_e32 v3, 0
	v_mov_b32_e32 v4, 0
	s_and_saveexec_b64 s[28:29], vcc
	s_cbranch_execz .LBB6_10936
; %bb.10929:                            ;   in Loop: Header=BB6_8948 Depth=3
	v_lshrrev_b32_e32 v0, 24, v13
	v_cmp_ne_u32_e32 vcc, s44, v0
	v_bfrev_b32_e32 v4, 1
	s_and_saveexec_b64 s[30:31], vcc
	s_cbranch_execz .LBB6_10935
; %bb.10930:                            ;   in Loop: Header=BB6_8948 Depth=3
	v_and_b32_e32 v4, 0x7c000000, v13
	v_bfe_u32 v5, v13, 24, 2
	v_cmp_ne_u32_e32 vcc, s8, v4
                                        ; implicit-def: $vgpr4
	s_and_saveexec_b64 s[34:35], vcc
	s_xor_b64 s[34:35], exec, s[34:35]
	s_cbranch_execz .LBB6_10932
; %bb.10931:                            ;   in Loop: Header=BB6_8948 Depth=3
	v_ffbh_u32_e32 v6, v5
	v_min_u32_e32 v6, 32, v6
	v_subrev_u32_e32 v32, 29, v6
	v_lshlrev_b64 v[38:39], v32, v[0:1]
	v_bfe_u32 v4, v13, 26, 5
	v_sub_u32_e32 v0, 30, v6
	v_and_b32_e32 v6, 3, v38
	v_cmp_eq_u32_e32 vcc, 0, v4
	v_cndmask_b32_e32 v0, v4, v0, vcc
	v_cndmask_b32_e32 v4, v5, v6, vcc
	v_and_b32_e32 v5, 0x80000000, v13
	v_lshl_add_u32 v0, v0, 23, v5
	v_lshl_or_b32 v0, v4, 21, v0
	v_add_u32_e32 v4, 0x38000000, v0
                                        ; implicit-def: $vgpr5
.LBB6_10932:                            ;   in Loop: Header=BB6_8948 Depth=3
	s_andn2_saveexec_b64 s[34:35], s[34:35]
; %bb.10933:                            ;   in Loop: Header=BB6_8948 Depth=3
	v_cmp_lt_i64_e32 vcc, -1, v[12:13]
	v_mov_b32_e32 v0, 0xff800000
	v_mov_b32_e32 v4, 0x7f800000
	v_cndmask_b32_e32 v0, v0, v4, vcc
	v_cmp_eq_u32_e32 vcc, 0, v5
	v_mov_b32_e32 v4, 0x7f800001
	v_cndmask_b32_e32 v4, v4, v0, vcc
; %bb.10934:                            ;   in Loop: Header=BB6_8948 Depth=3
	s_or_b64 exec, exec, s[34:35]
.LBB6_10935:                            ;   in Loop: Header=BB6_8948 Depth=3
	s_or_b64 exec, exec, s[30:31]
.LBB6_10936:                            ;   in Loop: Header=BB6_8948 Depth=3
	s_or_b64 exec, exec, s[28:29]
	v_cmp_lt_u64_e32 vcc, s[56:57], v[8:9]
	s_and_saveexec_b64 s[28:29], vcc
	s_cbranch_execz .LBB6_10944
; %bb.10937:                            ;   in Loop: Header=BB6_8948 Depth=3
	v_lshrrev_b32_e32 v0, 24, v9
	v_cmp_ne_u32_e32 vcc, s44, v0
	v_bfrev_b32_e32 v3, 1
	s_and_saveexec_b64 s[30:31], vcc
	s_cbranch_execz .LBB6_10943
; %bb.10938:                            ;   in Loop: Header=BB6_8948 Depth=3
	v_and_b32_e32 v3, 0x7c000000, v9
	v_bfe_u32 v5, v9, 24, 2
	v_cmp_ne_u32_e32 vcc, s8, v3
                                        ; implicit-def: $vgpr3
	s_and_saveexec_b64 s[34:35], vcc
	s_xor_b64 s[34:35], exec, s[34:35]
	s_cbranch_execz .LBB6_10940
; %bb.10939:                            ;   in Loop: Header=BB6_8948 Depth=3
	v_ffbh_u32_e32 v6, v5
	v_min_u32_e32 v6, 32, v6
	v_subrev_u32_e32 v12, 29, v6
	v_lshlrev_b64 v[12:13], v12, v[0:1]
	v_bfe_u32 v3, v9, 26, 5
	v_sub_u32_e32 v0, 30, v6
	v_and_b32_e32 v6, 3, v12
	v_cmp_eq_u32_e32 vcc, 0, v3
	v_cndmask_b32_e32 v0, v3, v0, vcc
	v_cndmask_b32_e32 v3, v5, v6, vcc
	v_and_b32_e32 v5, 0x80000000, v9
	v_lshl_add_u32 v0, v0, 23, v5
	v_lshl_or_b32 v0, v3, 21, v0
	v_add_u32_e32 v3, 0x38000000, v0
                                        ; implicit-def: $vgpr5
.LBB6_10940:                            ;   in Loop: Header=BB6_8948 Depth=3
	s_andn2_saveexec_b64 s[34:35], s[34:35]
; %bb.10941:                            ;   in Loop: Header=BB6_8948 Depth=3
	v_cmp_lt_i64_e32 vcc, -1, v[8:9]
	v_mov_b32_e32 v0, 0xff800000
	v_mov_b32_e32 v3, 0x7f800000
	v_cndmask_b32_e32 v0, v0, v3, vcc
	v_cmp_eq_u32_e32 vcc, 0, v5
	v_mov_b32_e32 v3, 0x7f800001
	v_cndmask_b32_e32 v3, v3, v0, vcc
; %bb.10942:                            ;   in Loop: Header=BB6_8948 Depth=3
	s_or_b64 exec, exec, s[34:35]
.LBB6_10943:                            ;   in Loop: Header=BB6_8948 Depth=3
	s_or_b64 exec, exec, s[30:31]
.LBB6_10944:                            ;   in Loop: Header=BB6_8948 Depth=3
	s_or_b64 exec, exec, s[28:29]
	v_mul_f32_e32 v5, v4, v3
	v_and_b32_e32 v8, 0x7f800000, v5
	v_mov_b32_e32 v9, v34
	v_cmp_ne_u64_e32 vcc, s[76:77], v[8:9]
	v_and_b32_e32 v3, 0x7fffff, v5
	v_mov_b32_e32 v4, v34
                                        ; implicit-def: $vgpr8
	s_and_saveexec_b64 s[28:29], vcc
	s_xor_b64 s[30:31], exec, s[28:29]
	s_cbranch_execz .LBB6_10958
; %bb.10945:                            ;   in Loop: Header=BB6_8948 Depth=3
	v_and_b32_e32 v8, 0x7fffffff, v5
	v_mov_b32_e32 v9, v34
	v_cmp_gt_u64_e32 vcc, s[78:79], v[8:9]
	v_and_b32_sdwa v0, v5, s44 dst_sel:DWORD dst_unused:UNUSED_PAD src0_sel:BYTE_3 src1_sel:DWORD
                                        ; implicit-def: $vgpr8
	s_and_saveexec_b64 s[28:29], vcc
	s_xor_b64 s[34:35], exec, s[28:29]
	s_cbranch_execz .LBB6_10955
; %bb.10946:                            ;   in Loop: Header=BB6_8948 Depth=3
	v_mov_b32_e32 v8, 0
	v_cmp_ne_u32_e32 vcc, 0, v5
	s_and_saveexec_b64 s[36:37], vcc
	s_cbranch_execz .LBB6_10954
; %bb.10947:                            ;   in Loop: Header=BB6_8948 Depth=3
	v_bfe_u32 v6, v5, 23, 8
	v_cmp_gt_u32_e64 s[28:29], s45, v6
	v_sub_u32_e32 v5, 0x71, v6
	v_cmp_eq_u32_e32 vcc, 0, v6
	v_cndmask_b32_e64 v5, 0, v5, s[28:29]
	v_mov_b32_e32 v8, 0x70
	v_cndmask_b32_e32 v8, v5, v8, vcc
	v_add_u32_e32 v5, 21, v8
	v_or_b32_e32 v9, 0x800000, v3
	v_lshlrev_b64 v[12:13], v5, -1
	v_cndmask_b32_e32 v3, v9, v3, vcc
	v_add_u32_e32 v5, 20, v8
	v_bfi_b32 v12, v12, 0, v3
	v_lshlrev_b64 v[38:39], v5, 1
	v_lshrrev_b64 v[3:4], v8, v[3:4]
	v_bfi_b32 v13, v13, 0, 0
	v_cmp_eq_u64_e64 s[28:29], v[12:13], v[38:39]
	v_mov_b32_e32 v5, v4
	v_mov_b32_e32 v4, v3
	s_and_saveexec_b64 s[38:39], s[28:29]
; %bb.10948:                            ;   in Loop: Header=BB6_8948 Depth=3
	v_bfe_u32 v4, v3, 21, 1
	v_add_co_u32_e64 v4, s[28:29], v3, v4
	v_add_co_u32_e64 v4, s[28:29], -1, v4
; %bb.10949:                            ;   in Loop: Header=BB6_8948 Depth=3
	s_or_b64 exec, exec, s[38:39]
	v_add_u32_e32 v5, 0xffffff81, v6
	v_mov_b32_e32 v6, 0xffffff82
	v_cndmask_b32_e32 v5, v5, v6, vcc
	v_lshrrev_b32_e32 v6, 23, v3
	v_add3_u32 v8, v8, v5, v6
	v_add_u32_e32 v6, 14, v8
	v_and_b32_e32 v4, 0x1fffff, v4
	v_add_u32_e32 v3, v4, v3
	v_mov_b32_e32 v4, v34
	v_cmp_ne_u32_e32 vcc, 0, v6
                                        ; implicit-def: $vgpr5
	s_and_saveexec_b64 s[28:29], vcc
	s_xor_b64 s[28:29], exec, s[28:29]
; %bb.10950:                            ;   in Loop: Header=BB6_8948 Depth=3
	v_cmp_lt_u64_e32 vcc, s[88:89], v[3:4]
	v_add_u32_e32 v5, 15, v8
	v_cndmask_b32_e32 v5, v6, v5, vcc
	v_cndmask_b32_e64 v6, 0, 1, vcc
	v_lshrrev_b64 v[3:4], v6, v[3:4]
; %bb.10951:                            ;   in Loop: Header=BB6_8948 Depth=3
	s_andn2_saveexec_b64 s[28:29], s[28:29]
; %bb.10952:                            ;   in Loop: Header=BB6_8948 Depth=3
	v_bfe_u32 v5, v3, 23, 1
; %bb.10953:                            ;   in Loop: Header=BB6_8948 Depth=3
	s_or_b64 exec, exec, s[28:29]
	v_lshrrev_b64 v[3:4], 21, v[3:4]
	v_cmp_gt_i32_e32 vcc, 32, v5
	v_cndmask_b32_e32 v4, 0, v4, vcc
	v_cndmask_b32_e32 v3, 3, v3, vcc
	v_cmp_eq_u64_e64 s[28:29], 0, v[3:4]
	v_min_i32_e32 v4, 31, v5
	v_lshlrev_b32_e32 v4, 2, v4
	v_cmp_eq_u32_e32 vcc, 0, v5
	v_and_b32_e32 v4, 0xfc, v4
	v_and_or_b32 v3, v3, 3, v4
	s_and_b64 s[28:29], vcc, s[28:29]
	v_cndmask_b32_e64 v3, v3, 0, s[28:29]
	v_or_b32_e32 v8, v3, v0
.LBB6_10954:                            ;   in Loop: Header=BB6_8948 Depth=3
	s_or_b64 exec, exec, s[36:37]
                                        ; implicit-def: $vgpr0
.LBB6_10955:                            ;   in Loop: Header=BB6_8948 Depth=3
	s_andn2_saveexec_b64 s[28:29], s[34:35]
; %bb.10956:                            ;   in Loop: Header=BB6_8948 Depth=3
	v_or_b32_e32 v8, 0x7b, v0
; %bb.10957:                            ;   in Loop: Header=BB6_8948 Depth=3
	s_or_b64 exec, exec, s[28:29]
                                        ; implicit-def: $vgpr5
                                        ; implicit-def: $vgpr3_vgpr4
.LBB6_10958:                            ;   in Loop: Header=BB6_8948 Depth=3
	s_andn2_saveexec_b64 s[28:29], s[30:31]
	s_cbranch_execz .LBB6_10964
; %bb.10959:                            ;   in Loop: Header=BB6_8948 Depth=3
	v_cmp_ne_u64_e32 vcc, 0, v[3:4]
                                        ; implicit-def: $vgpr8
	s_and_saveexec_b64 s[30:31], vcc
	s_xor_b64 vcc, exec, s[30:31]
; %bb.10960:                            ;   in Loop: Header=BB6_8948 Depth=3
	v_or_b32_sdwa v8, v5, s83 dst_sel:DWORD dst_unused:UNUSED_PAD src0_sel:BYTE_3 src1_sel:DWORD
                                        ; implicit-def: $vgpr5
; %bb.10961:                            ;   in Loop: Header=BB6_8948 Depth=3
	s_andn2_saveexec_b64 s[30:31], vcc
; %bb.10962:                            ;   in Loop: Header=BB6_8948 Depth=3
	v_cmp_lt_i32_e32 vcc, -1, v5
	v_bfrev_b32_e32 v0, 0.5
	v_mov_b32_e32 v3, 0x7c
	v_cndmask_b32_e32 v8, v0, v3, vcc
; %bb.10963:                            ;   in Loop: Header=BB6_8948 Depth=3
	s_or_b64 exec, exec, s[30:31]
.LBB6_10964:                            ;   in Loop: Header=BB6_8948 Depth=3
	s_or_b64 exec, exec, s[28:29]
	v_cmp_ne_u16_sdwa vcc, v14, v34 src0_sel:BYTE_0 src1_sel:DWORD
	v_mov_b32_e32 v0, 0
	v_mov_b32_e32 v3, 0
	s_and_saveexec_b64 s[28:29], vcc
	s_cbranch_execz .LBB6_10972
; %bb.10965:                            ;   in Loop: Header=BB6_8948 Depth=3
	v_cmp_ne_u16_sdwa vcc, sext(v14), s80 src0_sel:BYTE_0 src1_sel:DWORD
	v_bfrev_b32_e32 v3, 1
	s_and_saveexec_b64 s[30:31], vcc
	s_cbranch_execz .LBB6_10971
; %bb.10966:                            ;   in Loop: Header=BB6_8948 Depth=3
	v_and_b32_e32 v3, 0x7c, v14
	v_and_b32_e32 v4, 3, v14
	v_cmp_ne_u32_e32 vcc, s81, v3
                                        ; implicit-def: $vgpr3
	s_and_saveexec_b64 s[34:35], vcc
	s_xor_b64 s[34:35], exec, s[34:35]
	s_cbranch_execz .LBB6_10968
; %bb.10967:                            ;   in Loop: Header=BB6_8948 Depth=3
	v_ffbh_u32_e32 v5, v4
	v_min_u32_e32 v9, 32, v5
	v_subrev_u32_e32 v5, 29, v9
	v_lshlrev_b64 v[5:6], v5, v[14:15]
	v_bfe_u32 v3, v14, 2, 5
	v_and_b32_e32 v5, 3, v5
	v_cmp_eq_u32_e32 vcc, 0, v3
	v_sub_u32_e32 v6, 30, v9
	v_cndmask_b32_e32 v4, v4, v5, vcc
	v_lshlrev_b32_e32 v5, 24, v14
	v_cndmask_b32_e32 v3, v3, v6, vcc
	v_and_b32_e32 v5, 0x80000000, v5
	v_lshl_add_u32 v3, v3, 23, v5
	v_lshl_or_b32 v3, v4, 21, v3
	v_add_u32_e32 v3, 0x38000000, v3
                                        ; implicit-def: $vgpr4
.LBB6_10968:                            ;   in Loop: Header=BB6_8948 Depth=3
	s_andn2_saveexec_b64 s[34:35], s[34:35]
; %bb.10969:                            ;   in Loop: Header=BB6_8948 Depth=3
	v_mov_b32_e32 v3, -1
	v_cmp_gt_i16_sdwa vcc, sext(v14), v3 src0_sel:BYTE_0 src1_sel:DWORD
	v_mov_b32_e32 v3, 0xff800000
	v_mov_b32_e32 v5, 0x7f800000
	v_cndmask_b32_e32 v3, v3, v5, vcc
	v_cmp_eq_u32_e32 vcc, 0, v4
	v_mov_b32_e32 v4, 0x7f800001
	v_cndmask_b32_e32 v3, v4, v3, vcc
; %bb.10970:                            ;   in Loop: Header=BB6_8948 Depth=3
	s_or_b64 exec, exec, s[34:35]
.LBB6_10971:                            ;   in Loop: Header=BB6_8948 Depth=3
	s_or_b64 exec, exec, s[30:31]
.LBB6_10972:                            ;   in Loop: Header=BB6_8948 Depth=3
	s_or_b64 exec, exec, s[28:29]
	v_cmp_ne_u16_sdwa vcc, v10, v34 src0_sel:BYTE_0 src1_sel:DWORD
	s_and_saveexec_b64 s[28:29], vcc
	s_cbranch_execz .LBB6_10980
; %bb.10973:                            ;   in Loop: Header=BB6_8948 Depth=3
	v_cmp_ne_u16_sdwa vcc, sext(v10), s80 src0_sel:BYTE_0 src1_sel:DWORD
	v_bfrev_b32_e32 v0, 1
	s_and_saveexec_b64 s[30:31], vcc
	s_cbranch_execz .LBB6_10979
; %bb.10974:                            ;   in Loop: Header=BB6_8948 Depth=3
	v_and_b32_e32 v0, 0x7c, v10
	v_and_b32_e32 v4, 3, v10
	v_cmp_ne_u32_e32 vcc, s81, v0
                                        ; implicit-def: $vgpr0
	s_and_saveexec_b64 s[34:35], vcc
	s_xor_b64 s[34:35], exec, s[34:35]
	s_cbranch_execz .LBB6_10976
; %bb.10975:                            ;   in Loop: Header=BB6_8948 Depth=3
	v_ffbh_u32_e32 v5, v4
	v_min_u32_e32 v9, 32, v5
	v_subrev_u32_e32 v5, 29, v9
	v_lshlrev_b64 v[5:6], v5, v[10:11]
	v_bfe_u32 v0, v10, 2, 5
	v_and_b32_e32 v5, 3, v5
	v_cmp_eq_u32_e32 vcc, 0, v0
	v_sub_u32_e32 v6, 30, v9
	v_cndmask_b32_e32 v4, v4, v5, vcc
	v_lshlrev_b32_e32 v5, 24, v10
	v_cndmask_b32_e32 v0, v0, v6, vcc
	v_and_b32_e32 v5, 0x80000000, v5
	v_lshl_add_u32 v0, v0, 23, v5
	v_lshl_or_b32 v0, v4, 21, v0
	v_add_u32_e32 v0, 0x38000000, v0
                                        ; implicit-def: $vgpr4
.LBB6_10976:                            ;   in Loop: Header=BB6_8948 Depth=3
	s_andn2_saveexec_b64 s[34:35], s[34:35]
; %bb.10977:                            ;   in Loop: Header=BB6_8948 Depth=3
	v_mov_b32_e32 v0, -1
	v_cmp_gt_i16_sdwa vcc, sext(v10), v0 src0_sel:BYTE_0 src1_sel:DWORD
	v_mov_b32_e32 v0, 0xff800000
	v_mov_b32_e32 v5, 0x7f800000
	v_cndmask_b32_e32 v0, v0, v5, vcc
	v_cmp_eq_u32_e32 vcc, 0, v4
	v_mov_b32_e32 v4, 0x7f800001
	v_cndmask_b32_e32 v0, v4, v0, vcc
; %bb.10978:                            ;   in Loop: Header=BB6_8948 Depth=3
	s_or_b64 exec, exec, s[34:35]
.LBB6_10979:                            ;   in Loop: Header=BB6_8948 Depth=3
	s_or_b64 exec, exec, s[30:31]
.LBB6_10980:                            ;   in Loop: Header=BB6_8948 Depth=3
	s_or_b64 exec, exec, s[28:29]
	v_mul_f32_e32 v5, v3, v0
	v_and_b32_e32 v12, 0x7f800000, v5
	v_mov_b32_e32 v13, v34
	v_cmp_ne_u64_e32 vcc, s[76:77], v[12:13]
	v_and_b32_e32 v3, 0x7fffff, v5
	v_mov_b32_e32 v4, v34
                                        ; implicit-def: $vgpr9
	s_and_saveexec_b64 s[28:29], vcc
	s_xor_b64 s[30:31], exec, s[28:29]
	s_cbranch_execz .LBB6_10994
; %bb.10981:                            ;   in Loop: Header=BB6_8948 Depth=3
	v_and_b32_e32 v12, 0x7fffffff, v5
	v_mov_b32_e32 v13, v34
	v_cmp_gt_u64_e32 vcc, s[78:79], v[12:13]
	v_and_b32_sdwa v0, v5, s44 dst_sel:DWORD dst_unused:UNUSED_PAD src0_sel:BYTE_3 src1_sel:DWORD
                                        ; implicit-def: $vgpr9
	s_and_saveexec_b64 s[28:29], vcc
	s_xor_b64 s[34:35], exec, s[28:29]
	s_cbranch_execz .LBB6_10991
; %bb.10982:                            ;   in Loop: Header=BB6_8948 Depth=3
	v_mov_b32_e32 v9, 0
	v_cmp_ne_u32_e32 vcc, 0, v5
	s_and_saveexec_b64 s[36:37], vcc
	s_cbranch_execz .LBB6_10990
; %bb.10983:                            ;   in Loop: Header=BB6_8948 Depth=3
	v_bfe_u32 v6, v5, 23, 8
	v_cmp_gt_u32_e64 s[28:29], s45, v6
	v_sub_u32_e32 v5, 0x71, v6
	v_cmp_eq_u32_e32 vcc, 0, v6
	v_cndmask_b32_e64 v5, 0, v5, s[28:29]
	v_mov_b32_e32 v9, 0x70
	v_cndmask_b32_e32 v9, v5, v9, vcc
	v_or_b32_e32 v12, 0x800000, v3
	v_add_u32_e32 v5, 21, v9
	v_cndmask_b32_e32 v3, v12, v3, vcc
	v_lshlrev_b64 v[12:13], v5, -1
	v_add_u32_e32 v5, 20, v9
	v_bfi_b32 v12, v12, 0, v3
	v_lshlrev_b64 v[38:39], v5, 1
	v_lshrrev_b64 v[3:4], v9, v[3:4]
	v_bfi_b32 v13, v13, 0, 0
	v_cmp_eq_u64_e64 s[28:29], v[12:13], v[38:39]
	v_mov_b32_e32 v5, v4
	v_mov_b32_e32 v4, v3
	s_and_saveexec_b64 s[38:39], s[28:29]
; %bb.10984:                            ;   in Loop: Header=BB6_8948 Depth=3
	v_bfe_u32 v4, v3, 21, 1
	v_add_co_u32_e64 v4, s[28:29], v3, v4
	v_add_co_u32_e64 v4, s[28:29], -1, v4
; %bb.10985:                            ;   in Loop: Header=BB6_8948 Depth=3
	s_or_b64 exec, exec, s[38:39]
	v_add_u32_e32 v5, 0xffffff81, v6
	v_mov_b32_e32 v6, 0xffffff82
	v_cndmask_b32_e32 v5, v5, v6, vcc
	v_lshrrev_b32_e32 v6, 23, v3
	v_add3_u32 v9, v9, v5, v6
	v_add_u32_e32 v6, 14, v9
	v_and_b32_e32 v4, 0x1fffff, v4
	v_add_u32_e32 v3, v4, v3
	v_mov_b32_e32 v4, v34
	v_cmp_ne_u32_e32 vcc, 0, v6
                                        ; implicit-def: $vgpr5
	s_and_saveexec_b64 s[28:29], vcc
	s_xor_b64 s[28:29], exec, s[28:29]
; %bb.10986:                            ;   in Loop: Header=BB6_8948 Depth=3
	v_cmp_lt_u64_e32 vcc, s[88:89], v[3:4]
	v_add_u32_e32 v5, 15, v9
	v_cndmask_b32_e32 v5, v6, v5, vcc
	v_cndmask_b32_e64 v6, 0, 1, vcc
	v_lshrrev_b64 v[3:4], v6, v[3:4]
; %bb.10987:                            ;   in Loop: Header=BB6_8948 Depth=3
	s_andn2_saveexec_b64 s[28:29], s[28:29]
; %bb.10988:                            ;   in Loop: Header=BB6_8948 Depth=3
	v_bfe_u32 v5, v3, 23, 1
; %bb.10989:                            ;   in Loop: Header=BB6_8948 Depth=3
	s_or_b64 exec, exec, s[28:29]
	v_lshrrev_b64 v[3:4], 21, v[3:4]
	v_cmp_gt_i32_e32 vcc, 32, v5
	v_cndmask_b32_e32 v4, 0, v4, vcc
	v_cndmask_b32_e32 v3, 3, v3, vcc
	v_cmp_eq_u64_e64 s[28:29], 0, v[3:4]
	v_min_i32_e32 v4, 31, v5
	v_lshlrev_b32_e32 v4, 2, v4
	v_cmp_eq_u32_e32 vcc, 0, v5
	v_and_b32_e32 v4, 0xfc, v4
	v_and_or_b32 v3, v3, 3, v4
	s_and_b64 s[28:29], vcc, s[28:29]
	v_cndmask_b32_e64 v3, v3, 0, s[28:29]
	v_or_b32_e32 v9, v3, v0
.LBB6_10990:                            ;   in Loop: Header=BB6_8948 Depth=3
	s_or_b64 exec, exec, s[36:37]
                                        ; implicit-def: $vgpr0
.LBB6_10991:                            ;   in Loop: Header=BB6_8948 Depth=3
	s_andn2_saveexec_b64 s[28:29], s[34:35]
; %bb.10992:                            ;   in Loop: Header=BB6_8948 Depth=3
	v_or_b32_e32 v9, 0x7b, v0
; %bb.10993:                            ;   in Loop: Header=BB6_8948 Depth=3
	s_or_b64 exec, exec, s[28:29]
                                        ; implicit-def: $vgpr5
                                        ; implicit-def: $vgpr3_vgpr4
.LBB6_10994:                            ;   in Loop: Header=BB6_8948 Depth=3
	s_andn2_saveexec_b64 s[28:29], s[30:31]
	s_cbranch_execz .LBB6_11000
; %bb.10995:                            ;   in Loop: Header=BB6_8948 Depth=3
	v_cmp_ne_u64_e32 vcc, 0, v[3:4]
                                        ; implicit-def: $vgpr9
	s_and_saveexec_b64 s[30:31], vcc
	s_xor_b64 vcc, exec, s[30:31]
; %bb.10996:                            ;   in Loop: Header=BB6_8948 Depth=3
	v_or_b32_sdwa v9, v5, s83 dst_sel:DWORD dst_unused:UNUSED_PAD src0_sel:BYTE_3 src1_sel:DWORD
                                        ; implicit-def: $vgpr5
; %bb.10997:                            ;   in Loop: Header=BB6_8948 Depth=3
	s_andn2_saveexec_b64 s[30:31], vcc
; %bb.10998:                            ;   in Loop: Header=BB6_8948 Depth=3
	v_cmp_lt_i32_e32 vcc, -1, v5
	v_bfrev_b32_e32 v0, 0.5
	v_mov_b32_e32 v3, 0x7c
	v_cndmask_b32_e32 v9, v0, v3, vcc
; %bb.10999:                            ;   in Loop: Header=BB6_8948 Depth=3
	s_or_b64 exec, exec, s[30:31]
.LBB6_11000:                            ;   in Loop: Header=BB6_8948 Depth=3
	s_or_b64 exec, exec, s[28:29]
	v_lshrrev_b16_e32 v3, 8, v14
	v_cmp_ne_u16_e32 vcc, 0, v3
	v_mov_b32_e32 v0, 0
	v_mov_b32_e32 v5, 0
	s_and_saveexec_b64 s[28:29], vcc
	s_cbranch_execz .LBB6_11008
; %bb.11001:                            ;   in Loop: Header=BB6_8948 Depth=3
	v_cmp_ne_u16_e32 vcc, s44, v3
	v_bfrev_b32_e32 v5, 1
	s_and_saveexec_b64 s[30:31], vcc
	s_cbranch_execz .LBB6_11007
; %bb.11002:                            ;   in Loop: Header=BB6_8948 Depth=3
	v_and_b32_e32 v4, 0x7c, v3
	v_and_b32_e32 v6, 3, v3
	v_cmp_ne_u32_e32 vcc, s81, v4
                                        ; implicit-def: $vgpr5
	s_and_saveexec_b64 s[34:35], vcc
	s_xor_b64 s[34:35], exec, s[34:35]
	s_cbranch_execz .LBB6_11004
; %bb.11003:                            ;   in Loop: Header=BB6_8948 Depth=3
	v_ffbh_u32_e32 v12, v6
	v_min_u32_e32 v12, 32, v12
	v_mov_b32_e32 v4, v34
	v_subrev_u32_e32 v13, 29, v12
	v_bfe_u32 v5, v3, 2, 5
	v_lshlrev_b64 v[3:4], v13, v[3:4]
	v_sub_u32_e32 v4, 30, v12
	v_cmp_eq_u32_e32 vcc, 0, v5
	v_cndmask_b32_e32 v4, v5, v4, vcc
	v_lshlrev_b32_e32 v5, 16, v14
	v_and_b32_e32 v3, 3, v3
	v_and_b32_e32 v5, 0x80000000, v5
	v_cndmask_b32_e32 v3, v6, v3, vcc
	v_lshl_add_u32 v4, v4, 23, v5
	v_lshl_or_b32 v3, v3, 21, v4
	v_add_u32_e32 v5, 0x38000000, v3
                                        ; implicit-def: $vgpr6
.LBB6_11004:                            ;   in Loop: Header=BB6_8948 Depth=3
	s_andn2_saveexec_b64 s[34:35], s[34:35]
; %bb.11005:                            ;   in Loop: Header=BB6_8948 Depth=3
	v_cmp_lt_i16_e32 vcc, -1, v14
	v_mov_b32_e32 v3, 0xff800000
	v_mov_b32_e32 v4, 0x7f800000
	v_cndmask_b32_e32 v3, v3, v4, vcc
	v_cmp_eq_u32_e32 vcc, 0, v6
	v_mov_b32_e32 v4, 0x7f800001
	v_cndmask_b32_e32 v5, v4, v3, vcc
; %bb.11006:                            ;   in Loop: Header=BB6_8948 Depth=3
	s_or_b64 exec, exec, s[34:35]
.LBB6_11007:                            ;   in Loop: Header=BB6_8948 Depth=3
	s_or_b64 exec, exec, s[30:31]
.LBB6_11008:                            ;   in Loop: Header=BB6_8948 Depth=3
	s_or_b64 exec, exec, s[28:29]
	v_lshrrev_b16_e32 v3, 8, v10
	v_cmp_ne_u16_e32 vcc, 0, v3
	s_and_saveexec_b64 s[28:29], vcc
	s_cbranch_execz .LBB6_11016
; %bb.11009:                            ;   in Loop: Header=BB6_8948 Depth=3
	v_cmp_ne_u16_e32 vcc, s44, v3
	v_bfrev_b32_e32 v0, 1
	s_and_saveexec_b64 s[30:31], vcc
	s_cbranch_execz .LBB6_11015
; %bb.11010:                            ;   in Loop: Header=BB6_8948 Depth=3
	v_and_b32_e32 v0, 0x7c, v3
	v_and_b32_e32 v6, 3, v3
	v_cmp_ne_u32_e32 vcc, s81, v0
                                        ; implicit-def: $vgpr0
	s_and_saveexec_b64 s[34:35], vcc
	s_xor_b64 s[34:35], exec, s[34:35]
	s_cbranch_execz .LBB6_11012
; %bb.11011:                            ;   in Loop: Header=BB6_8948 Depth=3
	v_ffbh_u32_e32 v12, v6
	v_min_u32_e32 v12, 32, v12
	v_mov_b32_e32 v4, v34
	v_subrev_u32_e32 v13, 29, v12
	v_bfe_u32 v0, v3, 2, 5
	v_lshlrev_b64 v[3:4], v13, v[3:4]
	v_sub_u32_e32 v4, 30, v12
	v_cmp_eq_u32_e32 vcc, 0, v0
	v_cndmask_b32_e32 v0, v0, v4, vcc
	v_lshlrev_b32_e32 v4, 16, v10
	v_and_b32_e32 v3, 3, v3
	v_and_b32_e32 v4, 0x80000000, v4
	v_cndmask_b32_e32 v3, v6, v3, vcc
	v_lshl_add_u32 v0, v0, 23, v4
	v_lshl_or_b32 v0, v3, 21, v0
	v_add_u32_e32 v0, 0x38000000, v0
                                        ; implicit-def: $vgpr6
.LBB6_11012:                            ;   in Loop: Header=BB6_8948 Depth=3
	s_andn2_saveexec_b64 s[34:35], s[34:35]
; %bb.11013:                            ;   in Loop: Header=BB6_8948 Depth=3
	v_cmp_lt_i16_e32 vcc, -1, v10
	v_mov_b32_e32 v0, 0xff800000
	v_mov_b32_e32 v3, 0x7f800000
	v_cndmask_b32_e32 v0, v0, v3, vcc
	v_cmp_eq_u32_e32 vcc, 0, v6
	v_mov_b32_e32 v3, 0x7f800001
	v_cndmask_b32_e32 v0, v3, v0, vcc
; %bb.11014:                            ;   in Loop: Header=BB6_8948 Depth=3
	s_or_b64 exec, exec, s[34:35]
.LBB6_11015:                            ;   in Loop: Header=BB6_8948 Depth=3
	s_or_b64 exec, exec, s[30:31]
.LBB6_11016:                            ;   in Loop: Header=BB6_8948 Depth=3
	s_or_b64 exec, exec, s[28:29]
	v_mul_f32_e32 v5, v5, v0
	v_and_b32_e32 v12, 0x7f800000, v5
	v_mov_b32_e32 v13, v34
	v_cmp_ne_u64_e32 vcc, s[76:77], v[12:13]
	v_and_b32_e32 v3, 0x7fffff, v5
	v_mov_b32_e32 v4, v34
                                        ; implicit-def: $vgpr12
	s_and_saveexec_b64 s[28:29], vcc
	s_xor_b64 s[30:31], exec, s[28:29]
	s_cbranch_execz .LBB6_11030
; %bb.11017:                            ;   in Loop: Header=BB6_8948 Depth=3
	v_and_b32_e32 v12, 0x7fffffff, v5
	v_mov_b32_e32 v13, v34
	v_cmp_gt_u64_e32 vcc, s[78:79], v[12:13]
	v_and_b32_sdwa v0, v5, s44 dst_sel:DWORD dst_unused:UNUSED_PAD src0_sel:BYTE_3 src1_sel:DWORD
                                        ; implicit-def: $vgpr12
	s_and_saveexec_b64 s[28:29], vcc
	s_xor_b64 s[34:35], exec, s[28:29]
	s_cbranch_execz .LBB6_11027
; %bb.11018:                            ;   in Loop: Header=BB6_8948 Depth=3
	v_mov_b32_e32 v12, 0
	v_cmp_ne_u32_e32 vcc, 0, v5
	s_and_saveexec_b64 s[36:37], vcc
	s_cbranch_execz .LBB6_11026
; %bb.11019:                            ;   in Loop: Header=BB6_8948 Depth=3
	v_bfe_u32 v6, v5, 23, 8
	v_cmp_gt_u32_e64 s[28:29], s45, v6
	v_sub_u32_e32 v5, 0x71, v6
	v_cmp_eq_u32_e32 vcc, 0, v6
	v_cndmask_b32_e64 v5, 0, v5, s[28:29]
	v_mov_b32_e32 v12, 0x70
	v_cndmask_b32_e32 v12, v5, v12, vcc
	v_add_u32_e32 v5, 21, v12
	v_or_b32_e32 v13, 0x800000, v3
	v_lshlrev_b64 v[38:39], v5, -1
	v_cndmask_b32_e32 v3, v13, v3, vcc
	v_add_u32_e32 v5, 20, v12
	v_bfi_b32 v38, v38, 0, v3
	v_lshlrev_b64 v[50:51], v5, 1
	v_lshrrev_b64 v[3:4], v12, v[3:4]
	v_bfi_b32 v39, v39, 0, 0
	v_cmp_eq_u64_e64 s[28:29], v[38:39], v[50:51]
	v_mov_b32_e32 v5, v4
	v_mov_b32_e32 v4, v3
	s_and_saveexec_b64 s[38:39], s[28:29]
; %bb.11020:                            ;   in Loop: Header=BB6_8948 Depth=3
	v_bfe_u32 v4, v3, 21, 1
	v_add_co_u32_e64 v4, s[28:29], v3, v4
	v_add_co_u32_e64 v4, s[28:29], -1, v4
; %bb.11021:                            ;   in Loop: Header=BB6_8948 Depth=3
	s_or_b64 exec, exec, s[38:39]
	v_add_u32_e32 v5, 0xffffff81, v6
	v_mov_b32_e32 v6, 0xffffff82
	v_cndmask_b32_e32 v5, v5, v6, vcc
	v_lshrrev_b32_e32 v6, 23, v3
	v_add3_u32 v12, v12, v5, v6
	v_add_u32_e32 v6, 14, v12
	v_and_b32_e32 v4, 0x1fffff, v4
	v_add_u32_e32 v3, v4, v3
	v_mov_b32_e32 v4, v34
	v_cmp_ne_u32_e32 vcc, 0, v6
                                        ; implicit-def: $vgpr5
	s_and_saveexec_b64 s[28:29], vcc
	s_xor_b64 s[28:29], exec, s[28:29]
; %bb.11022:                            ;   in Loop: Header=BB6_8948 Depth=3
	v_cmp_lt_u64_e32 vcc, s[88:89], v[3:4]
	v_add_u32_e32 v5, 15, v12
	v_cndmask_b32_e32 v5, v6, v5, vcc
	v_cndmask_b32_e64 v6, 0, 1, vcc
	v_lshrrev_b64 v[3:4], v6, v[3:4]
; %bb.11023:                            ;   in Loop: Header=BB6_8948 Depth=3
	s_andn2_saveexec_b64 s[28:29], s[28:29]
; %bb.11024:                            ;   in Loop: Header=BB6_8948 Depth=3
	v_bfe_u32 v5, v3, 23, 1
; %bb.11025:                            ;   in Loop: Header=BB6_8948 Depth=3
	s_or_b64 exec, exec, s[28:29]
	v_lshrrev_b64 v[3:4], 21, v[3:4]
	v_cmp_gt_i32_e32 vcc, 32, v5
	v_cndmask_b32_e32 v4, 0, v4, vcc
	v_cndmask_b32_e32 v3, 3, v3, vcc
	v_cmp_eq_u64_e64 s[28:29], 0, v[3:4]
	v_min_i32_e32 v4, 31, v5
	v_lshlrev_b32_e32 v4, 2, v4
	v_cmp_eq_u32_e32 vcc, 0, v5
	v_and_b32_e32 v4, 0xfc, v4
	v_and_or_b32 v3, v3, 3, v4
	s_and_b64 s[28:29], vcc, s[28:29]
	v_cndmask_b32_e64 v3, v3, 0, s[28:29]
	v_or_b32_e32 v12, v3, v0
.LBB6_11026:                            ;   in Loop: Header=BB6_8948 Depth=3
	s_or_b64 exec, exec, s[36:37]
                                        ; implicit-def: $vgpr0
.LBB6_11027:                            ;   in Loop: Header=BB6_8948 Depth=3
	s_andn2_saveexec_b64 s[28:29], s[34:35]
; %bb.11028:                            ;   in Loop: Header=BB6_8948 Depth=3
	v_or_b32_e32 v12, 0x7b, v0
; %bb.11029:                            ;   in Loop: Header=BB6_8948 Depth=3
	s_or_b64 exec, exec, s[28:29]
                                        ; implicit-def: $vgpr5
                                        ; implicit-def: $vgpr3_vgpr4
.LBB6_11030:                            ;   in Loop: Header=BB6_8948 Depth=3
	s_andn2_saveexec_b64 s[28:29], s[30:31]
	s_cbranch_execz .LBB6_11036
; %bb.11031:                            ;   in Loop: Header=BB6_8948 Depth=3
	v_cmp_ne_u64_e32 vcc, 0, v[3:4]
                                        ; implicit-def: $vgpr12
	s_and_saveexec_b64 s[30:31], vcc
	s_xor_b64 vcc, exec, s[30:31]
; %bb.11032:                            ;   in Loop: Header=BB6_8948 Depth=3
	v_or_b32_sdwa v12, v5, s83 dst_sel:DWORD dst_unused:UNUSED_PAD src0_sel:BYTE_3 src1_sel:DWORD
                                        ; implicit-def: $vgpr5
; %bb.11033:                            ;   in Loop: Header=BB6_8948 Depth=3
	s_andn2_saveexec_b64 s[30:31], vcc
; %bb.11034:                            ;   in Loop: Header=BB6_8948 Depth=3
	v_cmp_lt_i32_e32 vcc, -1, v5
	v_bfrev_b32_e32 v0, 0.5
	v_mov_b32_e32 v3, 0x7c
	v_cndmask_b32_e32 v12, v0, v3, vcc
; %bb.11035:                            ;   in Loop: Header=BB6_8948 Depth=3
	s_or_b64 exec, exec, s[30:31]
.LBB6_11036:                            ;   in Loop: Header=BB6_8948 Depth=3
	s_or_b64 exec, exec, s[28:29]
	v_lshrrev_b32_e32 v0, 16, v14
	v_cmp_ne_u16_sdwa vcc, v0, v34 src0_sel:BYTE_0 src1_sel:DWORD
	v_mov_b32_e32 v3, 0
	v_mov_b32_e32 v4, 0
	s_and_saveexec_b64 s[28:29], vcc
	s_cbranch_execz .LBB6_11044
; %bb.11037:                            ;   in Loop: Header=BB6_8948 Depth=3
	v_cmp_ne_u16_sdwa vcc, v0, s44 src0_sel:BYTE_0 src1_sel:DWORD
	v_bfrev_b32_e32 v4, 1
	s_and_saveexec_b64 s[30:31], vcc
	s_cbranch_execz .LBB6_11043
; %bb.11038:                            ;   in Loop: Header=BB6_8948 Depth=3
	v_and_b32_e32 v4, 0x7c0000, v14
	v_bfe_u32 v5, v14, 16, 2
	v_cmp_ne_u32_e32 vcc, s9, v4
                                        ; implicit-def: $vgpr4
	s_and_saveexec_b64 s[34:35], vcc
	s_xor_b64 s[34:35], exec, s[34:35]
	s_cbranch_execz .LBB6_11040
; %bb.11039:                            ;   in Loop: Header=BB6_8948 Depth=3
	v_ffbh_u32_e32 v6, v5
	v_min_u32_e32 v6, 32, v6
	v_subrev_u32_e32 v13, 29, v6
	v_lshlrev_b64 v[38:39], v13, v[0:1]
	v_bfe_u32 v4, v14, 18, 5
	v_sub_u32_e32 v0, 30, v6
	v_and_b32_e32 v6, 3, v38
	v_cmp_eq_u32_e32 vcc, 0, v4
	v_cndmask_b32_e32 v0, v4, v0, vcc
	v_cndmask_b32_e32 v4, v5, v6, vcc
	v_lshlrev_b32_e32 v5, 8, v14
	v_and_b32_e32 v5, 0x80000000, v5
	v_lshl_add_u32 v0, v0, 23, v5
	v_lshl_or_b32 v0, v4, 21, v0
	v_add_u32_e32 v4, 0x38000000, v0
                                        ; implicit-def: $vgpr5
                                        ; implicit-def: $vgpr0
.LBB6_11040:                            ;   in Loop: Header=BB6_8948 Depth=3
	s_andn2_saveexec_b64 s[34:35], s[34:35]
; %bb.11041:                            ;   in Loop: Header=BB6_8948 Depth=3
	v_mov_b32_e32 v4, -1
	v_cmp_gt_i16_sdwa vcc, sext(v0), v4 src0_sel:BYTE_0 src1_sel:DWORD
	v_mov_b32_e32 v0, 0xff800000
	v_mov_b32_e32 v4, 0x7f800000
	v_cndmask_b32_e32 v0, v0, v4, vcc
	v_cmp_eq_u32_e32 vcc, 0, v5
	v_mov_b32_e32 v4, 0x7f800001
	v_cndmask_b32_e32 v4, v4, v0, vcc
; %bb.11042:                            ;   in Loop: Header=BB6_8948 Depth=3
	s_or_b64 exec, exec, s[34:35]
.LBB6_11043:                            ;   in Loop: Header=BB6_8948 Depth=3
	s_or_b64 exec, exec, s[30:31]
.LBB6_11044:                            ;   in Loop: Header=BB6_8948 Depth=3
	s_or_b64 exec, exec, s[28:29]
	v_lshrrev_b32_e32 v0, 16, v10
	v_cmp_ne_u16_sdwa vcc, v0, v34 src0_sel:BYTE_0 src1_sel:DWORD
	s_and_saveexec_b64 s[28:29], vcc
	s_cbranch_execz .LBB6_11052
; %bb.11045:                            ;   in Loop: Header=BB6_8948 Depth=3
	v_cmp_ne_u16_sdwa vcc, v0, s44 src0_sel:BYTE_0 src1_sel:DWORD
	v_bfrev_b32_e32 v3, 1
	s_and_saveexec_b64 s[30:31], vcc
	s_cbranch_execz .LBB6_11051
; %bb.11046:                            ;   in Loop: Header=BB6_8948 Depth=3
	v_and_b32_e32 v3, 0x7c0000, v10
	v_bfe_u32 v5, v10, 16, 2
	v_cmp_ne_u32_e32 vcc, s9, v3
                                        ; implicit-def: $vgpr3
	s_and_saveexec_b64 s[34:35], vcc
	s_xor_b64 s[34:35], exec, s[34:35]
	s_cbranch_execz .LBB6_11048
; %bb.11047:                            ;   in Loop: Header=BB6_8948 Depth=3
	v_ffbh_u32_e32 v6, v5
	v_min_u32_e32 v6, 32, v6
	v_subrev_u32_e32 v13, 29, v6
	v_lshlrev_b64 v[38:39], v13, v[0:1]
	v_bfe_u32 v3, v10, 18, 5
	v_sub_u32_e32 v0, 30, v6
	v_and_b32_e32 v6, 3, v38
	v_cmp_eq_u32_e32 vcc, 0, v3
	v_cndmask_b32_e32 v0, v3, v0, vcc
	v_cndmask_b32_e32 v3, v5, v6, vcc
	v_lshlrev_b32_e32 v5, 8, v10
	v_and_b32_e32 v5, 0x80000000, v5
	v_lshl_add_u32 v0, v0, 23, v5
	v_lshl_or_b32 v0, v3, 21, v0
	v_add_u32_e32 v3, 0x38000000, v0
                                        ; implicit-def: $vgpr5
                                        ; implicit-def: $vgpr0
.LBB6_11048:                            ;   in Loop: Header=BB6_8948 Depth=3
	s_andn2_saveexec_b64 s[34:35], s[34:35]
; %bb.11049:                            ;   in Loop: Header=BB6_8948 Depth=3
	v_mov_b32_e32 v3, -1
	v_cmp_gt_i16_sdwa vcc, sext(v0), v3 src0_sel:BYTE_0 src1_sel:DWORD
	v_mov_b32_e32 v0, 0xff800000
	v_mov_b32_e32 v3, 0x7f800000
	v_cndmask_b32_e32 v0, v0, v3, vcc
	v_cmp_eq_u32_e32 vcc, 0, v5
	v_mov_b32_e32 v3, 0x7f800001
	v_cndmask_b32_e32 v3, v3, v0, vcc
; %bb.11050:                            ;   in Loop: Header=BB6_8948 Depth=3
	s_or_b64 exec, exec, s[34:35]
.LBB6_11051:                            ;   in Loop: Header=BB6_8948 Depth=3
	s_or_b64 exec, exec, s[30:31]
.LBB6_11052:                            ;   in Loop: Header=BB6_8948 Depth=3
	s_or_b64 exec, exec, s[28:29]
	v_mul_f32_e32 v5, v4, v3
	v_and_b32_e32 v38, 0x7f800000, v5
	v_mov_b32_e32 v39, v34
	v_cmp_ne_u64_e32 vcc, s[76:77], v[38:39]
	v_and_b32_e32 v3, 0x7fffff, v5
	v_mov_b32_e32 v4, v34
                                        ; implicit-def: $vgpr13
	s_and_saveexec_b64 s[28:29], vcc
	s_xor_b64 s[30:31], exec, s[28:29]
	s_cbranch_execz .LBB6_11066
; %bb.11053:                            ;   in Loop: Header=BB6_8948 Depth=3
	v_and_b32_e32 v38, 0x7fffffff, v5
	v_mov_b32_e32 v39, v34
	v_cmp_gt_u64_e32 vcc, s[78:79], v[38:39]
	v_and_b32_sdwa v0, v5, s44 dst_sel:DWORD dst_unused:UNUSED_PAD src0_sel:BYTE_3 src1_sel:DWORD
                                        ; implicit-def: $vgpr13
	s_and_saveexec_b64 s[28:29], vcc
	s_xor_b64 s[34:35], exec, s[28:29]
	s_cbranch_execz .LBB6_11063
; %bb.11054:                            ;   in Loop: Header=BB6_8948 Depth=3
	v_mov_b32_e32 v13, 0
	v_cmp_ne_u32_e32 vcc, 0, v5
	s_and_saveexec_b64 s[36:37], vcc
	s_cbranch_execz .LBB6_11062
; %bb.11055:                            ;   in Loop: Header=BB6_8948 Depth=3
	v_bfe_u32 v6, v5, 23, 8
	v_cmp_gt_u32_e64 s[28:29], s45, v6
	v_sub_u32_e32 v5, 0x71, v6
	v_cmp_eq_u32_e32 vcc, 0, v6
	v_cndmask_b32_e64 v5, 0, v5, s[28:29]
	v_mov_b32_e32 v13, 0x70
	v_cndmask_b32_e32 v13, v5, v13, vcc
	v_add_u32_e32 v5, 21, v13
	v_or_b32_e32 v32, 0x800000, v3
	v_lshlrev_b64 v[38:39], v5, -1
	v_cndmask_b32_e32 v3, v32, v3, vcc
	v_add_u32_e32 v5, 20, v13
	v_bfi_b32 v38, v38, 0, v3
	v_lshlrev_b64 v[50:51], v5, 1
	v_lshrrev_b64 v[3:4], v13, v[3:4]
	v_bfi_b32 v39, v39, 0, 0
	v_cmp_eq_u64_e64 s[28:29], v[38:39], v[50:51]
	v_mov_b32_e32 v5, v4
	v_mov_b32_e32 v4, v3
	s_and_saveexec_b64 s[38:39], s[28:29]
; %bb.11056:                            ;   in Loop: Header=BB6_8948 Depth=3
	v_bfe_u32 v4, v3, 21, 1
	v_add_co_u32_e64 v4, s[28:29], v3, v4
	v_add_co_u32_e64 v4, s[28:29], -1, v4
; %bb.11057:                            ;   in Loop: Header=BB6_8948 Depth=3
	s_or_b64 exec, exec, s[38:39]
	v_add_u32_e32 v5, 0xffffff81, v6
	v_mov_b32_e32 v6, 0xffffff82
	v_cndmask_b32_e32 v5, v5, v6, vcc
	v_lshrrev_b32_e32 v6, 23, v3
	v_add3_u32 v13, v13, v5, v6
	v_add_u32_e32 v6, 14, v13
	v_and_b32_e32 v4, 0x1fffff, v4
	v_add_u32_e32 v3, v4, v3
	v_mov_b32_e32 v4, v34
	v_cmp_ne_u32_e32 vcc, 0, v6
                                        ; implicit-def: $vgpr5
	s_and_saveexec_b64 s[28:29], vcc
	s_xor_b64 s[28:29], exec, s[28:29]
; %bb.11058:                            ;   in Loop: Header=BB6_8948 Depth=3
	v_cmp_lt_u64_e32 vcc, s[88:89], v[3:4]
	v_add_u32_e32 v5, 15, v13
	v_cndmask_b32_e32 v5, v6, v5, vcc
	v_cndmask_b32_e64 v6, 0, 1, vcc
	v_lshrrev_b64 v[3:4], v6, v[3:4]
; %bb.11059:                            ;   in Loop: Header=BB6_8948 Depth=3
	s_andn2_saveexec_b64 s[28:29], s[28:29]
; %bb.11060:                            ;   in Loop: Header=BB6_8948 Depth=3
	v_bfe_u32 v5, v3, 23, 1
; %bb.11061:                            ;   in Loop: Header=BB6_8948 Depth=3
	s_or_b64 exec, exec, s[28:29]
	v_lshrrev_b64 v[3:4], 21, v[3:4]
	v_cmp_gt_i32_e32 vcc, 32, v5
	v_cndmask_b32_e32 v4, 0, v4, vcc
	v_cndmask_b32_e32 v3, 3, v3, vcc
	v_cmp_eq_u64_e64 s[28:29], 0, v[3:4]
	v_min_i32_e32 v4, 31, v5
	v_lshlrev_b32_e32 v4, 2, v4
	v_cmp_eq_u32_e32 vcc, 0, v5
	v_and_b32_e32 v4, 0xfc, v4
	v_and_or_b32 v3, v3, 3, v4
	s_and_b64 s[28:29], vcc, s[28:29]
	v_cndmask_b32_e64 v3, v3, 0, s[28:29]
	v_or_b32_e32 v13, v3, v0
.LBB6_11062:                            ;   in Loop: Header=BB6_8948 Depth=3
	s_or_b64 exec, exec, s[36:37]
                                        ; implicit-def: $vgpr0
.LBB6_11063:                            ;   in Loop: Header=BB6_8948 Depth=3
	s_andn2_saveexec_b64 s[28:29], s[34:35]
; %bb.11064:                            ;   in Loop: Header=BB6_8948 Depth=3
	v_or_b32_e32 v13, 0x7b, v0
; %bb.11065:                            ;   in Loop: Header=BB6_8948 Depth=3
	s_or_b64 exec, exec, s[28:29]
                                        ; implicit-def: $vgpr5
                                        ; implicit-def: $vgpr3_vgpr4
.LBB6_11066:                            ;   in Loop: Header=BB6_8948 Depth=3
	s_andn2_saveexec_b64 s[28:29], s[30:31]
	s_cbranch_execz .LBB6_11072
; %bb.11067:                            ;   in Loop: Header=BB6_8948 Depth=3
	v_cmp_ne_u64_e32 vcc, 0, v[3:4]
                                        ; implicit-def: $vgpr13
	s_and_saveexec_b64 s[30:31], vcc
	s_xor_b64 vcc, exec, s[30:31]
; %bb.11068:                            ;   in Loop: Header=BB6_8948 Depth=3
	v_or_b32_sdwa v13, v5, s83 dst_sel:DWORD dst_unused:UNUSED_PAD src0_sel:BYTE_3 src1_sel:DWORD
                                        ; implicit-def: $vgpr5
; %bb.11069:                            ;   in Loop: Header=BB6_8948 Depth=3
	s_andn2_saveexec_b64 s[30:31], vcc
; %bb.11070:                            ;   in Loop: Header=BB6_8948 Depth=3
	v_cmp_lt_i32_e32 vcc, -1, v5
	v_bfrev_b32_e32 v0, 0.5
	v_mov_b32_e32 v3, 0x7c
	v_cndmask_b32_e32 v13, v0, v3, vcc
; %bb.11071:                            ;   in Loop: Header=BB6_8948 Depth=3
	s_or_b64 exec, exec, s[30:31]
.LBB6_11072:                            ;   in Loop: Header=BB6_8948 Depth=3
	s_or_b64 exec, exec, s[28:29]
	v_cmp_lt_u32_e32 vcc, s57, v14
	v_mov_b32_e32 v3, 0
	v_mov_b32_e32 v4, 0
	s_and_saveexec_b64 s[28:29], vcc
	s_cbranch_execz .LBB6_11080
; %bb.11073:                            ;   in Loop: Header=BB6_8948 Depth=3
	v_lshrrev_b32_e32 v0, 24, v14
	v_cmp_ne_u32_e32 vcc, s44, v0
	v_bfrev_b32_e32 v4, 1
	s_and_saveexec_b64 s[30:31], vcc
	s_cbranch_execz .LBB6_11079
; %bb.11074:                            ;   in Loop: Header=BB6_8948 Depth=3
	v_and_b32_e32 v4, 0x7c000000, v14
	v_bfe_u32 v5, v14, 24, 2
	v_cmp_ne_u32_e32 vcc, s8, v4
                                        ; implicit-def: $vgpr4
	s_and_saveexec_b64 s[34:35], vcc
	s_xor_b64 s[34:35], exec, s[34:35]
	s_cbranch_execz .LBB6_11076
; %bb.11075:                            ;   in Loop: Header=BB6_8948 Depth=3
	v_ffbh_u32_e32 v6, v5
	v_min_u32_e32 v6, 32, v6
	v_subrev_u32_e32 v32, 29, v6
	v_lshlrev_b64 v[38:39], v32, v[0:1]
	v_bfe_u32 v4, v14, 26, 5
	v_sub_u32_e32 v0, 30, v6
	v_and_b32_e32 v6, 3, v38
	v_cmp_eq_u32_e32 vcc, 0, v4
	v_cndmask_b32_e32 v0, v4, v0, vcc
	v_cndmask_b32_e32 v4, v5, v6, vcc
	v_and_b32_e32 v5, 0x80000000, v14
	v_lshl_add_u32 v0, v0, 23, v5
	v_lshl_or_b32 v0, v4, 21, v0
	v_add_u32_e32 v4, 0x38000000, v0
                                        ; implicit-def: $vgpr5
.LBB6_11076:                            ;   in Loop: Header=BB6_8948 Depth=3
	s_andn2_saveexec_b64 s[34:35], s[34:35]
; %bb.11077:                            ;   in Loop: Header=BB6_8948 Depth=3
	v_cmp_lt_i32_e32 vcc, -1, v14
	v_mov_b32_e32 v0, 0xff800000
	v_mov_b32_e32 v4, 0x7f800000
	v_cndmask_b32_e32 v0, v0, v4, vcc
	v_cmp_eq_u32_e32 vcc, 0, v5
	v_mov_b32_e32 v4, 0x7f800001
	v_cndmask_b32_e32 v4, v4, v0, vcc
; %bb.11078:                            ;   in Loop: Header=BB6_8948 Depth=3
	s_or_b64 exec, exec, s[34:35]
.LBB6_11079:                            ;   in Loop: Header=BB6_8948 Depth=3
	s_or_b64 exec, exec, s[30:31]
.LBB6_11080:                            ;   in Loop: Header=BB6_8948 Depth=3
	s_or_b64 exec, exec, s[28:29]
	v_cmp_lt_u32_e32 vcc, s57, v10
	s_and_saveexec_b64 s[28:29], vcc
	s_cbranch_execz .LBB6_11088
; %bb.11081:                            ;   in Loop: Header=BB6_8948 Depth=3
	v_lshrrev_b32_e32 v0, 24, v10
	v_cmp_ne_u32_e32 vcc, s44, v0
	v_bfrev_b32_e32 v3, 1
	s_and_saveexec_b64 s[30:31], vcc
	s_cbranch_execz .LBB6_11087
; %bb.11082:                            ;   in Loop: Header=BB6_8948 Depth=3
	v_and_b32_e32 v3, 0x7c000000, v10
	v_bfe_u32 v5, v10, 24, 2
	v_cmp_ne_u32_e32 vcc, s8, v3
                                        ; implicit-def: $vgpr3
	s_and_saveexec_b64 s[34:35], vcc
	s_xor_b64 s[34:35], exec, s[34:35]
	s_cbranch_execz .LBB6_11084
; %bb.11083:                            ;   in Loop: Header=BB6_8948 Depth=3
	v_ffbh_u32_e32 v6, v5
	v_min_u32_e32 v6, 32, v6
	v_subrev_u32_e32 v32, 29, v6
	v_lshlrev_b64 v[38:39], v32, v[0:1]
	v_bfe_u32 v3, v10, 26, 5
	v_sub_u32_e32 v0, 30, v6
	v_and_b32_e32 v6, 3, v38
	v_cmp_eq_u32_e32 vcc, 0, v3
	v_cndmask_b32_e32 v0, v3, v0, vcc
	v_cndmask_b32_e32 v3, v5, v6, vcc
	v_and_b32_e32 v5, 0x80000000, v10
	v_lshl_add_u32 v0, v0, 23, v5
	v_lshl_or_b32 v0, v3, 21, v0
	v_add_u32_e32 v3, 0x38000000, v0
                                        ; implicit-def: $vgpr5
.LBB6_11084:                            ;   in Loop: Header=BB6_8948 Depth=3
	s_andn2_saveexec_b64 s[34:35], s[34:35]
; %bb.11085:                            ;   in Loop: Header=BB6_8948 Depth=3
	v_cmp_lt_i32_e32 vcc, -1, v10
	v_mov_b32_e32 v0, 0xff800000
	v_mov_b32_e32 v3, 0x7f800000
	v_cndmask_b32_e32 v0, v0, v3, vcc
	v_cmp_eq_u32_e32 vcc, 0, v5
	v_mov_b32_e32 v3, 0x7f800001
	v_cndmask_b32_e32 v3, v3, v0, vcc
; %bb.11086:                            ;   in Loop: Header=BB6_8948 Depth=3
	s_or_b64 exec, exec, s[34:35]
.LBB6_11087:                            ;   in Loop: Header=BB6_8948 Depth=3
	s_or_b64 exec, exec, s[30:31]
.LBB6_11088:                            ;   in Loop: Header=BB6_8948 Depth=3
	s_or_b64 exec, exec, s[28:29]
	v_mul_f32_e32 v5, v4, v3
	v_and_b32_e32 v38, 0x7f800000, v5
	v_mov_b32_e32 v39, v34
	v_cmp_ne_u64_e32 vcc, s[76:77], v[38:39]
	v_and_b32_e32 v3, 0x7fffff, v5
	v_mov_b32_e32 v4, v34
                                        ; implicit-def: $vgpr56
	s_and_saveexec_b64 s[28:29], vcc
	s_xor_b64 s[30:31], exec, s[28:29]
	s_cbranch_execz .LBB6_11102
; %bb.11089:                            ;   in Loop: Header=BB6_8948 Depth=3
	v_and_b32_e32 v38, 0x7fffffff, v5
	v_mov_b32_e32 v39, v34
	v_cmp_gt_u64_e32 vcc, s[78:79], v[38:39]
	v_and_b32_sdwa v0, v5, s44 dst_sel:DWORD dst_unused:UNUSED_PAD src0_sel:BYTE_3 src1_sel:DWORD
                                        ; implicit-def: $vgpr56
	s_and_saveexec_b64 s[28:29], vcc
	s_xor_b64 s[34:35], exec, s[28:29]
	s_cbranch_execz .LBB6_11099
; %bb.11090:                            ;   in Loop: Header=BB6_8948 Depth=3
	v_mov_b32_e32 v56, 0
	v_cmp_ne_u32_e32 vcc, 0, v5
	s_and_saveexec_b64 s[36:37], vcc
	s_cbranch_execz .LBB6_11098
; %bb.11091:                            ;   in Loop: Header=BB6_8948 Depth=3
	v_bfe_u32 v6, v5, 23, 8
	v_cmp_gt_u32_e64 s[28:29], s45, v6
	v_sub_u32_e32 v5, 0x71, v6
	v_cmp_eq_u32_e32 vcc, 0, v6
	v_cndmask_b32_e64 v5, 0, v5, s[28:29]
	v_mov_b32_e32 v33, 0x70
	v_cndmask_b32_e32 v38, v5, v33, vcc
	v_add_u32_e32 v5, 21, v38
	v_or_b32_e32 v32, 0x800000, v3
	v_lshlrev_b64 v[50:51], v5, -1
	v_cndmask_b32_e32 v3, v32, v3, vcc
	v_add_u32_e32 v5, 20, v38
	v_bfi_b32 v50, v50, 0, v3
	v_lshlrev_b64 v[56:57], v5, 1
	v_lshrrev_b64 v[3:4], v38, v[3:4]
	v_bfi_b32 v51, v51, 0, 0
	v_cmp_eq_u64_e64 s[28:29], v[50:51], v[56:57]
	v_mov_b32_e32 v5, v4
	v_mov_b32_e32 v4, v3
	s_and_saveexec_b64 s[38:39], s[28:29]
; %bb.11092:                            ;   in Loop: Header=BB6_8948 Depth=3
	v_bfe_u32 v4, v3, 21, 1
	v_add_co_u32_e64 v4, s[28:29], v3, v4
	v_add_co_u32_e64 v4, s[28:29], -1, v4
; %bb.11093:                            ;   in Loop: Header=BB6_8948 Depth=3
	s_or_b64 exec, exec, s[38:39]
	v_add_u32_e32 v5, 0xffffff81, v6
	v_mov_b32_e32 v6, 0xffffff82
	v_cndmask_b32_e32 v5, v5, v6, vcc
	v_lshrrev_b32_e32 v6, 23, v3
	v_add3_u32 v38, v38, v5, v6
	v_add_u32_e32 v6, 14, v38
	v_and_b32_e32 v4, 0x1fffff, v4
	v_add_u32_e32 v3, v4, v3
	v_mov_b32_e32 v4, v34
	v_cmp_ne_u32_e32 vcc, 0, v6
                                        ; implicit-def: $vgpr5
	s_and_saveexec_b64 s[28:29], vcc
	s_xor_b64 s[28:29], exec, s[28:29]
; %bb.11094:                            ;   in Loop: Header=BB6_8948 Depth=3
	v_cmp_lt_u64_e32 vcc, s[88:89], v[3:4]
	v_add_u32_e32 v5, 15, v38
	v_cndmask_b32_e32 v5, v6, v5, vcc
	v_cndmask_b32_e64 v6, 0, 1, vcc
	v_lshrrev_b64 v[3:4], v6, v[3:4]
; %bb.11095:                            ;   in Loop: Header=BB6_8948 Depth=3
	s_andn2_saveexec_b64 s[28:29], s[28:29]
; %bb.11096:                            ;   in Loop: Header=BB6_8948 Depth=3
	v_bfe_u32 v5, v3, 23, 1
; %bb.11097:                            ;   in Loop: Header=BB6_8948 Depth=3
	s_or_b64 exec, exec, s[28:29]
	v_lshrrev_b64 v[3:4], 21, v[3:4]
	v_cmp_gt_i32_e32 vcc, 32, v5
	v_cndmask_b32_e32 v4, 0, v4, vcc
	v_cndmask_b32_e32 v3, 3, v3, vcc
	v_cmp_eq_u64_e64 s[28:29], 0, v[3:4]
	v_min_i32_e32 v4, 31, v5
	v_lshlrev_b32_e32 v4, 2, v4
	v_cmp_eq_u32_e32 vcc, 0, v5
	v_and_b32_e32 v4, 0xfc, v4
	v_and_or_b32 v3, v3, 3, v4
	s_and_b64 s[28:29], vcc, s[28:29]
	v_cndmask_b32_e64 v3, v3, 0, s[28:29]
	v_or_b32_e32 v56, v3, v0
.LBB6_11098:                            ;   in Loop: Header=BB6_8948 Depth=3
	s_or_b64 exec, exec, s[36:37]
                                        ; implicit-def: $vgpr0
.LBB6_11099:                            ;   in Loop: Header=BB6_8948 Depth=3
	s_andn2_saveexec_b64 s[28:29], s[34:35]
; %bb.11100:                            ;   in Loop: Header=BB6_8948 Depth=3
	v_or_b32_e32 v56, 0x7b, v0
; %bb.11101:                            ;   in Loop: Header=BB6_8948 Depth=3
	s_or_b64 exec, exec, s[28:29]
                                        ; implicit-def: $vgpr5
                                        ; implicit-def: $vgpr3_vgpr4
.LBB6_11102:                            ;   in Loop: Header=BB6_8948 Depth=3
	s_andn2_saveexec_b64 s[28:29], s[30:31]
	s_cbranch_execz .LBB6_11108
; %bb.11103:                            ;   in Loop: Header=BB6_8948 Depth=3
	v_cmp_ne_u64_e32 vcc, 0, v[3:4]
                                        ; implicit-def: $vgpr56
	s_and_saveexec_b64 s[30:31], vcc
	s_xor_b64 vcc, exec, s[30:31]
; %bb.11104:                            ;   in Loop: Header=BB6_8948 Depth=3
	v_or_b32_sdwa v56, v5, s83 dst_sel:DWORD dst_unused:UNUSED_PAD src0_sel:BYTE_3 src1_sel:DWORD
                                        ; implicit-def: $vgpr5
; %bb.11105:                            ;   in Loop: Header=BB6_8948 Depth=3
	s_andn2_saveexec_b64 s[30:31], vcc
; %bb.11106:                            ;   in Loop: Header=BB6_8948 Depth=3
	v_cmp_lt_i32_e32 vcc, -1, v5
	v_bfrev_b32_e32 v0, 0.5
	v_mov_b32_e32 v3, 0x7c
	v_cndmask_b32_e32 v56, v0, v3, vcc
; %bb.11107:                            ;   in Loop: Header=BB6_8948 Depth=3
	s_or_b64 exec, exec, s[30:31]
.LBB6_11108:                            ;   in Loop: Header=BB6_8948 Depth=3
	s_or_b64 exec, exec, s[28:29]
	v_mov_b32_e32 v3, v15
	v_mov_b32_e32 v4, v34
	v_cmp_ne_u16_sdwa vcc, v15, v34 src0_sel:BYTE_0 src1_sel:DWORD
	v_mov_b32_e32 v5, 0
	v_mov_b32_e32 v0, 0
	s_and_saveexec_b64 s[28:29], vcc
	s_cbranch_execz .LBB6_11116
; %bb.11109:                            ;   in Loop: Header=BB6_8948 Depth=3
	v_cmp_ne_u16_sdwa vcc, v15, s44 src0_sel:BYTE_0 src1_sel:DWORD
	v_bfrev_b32_e32 v0, 1
	s_and_saveexec_b64 s[30:31], vcc
	s_cbranch_execz .LBB6_11115
; %bb.11110:                            ;   in Loop: Header=BB6_8948 Depth=3
	v_and_b32_e32 v0, 0x7c, v15
	v_and_b32_e32 v6, 3, v15
	v_cmp_ne_u32_e32 vcc, s81, v0
                                        ; implicit-def: $vgpr0
	s_and_saveexec_b64 s[34:35], vcc
	s_xor_b64 s[34:35], exec, s[34:35]
	s_cbranch_execz .LBB6_11112
; %bb.11111:                            ;   in Loop: Header=BB6_8948 Depth=3
	v_ffbh_u32_e32 v32, v6
	v_min_u32_e32 v32, 32, v32
	v_subrev_u32_e32 v33, 29, v32
	v_lshlrev_b64 v[38:39], v33, v[3:4]
	v_bfe_u32 v0, v15, 2, 5
	v_sub_u32_e32 v4, 30, v32
	v_and_b32_e32 v32, 3, v38
	v_cmp_eq_u32_e32 vcc, 0, v0
	v_cndmask_b32_e32 v0, v0, v4, vcc
	v_cndmask_b32_e32 v4, v6, v32, vcc
	v_lshlrev_b32_e32 v6, 24, v15
	v_and_b32_e32 v6, 0x80000000, v6
	v_lshl_add_u32 v0, v0, 23, v6
	v_lshl_or_b32 v0, v4, 21, v0
	v_add_u32_e32 v0, 0x38000000, v0
                                        ; implicit-def: $vgpr6
.LBB6_11112:                            ;   in Loop: Header=BB6_8948 Depth=3
	s_andn2_saveexec_b64 s[34:35], s[34:35]
; %bb.11113:                            ;   in Loop: Header=BB6_8948 Depth=3
	v_mov_b32_e32 v0, -1
	v_cmp_gt_i16_sdwa vcc, sext(v15), v0 src0_sel:BYTE_0 src1_sel:DWORD
	v_mov_b32_e32 v0, 0xff800000
	v_mov_b32_e32 v4, 0x7f800000
	v_cndmask_b32_e32 v0, v0, v4, vcc
	v_cmp_eq_u32_e32 vcc, 0, v6
	v_mov_b32_e32 v4, 0x7f800001
	v_cndmask_b32_e32 v0, v4, v0, vcc
; %bb.11114:                            ;   in Loop: Header=BB6_8948 Depth=3
	s_or_b64 exec, exec, s[34:35]
.LBB6_11115:                            ;   in Loop: Header=BB6_8948 Depth=3
	s_or_b64 exec, exec, s[30:31]
.LBB6_11116:                            ;   in Loop: Header=BB6_8948 Depth=3
	s_or_b64 exec, exec, s[28:29]
	v_cmp_ne_u16_sdwa vcc, v11, v34 src0_sel:BYTE_0 src1_sel:DWORD
	s_and_saveexec_b64 s[28:29], vcc
	s_cbranch_execz .LBB6_11124
; %bb.11117:                            ;   in Loop: Header=BB6_8948 Depth=3
	v_cmp_ne_u16_sdwa vcc, v11, s44 src0_sel:BYTE_0 src1_sel:DWORD
	v_bfrev_b32_e32 v5, 1
	s_and_saveexec_b64 s[30:31], vcc
	s_cbranch_execz .LBB6_11123
; %bb.11118:                            ;   in Loop: Header=BB6_8948 Depth=3
	v_and_b32_e32 v5, 0x7c, v11
	v_and_b32_e32 v4, 3, v11
	v_cmp_ne_u32_e32 vcc, s81, v5
                                        ; implicit-def: $vgpr5
	s_and_saveexec_b64 s[34:35], vcc
	s_xor_b64 s[34:35], exec, s[34:35]
	s_cbranch_execz .LBB6_11120
; %bb.11119:                            ;   in Loop: Header=BB6_8948 Depth=3
	v_ffbh_u32_e32 v33, v4
	v_min_u32_e32 v33, 32, v33
	v_mov_b32_e32 v5, v11
	v_mov_b32_e32 v6, v34
	v_subrev_u32_e32 v38, 29, v33
	v_lshlrev_b64 v[5:6], v38, v[5:6]
	v_bfe_u32 v32, v11, 2, 5
	v_and_b32_e32 v5, 3, v5
	v_cmp_eq_u32_e32 vcc, 0, v32
	v_sub_u32_e32 v6, 30, v33
	v_cndmask_b32_e32 v4, v4, v5, vcc
	v_lshlrev_b32_e32 v5, 24, v11
	v_cndmask_b32_e32 v6, v32, v6, vcc
	v_and_b32_e32 v5, 0x80000000, v5
	v_lshl_add_u32 v5, v6, 23, v5
	v_lshl_or_b32 v4, v4, 21, v5
	v_add_u32_e32 v5, 0x38000000, v4
                                        ; implicit-def: $vgpr4
.LBB6_11120:                            ;   in Loop: Header=BB6_8948 Depth=3
	s_andn2_saveexec_b64 s[34:35], s[34:35]
; %bb.11121:                            ;   in Loop: Header=BB6_8948 Depth=3
	v_mov_b32_e32 v5, -1
	v_cmp_gt_i16_sdwa vcc, sext(v11), v5 src0_sel:BYTE_0 src1_sel:DWORD
	v_mov_b32_e32 v5, 0xff800000
	v_mov_b32_e32 v6, 0x7f800000
	v_cndmask_b32_e32 v5, v5, v6, vcc
	v_cmp_eq_u32_e32 vcc, 0, v4
	v_mov_b32_e32 v4, 0x7f800001
	v_cndmask_b32_e32 v5, v4, v5, vcc
; %bb.11122:                            ;   in Loop: Header=BB6_8948 Depth=3
	s_or_b64 exec, exec, s[34:35]
.LBB6_11123:                            ;   in Loop: Header=BB6_8948 Depth=3
	s_or_b64 exec, exec, s[30:31]
.LBB6_11124:                            ;   in Loop: Header=BB6_8948 Depth=3
	s_or_b64 exec, exec, s[28:29]
	v_mul_f32_e32 v38, v0, v5
	v_and_b32_e32 v5, 0x7f800000, v38
	v_mov_b32_e32 v6, v34
	v_cmp_ne_u64_e32 vcc, s[76:77], v[5:6]
	v_and_b32_e32 v4, 0x7fffff, v38
	v_mov_b32_e32 v5, v34
                                        ; implicit-def: $vgpr6
	s_and_saveexec_b64 s[28:29], vcc
	s_xor_b64 s[30:31], exec, s[28:29]
	s_cbranch_execz .LBB6_11138
; %bb.11125:                            ;   in Loop: Header=BB6_8948 Depth=3
	v_and_b32_e32 v50, 0x7fffffff, v38
	v_mov_b32_e32 v51, v34
	v_cmp_gt_u64_e32 vcc, s[78:79], v[50:51]
	v_and_b32_sdwa v0, v38, s44 dst_sel:DWORD dst_unused:UNUSED_PAD src0_sel:BYTE_3 src1_sel:DWORD
                                        ; implicit-def: $vgpr6
	s_and_saveexec_b64 s[28:29], vcc
	s_xor_b64 s[34:35], exec, s[28:29]
	s_cbranch_execz .LBB6_11135
; %bb.11126:                            ;   in Loop: Header=BB6_8948 Depth=3
	v_mov_b32_e32 v6, 0
	v_cmp_ne_u32_e32 vcc, 0, v38
	s_and_saveexec_b64 s[36:37], vcc
	s_cbranch_execz .LBB6_11134
; %bb.11127:                            ;   in Loop: Header=BB6_8948 Depth=3
	v_bfe_u32 v38, v38, 23, 8
	v_cmp_gt_u32_e64 s[28:29], s45, v38
	v_sub_u32_e32 v6, 0x71, v38
	v_cmp_eq_u32_e32 vcc, 0, v38
	v_cndmask_b32_e64 v6, 0, v6, s[28:29]
	v_mov_b32_e32 v33, 0x70
	v_cndmask_b32_e32 v39, v6, v33, vcc
	v_add_u32_e32 v6, 21, v39
	v_or_b32_e32 v32, 0x800000, v4
	v_lshlrev_b64 v[50:51], v6, -1
	v_cndmask_b32_e32 v4, v32, v4, vcc
	v_add_u32_e32 v6, 20, v39
	v_bfi_b32 v50, v50, 0, v4
	v_lshlrev_b64 v[57:58], v6, 1
	v_lshrrev_b64 v[4:5], v39, v[4:5]
	v_bfi_b32 v51, v51, 0, 0
	v_cmp_eq_u64_e64 s[28:29], v[50:51], v[57:58]
	v_mov_b32_e32 v6, v5
	v_mov_b32_e32 v5, v4
	s_and_saveexec_b64 s[38:39], s[28:29]
; %bb.11128:                            ;   in Loop: Header=BB6_8948 Depth=3
	v_bfe_u32 v5, v4, 21, 1
	v_add_co_u32_e64 v5, s[28:29], v4, v5
	v_add_co_u32_e64 v5, s[28:29], -1, v5
; %bb.11129:                            ;   in Loop: Header=BB6_8948 Depth=3
	s_or_b64 exec, exec, s[38:39]
	v_add_u32_e32 v6, 0xffffff81, v38
	v_mov_b32_e32 v32, 0xffffff82
	v_cndmask_b32_e32 v6, v6, v32, vcc
	v_lshrrev_b32_e32 v32, 23, v4
	v_add3_u32 v39, v39, v6, v32
	v_add_u32_e32 v38, 14, v39
	v_and_b32_e32 v5, 0x1fffff, v5
	v_add_u32_e32 v4, v5, v4
	v_mov_b32_e32 v5, v34
	v_cmp_ne_u32_e32 vcc, 0, v38
                                        ; implicit-def: $vgpr6
	s_and_saveexec_b64 s[28:29], vcc
	s_xor_b64 s[28:29], exec, s[28:29]
; %bb.11130:                            ;   in Loop: Header=BB6_8948 Depth=3
	v_cmp_lt_u64_e32 vcc, s[88:89], v[4:5]
	v_add_u32_e32 v6, 15, v39
	v_cndmask_b32_e64 v32, 0, 1, vcc
	v_lshrrev_b64 v[4:5], v32, v[4:5]
	v_cndmask_b32_e32 v6, v38, v6, vcc
; %bb.11131:                            ;   in Loop: Header=BB6_8948 Depth=3
	s_or_saveexec_b64 s[28:29], s[28:29]
	buffer_load_dword v58, off, s[0:3], s33 offset:440 ; 4-byte Folded Reload
	s_xor_b64 exec, exec, s[28:29]
; %bb.11132:                            ;   in Loop: Header=BB6_8948 Depth=3
	v_bfe_u32 v6, v4, 23, 1
; %bb.11133:                            ;   in Loop: Header=BB6_8948 Depth=3
	s_or_b64 exec, exec, s[28:29]
	v_lshrrev_b64 v[4:5], 21, v[4:5]
	v_cmp_gt_i32_e32 vcc, 32, v6
	v_cndmask_b32_e32 v5, 0, v5, vcc
	v_cndmask_b32_e32 v4, 3, v4, vcc
	v_cmp_eq_u64_e64 s[28:29], 0, v[4:5]
	v_min_i32_e32 v5, 31, v6
	v_lshlrev_b32_e32 v5, 2, v5
	v_cmp_eq_u32_e32 vcc, 0, v6
	v_and_b32_e32 v5, 0xfc, v5
	v_and_or_b32 v4, v4, 3, v5
	s_and_b64 s[28:29], vcc, s[28:29]
	v_cndmask_b32_e64 v4, v4, 0, s[28:29]
	v_or_b32_e32 v6, v4, v0
.LBB6_11134:                            ;   in Loop: Header=BB6_8948 Depth=3
	s_or_b64 exec, exec, s[36:37]
                                        ; implicit-def: $vgpr0
.LBB6_11135:                            ;   in Loop: Header=BB6_8948 Depth=3
	s_andn2_saveexec_b64 s[28:29], s[34:35]
; %bb.11136:                            ;   in Loop: Header=BB6_8948 Depth=3
	v_or_b32_e32 v6, 0x7b, v0
; %bb.11137:                            ;   in Loop: Header=BB6_8948 Depth=3
	s_or_b64 exec, exec, s[28:29]
                                        ; implicit-def: $vgpr38
                                        ; implicit-def: $vgpr4_vgpr5
.LBB6_11138:                            ;   in Loop: Header=BB6_8948 Depth=3
	s_andn2_saveexec_b64 s[28:29], s[30:31]
	s_cbranch_execz .LBB6_11144
; %bb.11139:                            ;   in Loop: Header=BB6_8948 Depth=3
	v_cmp_ne_u64_e32 vcc, 0, v[4:5]
                                        ; implicit-def: $vgpr6
	s_and_saveexec_b64 s[30:31], vcc
	s_xor_b64 vcc, exec, s[30:31]
; %bb.11140:                            ;   in Loop: Header=BB6_8948 Depth=3
	v_or_b32_sdwa v6, v38, s83 dst_sel:DWORD dst_unused:UNUSED_PAD src0_sel:BYTE_3 src1_sel:DWORD
                                        ; implicit-def: $vgpr38
; %bb.11141:                            ;   in Loop: Header=BB6_8948 Depth=3
	s_andn2_saveexec_b64 s[30:31], vcc
; %bb.11142:                            ;   in Loop: Header=BB6_8948 Depth=3
	v_cmp_lt_i32_e32 vcc, -1, v38
	v_bfrev_b32_e32 v0, 0.5
	v_mov_b32_e32 v4, 0x7c
	v_cndmask_b32_e32 v6, v0, v4, vcc
; %bb.11143:                            ;   in Loop: Header=BB6_8948 Depth=3
	s_or_b64 exec, exec, s[30:31]
.LBB6_11144:                            ;   in Loop: Header=BB6_8948 Depth=3
	s_or_b64 exec, exec, s[28:29]
	v_lshrrev_b16_e32 v4, 8, v3
	v_cmp_ne_u16_e32 vcc, 0, v4
	v_mov_b32_e32 v0, 0
	v_mov_b32_e32 v5, 0
	s_and_saveexec_b64 s[28:29], vcc
	s_cbranch_execz .LBB6_11152
; %bb.11145:                            ;   in Loop: Header=BB6_8948 Depth=3
	v_cmp_ne_u16_e32 vcc, s44, v4
	v_bfrev_b32_e32 v5, 1
	s_and_saveexec_b64 s[30:31], vcc
	s_cbranch_execz .LBB6_11151
; %bb.11146:                            ;   in Loop: Header=BB6_8948 Depth=3
	v_and_b32_e32 v5, 0x7c, v4
	v_and_b32_e32 v38, 3, v4
	v_cmp_ne_u32_e32 vcc, s81, v5
                                        ; implicit-def: $vgpr5
	s_and_saveexec_b64 s[34:35], vcc
	s_xor_b64 s[34:35], exec, s[34:35]
	s_cbranch_execz .LBB6_11148
; %bb.11147:                            ;   in Loop: Header=BB6_8948 Depth=3
	v_ffbh_u32_e32 v33, v38
	v_min_u32_e32 v33, 32, v33
	v_mov_b32_e32 v5, v34
	v_subrev_u32_e32 v39, 29, v33
	v_bfe_u32 v32, v4, 2, 5
	v_lshlrev_b64 v[4:5], v39, v[4:5]
	v_sub_u32_e32 v5, 30, v33
	v_cmp_eq_u32_e32 vcc, 0, v32
	v_lshlrev_b32_e32 v3, 16, v3
	v_and_b32_e32 v4, 3, v4
	v_cndmask_b32_e32 v5, v32, v5, vcc
	v_and_b32_e32 v3, 0x80000000, v3
	v_cndmask_b32_e32 v4, v38, v4, vcc
	v_lshl_add_u32 v3, v5, 23, v3
	v_lshl_or_b32 v3, v4, 21, v3
	v_add_u32_e32 v5, 0x38000000, v3
                                        ; implicit-def: $vgpr38
                                        ; implicit-def: $vgpr3_vgpr4
.LBB6_11148:                            ;   in Loop: Header=BB6_8948 Depth=3
	s_andn2_saveexec_b64 s[34:35], s[34:35]
; %bb.11149:                            ;   in Loop: Header=BB6_8948 Depth=3
	v_cmp_lt_i16_e32 vcc, -1, v3
	v_mov_b32_e32 v3, 0xff800000
	v_mov_b32_e32 v4, 0x7f800000
	v_cndmask_b32_e32 v3, v3, v4, vcc
	v_cmp_eq_u32_e32 vcc, 0, v38
	v_mov_b32_e32 v4, 0x7f800001
	v_cndmask_b32_e32 v5, v4, v3, vcc
; %bb.11150:                            ;   in Loop: Header=BB6_8948 Depth=3
	s_or_b64 exec, exec, s[34:35]
.LBB6_11151:                            ;   in Loop: Header=BB6_8948 Depth=3
	s_or_b64 exec, exec, s[30:31]
.LBB6_11152:                            ;   in Loop: Header=BB6_8948 Depth=3
	s_or_b64 exec, exec, s[28:29]
	v_lshrrev_b16_e32 v3, 8, v11
	v_cmp_ne_u16_e32 vcc, 0, v3
	s_and_saveexec_b64 s[28:29], vcc
	s_cbranch_execz .LBB6_11160
; %bb.11153:                            ;   in Loop: Header=BB6_8948 Depth=3
	v_cmp_ne_u16_e32 vcc, s44, v3
	v_bfrev_b32_e32 v0, 1
	s_and_saveexec_b64 s[30:31], vcc
	s_cbranch_execz .LBB6_11159
; %bb.11154:                            ;   in Loop: Header=BB6_8948 Depth=3
	v_and_b32_e32 v0, 0x7c, v3
	v_and_b32_e32 v38, 3, v3
	v_cmp_ne_u32_e32 vcc, s81, v0
                                        ; implicit-def: $vgpr0
	s_and_saveexec_b64 s[34:35], vcc
	s_xor_b64 s[34:35], exec, s[34:35]
	s_cbranch_execz .LBB6_11156
; %bb.11155:                            ;   in Loop: Header=BB6_8948 Depth=3
	v_ffbh_u32_e32 v32, v38
	v_min_u32_e32 v32, 32, v32
	v_mov_b32_e32 v4, v34
	v_subrev_u32_e32 v33, 29, v32
	v_bfe_u32 v0, v3, 2, 5
	v_lshlrev_b64 v[3:4], v33, v[3:4]
	v_sub_u32_e32 v4, 30, v32
	v_cmp_eq_u32_e32 vcc, 0, v0
	v_cndmask_b32_e32 v0, v0, v4, vcc
	v_lshlrev_b32_e32 v4, 16, v11
	v_and_b32_e32 v3, 3, v3
	v_and_b32_e32 v4, 0x80000000, v4
	v_cndmask_b32_e32 v3, v38, v3, vcc
	v_lshl_add_u32 v0, v0, 23, v4
	v_lshl_or_b32 v0, v3, 21, v0
	v_add_u32_e32 v0, 0x38000000, v0
                                        ; implicit-def: $vgpr38
.LBB6_11156:                            ;   in Loop: Header=BB6_8948 Depth=3
	s_andn2_saveexec_b64 s[34:35], s[34:35]
; %bb.11157:                            ;   in Loop: Header=BB6_8948 Depth=3
	v_cmp_lt_i16_e32 vcc, -1, v11
	v_mov_b32_e32 v0, 0xff800000
	v_mov_b32_e32 v3, 0x7f800000
	v_cndmask_b32_e32 v0, v0, v3, vcc
	v_cmp_eq_u32_e32 vcc, 0, v38
	v_mov_b32_e32 v3, 0x7f800001
	v_cndmask_b32_e32 v0, v3, v0, vcc
; %bb.11158:                            ;   in Loop: Header=BB6_8948 Depth=3
	s_or_b64 exec, exec, s[34:35]
.LBB6_11159:                            ;   in Loop: Header=BB6_8948 Depth=3
	s_or_b64 exec, exec, s[30:31]
.LBB6_11160:                            ;   in Loop: Header=BB6_8948 Depth=3
	s_or_b64 exec, exec, s[28:29]
	v_mul_f32_e32 v5, v5, v0
	v_and_b32_e32 v38, 0x7f800000, v5
	v_mov_b32_e32 v39, v34
	v_cmp_ne_u64_e32 vcc, s[76:77], v[38:39]
	v_and_b32_e32 v3, 0x7fffff, v5
	v_mov_b32_e32 v4, v34
                                        ; implicit-def: $vgpr38
	s_and_saveexec_b64 s[28:29], vcc
	s_xor_b64 s[30:31], exec, s[28:29]
	s_cbranch_execz .LBB6_11174
; %bb.11161:                            ;   in Loop: Header=BB6_8948 Depth=3
	v_and_b32_e32 v38, 0x7fffffff, v5
	v_mov_b32_e32 v39, v34
	v_cmp_gt_u64_e32 vcc, s[78:79], v[38:39]
	v_and_b32_sdwa v0, v5, s44 dst_sel:DWORD dst_unused:UNUSED_PAD src0_sel:BYTE_3 src1_sel:DWORD
                                        ; implicit-def: $vgpr38
	s_and_saveexec_b64 s[28:29], vcc
	s_xor_b64 s[34:35], exec, s[28:29]
	s_cbranch_execz .LBB6_11171
; %bb.11162:                            ;   in Loop: Header=BB6_8948 Depth=3
	v_mov_b32_e32 v38, 0
	v_cmp_ne_u32_e32 vcc, 0, v5
	s_and_saveexec_b64 s[36:37], vcc
	s_cbranch_execz .LBB6_11170
; %bb.11163:                            ;   in Loop: Header=BB6_8948 Depth=3
	v_bfe_u32 v38, v5, 23, 8
	v_cmp_gt_u32_e64 s[28:29], s45, v38
	v_sub_u32_e32 v5, 0x71, v38
	v_cmp_eq_u32_e32 vcc, 0, v38
	v_cndmask_b32_e64 v5, 0, v5, s[28:29]
	v_mov_b32_e32 v33, 0x70
	v_cndmask_b32_e32 v39, v5, v33, vcc
	v_add_u32_e32 v5, 21, v39
	v_or_b32_e32 v32, 0x800000, v3
	v_lshlrev_b64 v[50:51], v5, -1
	v_cndmask_b32_e32 v3, v32, v3, vcc
	v_add_u32_e32 v5, 20, v39
	v_bfi_b32 v50, v50, 0, v3
	s_waitcnt vmcnt(0)
	v_lshlrev_b64 v[57:58], v5, 1
	v_lshrrev_b64 v[3:4], v39, v[3:4]
	v_bfi_b32 v51, v51, 0, 0
	v_cmp_eq_u64_e64 s[28:29], v[50:51], v[57:58]
	v_mov_b32_e32 v5, v4
	v_mov_b32_e32 v4, v3
	s_and_saveexec_b64 s[38:39], s[28:29]
; %bb.11164:                            ;   in Loop: Header=BB6_8948 Depth=3
	v_bfe_u32 v4, v3, 21, 1
	v_add_co_u32_e64 v4, s[28:29], v3, v4
	v_add_co_u32_e64 v4, s[28:29], -1, v4
; %bb.11165:                            ;   in Loop: Header=BB6_8948 Depth=3
	s_or_b64 exec, exec, s[38:39]
	v_add_u32_e32 v5, 0xffffff81, v38
	v_mov_b32_e32 v32, 0xffffff82
	v_cndmask_b32_e32 v5, v5, v32, vcc
	v_lshrrev_b32_e32 v32, 23, v3
	v_add3_u32 v39, v39, v5, v32
	v_add_u32_e32 v38, 14, v39
	v_and_b32_e32 v4, 0x1fffff, v4
	v_add_u32_e32 v3, v4, v3
	v_mov_b32_e32 v4, v34
	v_cmp_ne_u32_e32 vcc, 0, v38
                                        ; implicit-def: $vgpr5
	s_and_saveexec_b64 s[28:29], vcc
	s_xor_b64 s[28:29], exec, s[28:29]
; %bb.11166:                            ;   in Loop: Header=BB6_8948 Depth=3
	v_cmp_lt_u64_e32 vcc, s[88:89], v[3:4]
	v_add_u32_e32 v5, 15, v39
	v_cndmask_b32_e64 v32, 0, 1, vcc
	v_lshrrev_b64 v[3:4], v32, v[3:4]
	v_cndmask_b32_e32 v5, v38, v5, vcc
; %bb.11167:                            ;   in Loop: Header=BB6_8948 Depth=3
	s_or_saveexec_b64 s[28:29], s[28:29]
	buffer_load_dword v58, off, s[0:3], s33 offset:440 ; 4-byte Folded Reload
	s_xor_b64 exec, exec, s[28:29]
; %bb.11168:                            ;   in Loop: Header=BB6_8948 Depth=3
	v_bfe_u32 v5, v3, 23, 1
; %bb.11169:                            ;   in Loop: Header=BB6_8948 Depth=3
	s_or_b64 exec, exec, s[28:29]
	v_lshrrev_b64 v[3:4], 21, v[3:4]
	v_cmp_gt_i32_e32 vcc, 32, v5
	v_cndmask_b32_e32 v4, 0, v4, vcc
	v_cndmask_b32_e32 v3, 3, v3, vcc
	v_cmp_eq_u64_e64 s[28:29], 0, v[3:4]
	v_min_i32_e32 v4, 31, v5
	v_lshlrev_b32_e32 v4, 2, v4
	v_cmp_eq_u32_e32 vcc, 0, v5
	v_and_b32_e32 v4, 0xfc, v4
	v_and_or_b32 v3, v3, 3, v4
	s_and_b64 s[28:29], vcc, s[28:29]
	v_cndmask_b32_e64 v3, v3, 0, s[28:29]
	v_or_b32_e32 v38, v3, v0
.LBB6_11170:                            ;   in Loop: Header=BB6_8948 Depth=3
	s_or_b64 exec, exec, s[36:37]
                                        ; implicit-def: $vgpr0
.LBB6_11171:                            ;   in Loop: Header=BB6_8948 Depth=3
	s_andn2_saveexec_b64 s[28:29], s[34:35]
; %bb.11172:                            ;   in Loop: Header=BB6_8948 Depth=3
	v_or_b32_e32 v38, 0x7b, v0
; %bb.11173:                            ;   in Loop: Header=BB6_8948 Depth=3
	s_or_b64 exec, exec, s[28:29]
                                        ; implicit-def: $vgpr5
                                        ; implicit-def: $vgpr3_vgpr4
.LBB6_11174:                            ;   in Loop: Header=BB6_8948 Depth=3
	s_andn2_saveexec_b64 s[28:29], s[30:31]
	s_cbranch_execz .LBB6_11180
; %bb.11175:                            ;   in Loop: Header=BB6_8948 Depth=3
	v_cmp_ne_u64_e32 vcc, 0, v[3:4]
                                        ; implicit-def: $vgpr38
	s_and_saveexec_b64 s[30:31], vcc
	s_xor_b64 vcc, exec, s[30:31]
; %bb.11176:                            ;   in Loop: Header=BB6_8948 Depth=3
	v_or_b32_sdwa v38, v5, s83 dst_sel:DWORD dst_unused:UNUSED_PAD src0_sel:BYTE_3 src1_sel:DWORD
                                        ; implicit-def: $vgpr5
; %bb.11177:                            ;   in Loop: Header=BB6_8948 Depth=3
	s_andn2_saveexec_b64 s[30:31], vcc
; %bb.11178:                            ;   in Loop: Header=BB6_8948 Depth=3
	v_cmp_lt_i32_e32 vcc, -1, v5
	v_bfrev_b32_e32 v0, 0.5
	v_mov_b32_e32 v3, 0x7c
	v_cndmask_b32_e32 v38, v0, v3, vcc
; %bb.11179:                            ;   in Loop: Header=BB6_8948 Depth=3
	s_or_b64 exec, exec, s[30:31]
.LBB6_11180:                            ;   in Loop: Header=BB6_8948 Depth=3
	s_or_b64 exec, exec, s[28:29]
	v_lshrrev_b32_e32 v0, 16, v15
	v_cmp_ne_u16_sdwa vcc, v0, v34 src0_sel:BYTE_0 src1_sel:DWORD
	v_mov_b32_e32 v3, 0
	v_mov_b32_e32 v4, 0
	s_and_saveexec_b64 s[28:29], vcc
	s_cbranch_execz .LBB6_11188
; %bb.11181:                            ;   in Loop: Header=BB6_8948 Depth=3
	v_cmp_ne_u16_sdwa vcc, v0, s44 src0_sel:BYTE_0 src1_sel:DWORD
	v_bfrev_b32_e32 v4, 1
	s_and_saveexec_b64 s[30:31], vcc
	s_cbranch_execz .LBB6_11187
; %bb.11182:                            ;   in Loop: Header=BB6_8948 Depth=3
	v_and_b32_e32 v4, 0x7c0000, v15
	v_bfe_u32 v5, v15, 16, 2
	v_cmp_ne_u32_e32 vcc, s9, v4
                                        ; implicit-def: $vgpr4
	s_and_saveexec_b64 s[34:35], vcc
	s_xor_b64 s[34:35], exec, s[34:35]
	s_cbranch_execz .LBB6_11184
; %bb.11183:                            ;   in Loop: Header=BB6_8948 Depth=3
	v_ffbh_u32_e32 v32, v5
	v_min_u32_e32 v32, 32, v32
	v_subrev_u32_e32 v33, 29, v32
	v_lshlrev_b64 v[50:51], v33, v[0:1]
	v_bfe_u32 v4, v15, 18, 5
	v_sub_u32_e32 v0, 30, v32
	v_and_b32_e32 v32, 3, v50
	v_cmp_eq_u32_e32 vcc, 0, v4
	v_cndmask_b32_e32 v0, v4, v0, vcc
	v_cndmask_b32_e32 v4, v5, v32, vcc
	v_lshlrev_b32_e32 v5, 8, v15
	v_and_b32_e32 v5, 0x80000000, v5
	v_lshl_add_u32 v0, v0, 23, v5
	v_lshl_or_b32 v0, v4, 21, v0
	v_add_u32_e32 v4, 0x38000000, v0
                                        ; implicit-def: $vgpr5
                                        ; implicit-def: $vgpr0
.LBB6_11184:                            ;   in Loop: Header=BB6_8948 Depth=3
	s_andn2_saveexec_b64 s[34:35], s[34:35]
; %bb.11185:                            ;   in Loop: Header=BB6_8948 Depth=3
	v_mov_b32_e32 v4, -1
	v_cmp_gt_i16_sdwa vcc, sext(v0), v4 src0_sel:BYTE_0 src1_sel:DWORD
	v_mov_b32_e32 v0, 0xff800000
	v_mov_b32_e32 v4, 0x7f800000
	v_cndmask_b32_e32 v0, v0, v4, vcc
	v_cmp_eq_u32_e32 vcc, 0, v5
	v_mov_b32_e32 v4, 0x7f800001
	v_cndmask_b32_e32 v4, v4, v0, vcc
; %bb.11186:                            ;   in Loop: Header=BB6_8948 Depth=3
	s_or_b64 exec, exec, s[34:35]
.LBB6_11187:                            ;   in Loop: Header=BB6_8948 Depth=3
	s_or_b64 exec, exec, s[30:31]
.LBB6_11188:                            ;   in Loop: Header=BB6_8948 Depth=3
	s_or_b64 exec, exec, s[28:29]
	v_lshrrev_b32_e32 v0, 16, v11
	v_cmp_ne_u16_sdwa vcc, v0, v34 src0_sel:BYTE_0 src1_sel:DWORD
	s_and_saveexec_b64 s[28:29], vcc
	s_cbranch_execz .LBB6_11196
; %bb.11189:                            ;   in Loop: Header=BB6_8948 Depth=3
	v_cmp_ne_u16_sdwa vcc, v0, s44 src0_sel:BYTE_0 src1_sel:DWORD
	v_bfrev_b32_e32 v3, 1
	s_and_saveexec_b64 s[30:31], vcc
	s_cbranch_execz .LBB6_11195
; %bb.11190:                            ;   in Loop: Header=BB6_8948 Depth=3
	v_and_b32_e32 v3, 0x7c0000, v11
	v_bfe_u32 v5, v11, 16, 2
	v_cmp_ne_u32_e32 vcc, s9, v3
                                        ; implicit-def: $vgpr3
	s_and_saveexec_b64 s[34:35], vcc
	s_xor_b64 s[34:35], exec, s[34:35]
	s_cbranch_execz .LBB6_11192
; %bb.11191:                            ;   in Loop: Header=BB6_8948 Depth=3
	v_ffbh_u32_e32 v32, v5
	v_min_u32_e32 v32, 32, v32
	v_subrev_u32_e32 v33, 29, v32
	v_lshlrev_b64 v[50:51], v33, v[0:1]
	v_bfe_u32 v3, v11, 18, 5
	v_sub_u32_e32 v0, 30, v32
	v_and_b32_e32 v32, 3, v50
	v_cmp_eq_u32_e32 vcc, 0, v3
	v_cndmask_b32_e32 v0, v3, v0, vcc
	v_cndmask_b32_e32 v3, v5, v32, vcc
	v_lshlrev_b32_e32 v5, 8, v11
	v_and_b32_e32 v5, 0x80000000, v5
	v_lshl_add_u32 v0, v0, 23, v5
	v_lshl_or_b32 v0, v3, 21, v0
	v_add_u32_e32 v3, 0x38000000, v0
                                        ; implicit-def: $vgpr5
                                        ; implicit-def: $vgpr0
.LBB6_11192:                            ;   in Loop: Header=BB6_8948 Depth=3
	s_andn2_saveexec_b64 s[34:35], s[34:35]
; %bb.11193:                            ;   in Loop: Header=BB6_8948 Depth=3
	v_mov_b32_e32 v3, -1
	v_cmp_gt_i16_sdwa vcc, sext(v0), v3 src0_sel:BYTE_0 src1_sel:DWORD
	v_mov_b32_e32 v0, 0xff800000
	v_mov_b32_e32 v3, 0x7f800000
	v_cndmask_b32_e32 v0, v0, v3, vcc
	v_cmp_eq_u32_e32 vcc, 0, v5
	v_mov_b32_e32 v3, 0x7f800001
	v_cndmask_b32_e32 v3, v3, v0, vcc
; %bb.11194:                            ;   in Loop: Header=BB6_8948 Depth=3
	s_or_b64 exec, exec, s[34:35]
.LBB6_11195:                            ;   in Loop: Header=BB6_8948 Depth=3
	s_or_b64 exec, exec, s[30:31]
.LBB6_11196:                            ;   in Loop: Header=BB6_8948 Depth=3
	s_or_b64 exec, exec, s[28:29]
	v_mul_f32_e32 v5, v4, v3
	v_and_b32_e32 v50, 0x7f800000, v5
	v_mov_b32_e32 v51, v34
	v_cmp_ne_u64_e32 vcc, s[76:77], v[50:51]
	v_and_b32_e32 v3, 0x7fffff, v5
	v_mov_b32_e32 v4, v34
                                        ; implicit-def: $vgpr39
	s_and_saveexec_b64 s[28:29], vcc
	s_xor_b64 s[30:31], exec, s[28:29]
	s_cbranch_execz .LBB6_11210
; %bb.11197:                            ;   in Loop: Header=BB6_8948 Depth=3
	v_and_b32_e32 v50, 0x7fffffff, v5
	v_mov_b32_e32 v51, v34
	v_cmp_gt_u64_e32 vcc, s[78:79], v[50:51]
	v_and_b32_sdwa v0, v5, s44 dst_sel:DWORD dst_unused:UNUSED_PAD src0_sel:BYTE_3 src1_sel:DWORD
                                        ; implicit-def: $vgpr39
	s_and_saveexec_b64 s[28:29], vcc
	s_xor_b64 s[34:35], exec, s[28:29]
	s_cbranch_execz .LBB6_11207
; %bb.11198:                            ;   in Loop: Header=BB6_8948 Depth=3
	v_mov_b32_e32 v39, 0
	v_cmp_ne_u32_e32 vcc, 0, v5
	s_and_saveexec_b64 s[36:37], vcc
	s_cbranch_execz .LBB6_11206
; %bb.11199:                            ;   in Loop: Header=BB6_8948 Depth=3
	v_bfe_u32 v39, v5, 23, 8
	v_cmp_gt_u32_e64 s[28:29], s45, v39
	v_sub_u32_e32 v5, 0x71, v39
	v_cmp_eq_u32_e32 vcc, 0, v39
	v_cndmask_b32_e64 v5, 0, v5, s[28:29]
	v_mov_b32_e32 v33, 0x70
	v_cndmask_b32_e32 v50, v5, v33, vcc
	v_add_u32_e32 v5, 21, v50
	v_or_b32_e32 v32, 0x800000, v3
	s_waitcnt vmcnt(0)
	v_lshlrev_b64 v[57:58], v5, -1
	v_cndmask_b32_e32 v3, v32, v3, vcc
	v_add_u32_e32 v5, 20, v50
	v_bfi_b32 v57, v57, 0, v3
	v_lshlrev_b64 v[32:33], v5, 1
	v_lshrrev_b64 v[3:4], v50, v[3:4]
	v_bfi_b32 v58, v58, 0, 0
	v_cmp_eq_u64_e64 s[28:29], v[57:58], v[32:33]
	v_mov_b32_e32 v5, v4
	v_mov_b32_e32 v4, v3
	s_and_saveexec_b64 s[38:39], s[28:29]
; %bb.11200:                            ;   in Loop: Header=BB6_8948 Depth=3
	v_bfe_u32 v4, v3, 21, 1
	v_add_co_u32_e64 v4, s[28:29], v3, v4
	v_add_co_u32_e64 v4, s[28:29], -1, v4
; %bb.11201:                            ;   in Loop: Header=BB6_8948 Depth=3
	s_or_b64 exec, exec, s[38:39]
	v_add_u32_e32 v5, 0xffffff81, v39
	v_mov_b32_e32 v32, 0xffffff82
	v_cndmask_b32_e32 v5, v5, v32, vcc
	v_lshrrev_b32_e32 v32, 23, v3
	v_add3_u32 v50, v50, v5, v32
	v_add_u32_e32 v39, 14, v50
	v_and_b32_e32 v4, 0x1fffff, v4
	v_add_u32_e32 v3, v4, v3
	v_mov_b32_e32 v4, v34
	v_cmp_ne_u32_e32 vcc, 0, v39
                                        ; implicit-def: $vgpr5
	s_and_saveexec_b64 s[28:29], vcc
	s_xor_b64 s[28:29], exec, s[28:29]
; %bb.11202:                            ;   in Loop: Header=BB6_8948 Depth=3
	v_cmp_lt_u64_e32 vcc, s[88:89], v[3:4]
	v_add_u32_e32 v5, 15, v50
	v_cndmask_b32_e64 v32, 0, 1, vcc
	v_lshrrev_b64 v[3:4], v32, v[3:4]
	v_cndmask_b32_e32 v5, v39, v5, vcc
; %bb.11203:                            ;   in Loop: Header=BB6_8948 Depth=3
	s_or_saveexec_b64 s[28:29], s[28:29]
	buffer_load_dword v58, off, s[0:3], s33 offset:440 ; 4-byte Folded Reload
	s_xor_b64 exec, exec, s[28:29]
; %bb.11204:                            ;   in Loop: Header=BB6_8948 Depth=3
	v_bfe_u32 v5, v3, 23, 1
; %bb.11205:                            ;   in Loop: Header=BB6_8948 Depth=3
	s_or_b64 exec, exec, s[28:29]
	v_lshrrev_b64 v[3:4], 21, v[3:4]
	v_cmp_gt_i32_e32 vcc, 32, v5
	v_cndmask_b32_e32 v4, 0, v4, vcc
	v_cndmask_b32_e32 v3, 3, v3, vcc
	v_cmp_eq_u64_e64 s[28:29], 0, v[3:4]
	v_min_i32_e32 v4, 31, v5
	v_lshlrev_b32_e32 v4, 2, v4
	v_cmp_eq_u32_e32 vcc, 0, v5
	v_and_b32_e32 v4, 0xfc, v4
	v_and_or_b32 v3, v3, 3, v4
	s_and_b64 s[28:29], vcc, s[28:29]
	v_cndmask_b32_e64 v3, v3, 0, s[28:29]
	v_or_b32_e32 v39, v3, v0
.LBB6_11206:                            ;   in Loop: Header=BB6_8948 Depth=3
	s_or_b64 exec, exec, s[36:37]
                                        ; implicit-def: $vgpr0
.LBB6_11207:                            ;   in Loop: Header=BB6_8948 Depth=3
	s_andn2_saveexec_b64 s[28:29], s[34:35]
; %bb.11208:                            ;   in Loop: Header=BB6_8948 Depth=3
	v_or_b32_e32 v39, 0x7b, v0
; %bb.11209:                            ;   in Loop: Header=BB6_8948 Depth=3
	s_or_b64 exec, exec, s[28:29]
                                        ; implicit-def: $vgpr5
                                        ; implicit-def: $vgpr3_vgpr4
.LBB6_11210:                            ;   in Loop: Header=BB6_8948 Depth=3
	s_andn2_saveexec_b64 s[28:29], s[30:31]
	s_cbranch_execz .LBB6_11216
; %bb.11211:                            ;   in Loop: Header=BB6_8948 Depth=3
	v_cmp_ne_u64_e32 vcc, 0, v[3:4]
                                        ; implicit-def: $vgpr39
	s_and_saveexec_b64 s[30:31], vcc
	s_xor_b64 vcc, exec, s[30:31]
; %bb.11212:                            ;   in Loop: Header=BB6_8948 Depth=3
	v_or_b32_sdwa v39, v5, s83 dst_sel:DWORD dst_unused:UNUSED_PAD src0_sel:BYTE_3 src1_sel:DWORD
                                        ; implicit-def: $vgpr5
; %bb.11213:                            ;   in Loop: Header=BB6_8948 Depth=3
	s_andn2_saveexec_b64 s[30:31], vcc
; %bb.11214:                            ;   in Loop: Header=BB6_8948 Depth=3
	v_cmp_lt_i32_e32 vcc, -1, v5
	v_bfrev_b32_e32 v0, 0.5
	v_mov_b32_e32 v3, 0x7c
	v_cndmask_b32_e32 v39, v0, v3, vcc
; %bb.11215:                            ;   in Loop: Header=BB6_8948 Depth=3
	s_or_b64 exec, exec, s[30:31]
.LBB6_11216:                            ;   in Loop: Header=BB6_8948 Depth=3
	s_or_b64 exec, exec, s[28:29]
	v_cmp_lt_u64_e32 vcc, s[56:57], v[14:15]
	v_mov_b32_e32 v3, 0
	v_mov_b32_e32 v4, 0
	s_and_saveexec_b64 s[28:29], vcc
	s_cbranch_execz .LBB6_11224
; %bb.11217:                            ;   in Loop: Header=BB6_8948 Depth=3
	v_lshrrev_b32_e32 v0, 24, v15
	v_cmp_ne_u32_e32 vcc, s44, v0
	v_bfrev_b32_e32 v4, 1
	s_and_saveexec_b64 s[30:31], vcc
	s_cbranch_execz .LBB6_11223
; %bb.11218:                            ;   in Loop: Header=BB6_8948 Depth=3
	v_and_b32_e32 v4, 0x7c000000, v15
	v_bfe_u32 v5, v15, 24, 2
	v_cmp_ne_u32_e32 vcc, s8, v4
                                        ; implicit-def: $vgpr4
	s_and_saveexec_b64 s[34:35], vcc
	s_xor_b64 s[34:35], exec, s[34:35]
	s_cbranch_execz .LBB6_11220
; %bb.11219:                            ;   in Loop: Header=BB6_8948 Depth=3
	v_ffbh_u32_e32 v14, v5
	v_min_u32_e32 v14, 32, v14
	v_subrev_u32_e32 v32, 29, v14
	v_lshlrev_b64 v[32:33], v32, v[0:1]
	v_bfe_u32 v4, v15, 26, 5
	v_sub_u32_e32 v0, 30, v14
	v_and_b32_e32 v14, 3, v32
	v_cmp_eq_u32_e32 vcc, 0, v4
	v_cndmask_b32_e32 v0, v4, v0, vcc
	v_cndmask_b32_e32 v4, v5, v14, vcc
	v_and_b32_e32 v5, 0x80000000, v15
	v_lshl_add_u32 v0, v0, 23, v5
	v_lshl_or_b32 v0, v4, 21, v0
	v_add_u32_e32 v4, 0x38000000, v0
                                        ; implicit-def: $vgpr5
                                        ; implicit-def: $vgpr14_vgpr15
.LBB6_11220:                            ;   in Loop: Header=BB6_8948 Depth=3
	s_andn2_saveexec_b64 s[34:35], s[34:35]
; %bb.11221:                            ;   in Loop: Header=BB6_8948 Depth=3
	v_cmp_lt_i64_e32 vcc, -1, v[14:15]
	v_mov_b32_e32 v0, 0xff800000
	v_mov_b32_e32 v4, 0x7f800000
	v_cndmask_b32_e32 v0, v0, v4, vcc
	v_cmp_eq_u32_e32 vcc, 0, v5
	v_mov_b32_e32 v4, 0x7f800001
	v_cndmask_b32_e32 v4, v4, v0, vcc
; %bb.11222:                            ;   in Loop: Header=BB6_8948 Depth=3
	s_or_b64 exec, exec, s[34:35]
.LBB6_11223:                            ;   in Loop: Header=BB6_8948 Depth=3
	s_or_b64 exec, exec, s[30:31]
.LBB6_11224:                            ;   in Loop: Header=BB6_8948 Depth=3
	s_or_b64 exec, exec, s[28:29]
	v_cmp_lt_u64_e32 vcc, s[56:57], v[10:11]
	s_and_saveexec_b64 s[28:29], vcc
	s_cbranch_execz .LBB6_11232
; %bb.11225:                            ;   in Loop: Header=BB6_8948 Depth=3
	v_lshrrev_b32_e32 v0, 24, v11
	v_cmp_ne_u32_e32 vcc, s44, v0
	v_bfrev_b32_e32 v3, 1
	s_and_saveexec_b64 s[30:31], vcc
	s_cbranch_execz .LBB6_11231
; %bb.11226:                            ;   in Loop: Header=BB6_8948 Depth=3
	v_and_b32_e32 v3, 0x7c000000, v11
	v_bfe_u32 v5, v11, 24, 2
	v_cmp_ne_u32_e32 vcc, s8, v3
                                        ; implicit-def: $vgpr3
	s_and_saveexec_b64 s[34:35], vcc
	s_xor_b64 s[34:35], exec, s[34:35]
	s_cbranch_execz .LBB6_11228
; %bb.11227:                            ;   in Loop: Header=BB6_8948 Depth=3
	v_ffbh_u32_e32 v10, v5
	v_min_u32_e32 v10, 32, v10
	v_subrev_u32_e32 v14, 29, v10
	v_lshlrev_b64 v[14:15], v14, v[0:1]
	v_bfe_u32 v3, v11, 26, 5
	v_sub_u32_e32 v0, 30, v10
	v_and_b32_e32 v10, 3, v14
	v_cmp_eq_u32_e32 vcc, 0, v3
	v_cndmask_b32_e32 v0, v3, v0, vcc
	v_cndmask_b32_e32 v3, v5, v10, vcc
	v_and_b32_e32 v5, 0x80000000, v11
	v_lshl_add_u32 v0, v0, 23, v5
	v_lshl_or_b32 v0, v3, 21, v0
	v_add_u32_e32 v3, 0x38000000, v0
                                        ; implicit-def: $vgpr5
                                        ; implicit-def: $vgpr10_vgpr11
.LBB6_11228:                            ;   in Loop: Header=BB6_8948 Depth=3
	s_andn2_saveexec_b64 s[34:35], s[34:35]
; %bb.11229:                            ;   in Loop: Header=BB6_8948 Depth=3
	v_cmp_lt_i64_e32 vcc, -1, v[10:11]
	v_mov_b32_e32 v0, 0xff800000
	v_mov_b32_e32 v3, 0x7f800000
	v_cndmask_b32_e32 v0, v0, v3, vcc
	v_cmp_eq_u32_e32 vcc, 0, v5
	v_mov_b32_e32 v3, 0x7f800001
	v_cndmask_b32_e32 v3, v3, v0, vcc
; %bb.11230:                            ;   in Loop: Header=BB6_8948 Depth=3
	s_or_b64 exec, exec, s[34:35]
.LBB6_11231:                            ;   in Loop: Header=BB6_8948 Depth=3
	s_or_b64 exec, exec, s[30:31]
.LBB6_11232:                            ;   in Loop: Header=BB6_8948 Depth=3
	s_or_b64 exec, exec, s[28:29]
	v_mul_f32_e32 v5, v4, v3
	v_and_b32_e32 v10, 0x7f800000, v5
	v_mov_b32_e32 v11, v34
	v_cmp_ne_u64_e32 vcc, s[76:77], v[10:11]
	v_and_b32_e32 v3, 0x7fffff, v5
	v_mov_b32_e32 v4, v34
                                        ; implicit-def: $vgpr0
	s_and_saveexec_b64 s[28:29], vcc
	s_xor_b64 s[30:31], exec, s[28:29]
	s_cbranch_execz .LBB6_11246
; %bb.11233:                            ;   in Loop: Header=BB6_8948 Depth=3
	v_and_b32_e32 v10, 0x7fffffff, v5
	v_mov_b32_e32 v11, v34
	v_cmp_gt_u64_e32 vcc, s[78:79], v[10:11]
	v_and_b32_sdwa v10, v5, s44 dst_sel:DWORD dst_unused:UNUSED_PAD src0_sel:BYTE_3 src1_sel:DWORD
                                        ; implicit-def: $vgpr0
	s_and_saveexec_b64 s[28:29], vcc
	s_xor_b64 s[34:35], exec, s[28:29]
	s_cbranch_execz .LBB6_11243
; %bb.11234:                            ;   in Loop: Header=BB6_8948 Depth=3
	v_mov_b32_e32 v0, 0
	v_cmp_ne_u32_e32 vcc, 0, v5
	s_and_saveexec_b64 s[36:37], vcc
	s_cbranch_execz .LBB6_11242
; %bb.11235:                            ;   in Loop: Header=BB6_8948 Depth=3
	v_bfe_u32 v0, v5, 23, 8
	v_cmp_gt_u32_e64 s[28:29], s45, v0
	v_sub_u32_e32 v5, 0x71, v0
	v_cmp_eq_u32_e32 vcc, 0, v0
	v_cndmask_b32_e64 v5, 0, v5, s[28:29]
	v_mov_b32_e32 v11, 0x70
	v_cndmask_b32_e32 v11, v5, v11, vcc
	v_or_b32_e32 v14, 0x800000, v3
	v_add_u32_e32 v5, 21, v11
	v_cndmask_b32_e32 v3, v14, v3, vcc
	v_lshlrev_b64 v[14:15], v5, -1
	v_add_u32_e32 v5, 20, v11
	v_bfi_b32 v14, v14, 0, v3
	v_lshlrev_b64 v[32:33], v5, 1
	v_lshrrev_b64 v[3:4], v11, v[3:4]
	v_bfi_b32 v15, v15, 0, 0
	v_cmp_eq_u64_e64 s[28:29], v[14:15], v[32:33]
	v_mov_b32_e32 v5, v4
	v_mov_b32_e32 v4, v3
	s_and_saveexec_b64 s[38:39], s[28:29]
; %bb.11236:                            ;   in Loop: Header=BB6_8948 Depth=3
	v_bfe_u32 v4, v3, 21, 1
	v_add_co_u32_e64 v4, s[28:29], v3, v4
	v_add_co_u32_e64 v4, s[28:29], -1, v4
; %bb.11237:                            ;   in Loop: Header=BB6_8948 Depth=3
	s_or_b64 exec, exec, s[38:39]
	v_add_u32_e32 v0, 0xffffff81, v0
	v_mov_b32_e32 v5, 0xffffff82
	v_cndmask_b32_e32 v0, v0, v5, vcc
	v_lshrrev_b32_e32 v5, 23, v3
	v_add3_u32 v11, v11, v0, v5
	v_add_u32_e32 v5, 14, v11
	v_and_b32_e32 v0, 0x1fffff, v4
	v_add_u32_e32 v3, v0, v3
	v_mov_b32_e32 v4, v34
	v_cmp_ne_u32_e32 vcc, 0, v5
                                        ; implicit-def: $vgpr0
	s_and_saveexec_b64 s[28:29], vcc
	s_xor_b64 s[28:29], exec, s[28:29]
; %bb.11238:                            ;   in Loop: Header=BB6_8948 Depth=3
	v_cmp_lt_u64_e32 vcc, s[88:89], v[3:4]
	v_add_u32_e32 v0, 15, v11
	v_cndmask_b32_e32 v0, v5, v0, vcc
	v_cndmask_b32_e64 v5, 0, 1, vcc
	v_lshrrev_b64 v[3:4], v5, v[3:4]
; %bb.11239:                            ;   in Loop: Header=BB6_8948 Depth=3
	s_andn2_saveexec_b64 s[28:29], s[28:29]
; %bb.11240:                            ;   in Loop: Header=BB6_8948 Depth=3
	v_bfe_u32 v0, v3, 23, 1
; %bb.11241:                            ;   in Loop: Header=BB6_8948 Depth=3
	s_or_b64 exec, exec, s[28:29]
	v_lshrrev_b64 v[3:4], 21, v[3:4]
	v_cmp_gt_i32_e32 vcc, 32, v0
	v_cndmask_b32_e32 v4, 0, v4, vcc
	v_cndmask_b32_e32 v3, 3, v3, vcc
	v_cmp_eq_u32_e32 vcc, 0, v0
	v_min_i32_e32 v0, 31, v0
	v_cmp_eq_u64_e64 s[28:29], 0, v[3:4]
	v_lshlrev_b32_e32 v0, 2, v0
	v_and_b32_e32 v0, 0xfc, v0
	v_and_or_b32 v0, v3, 3, v0
	s_and_b64 s[28:29], vcc, s[28:29]
	v_cndmask_b32_e64 v0, v0, 0, s[28:29]
	v_or_b32_e32 v0, v0, v10
.LBB6_11242:                            ;   in Loop: Header=BB6_8948 Depth=3
	s_or_b64 exec, exec, s[36:37]
                                        ; implicit-def: $vgpr10
.LBB6_11243:                            ;   in Loop: Header=BB6_8948 Depth=3
	s_andn2_saveexec_b64 s[28:29], s[34:35]
; %bb.11244:                            ;   in Loop: Header=BB6_8948 Depth=3
	v_or_b32_e32 v0, 0x7b, v10
; %bb.11245:                            ;   in Loop: Header=BB6_8948 Depth=3
	s_or_b64 exec, exec, s[28:29]
                                        ; implicit-def: $vgpr5
                                        ; implicit-def: $vgpr3_vgpr4
.LBB6_11246:                            ;   in Loop: Header=BB6_8948 Depth=3
	s_andn2_saveexec_b64 s[28:29], s[30:31]
	s_cbranch_execz .LBB6_8947
; %bb.11247:                            ;   in Loop: Header=BB6_8948 Depth=3
	v_cmp_ne_u64_e32 vcc, 0, v[3:4]
                                        ; implicit-def: $vgpr0
	s_and_saveexec_b64 s[30:31], vcc
	s_xor_b64 vcc, exec, s[30:31]
; %bb.11248:                            ;   in Loop: Header=BB6_8948 Depth=3
	v_or_b32_sdwa v0, v5, s83 dst_sel:DWORD dst_unused:UNUSED_PAD src0_sel:BYTE_3 src1_sel:DWORD
                                        ; implicit-def: $vgpr5
; %bb.11249:                            ;   in Loop: Header=BB6_8948 Depth=3
	s_andn2_saveexec_b64 s[30:31], vcc
	s_cbranch_execz .LBB6_8946
; %bb.11250:                            ;   in Loop: Header=BB6_8948 Depth=3
	v_cmp_lt_i32_e32 vcc, -1, v5
	v_bfrev_b32_e32 v0, 0.5
	v_mov_b32_e32 v3, 0x7c
	v_cndmask_b32_e32 v0, v0, v3, vcc
	s_branch .LBB6_8946
.LBB6_11251:                            ;   in Loop: Header=BB6_4663 Depth=2
	s_or_b64 exec, exec, s[42:43]
	buffer_load_dword v1, off, s[0:3], s33 offset:384 ; 4-byte Folded Reload
.LBB6_11252:                            ;   in Loop: Header=BB6_4663 Depth=2
	s_or_b64 exec, exec, s[40:41]
	buffer_load_dword v0, off, s[0:3], s33 offset:432 ; 4-byte Folded Reload
	s_waitcnt vmcnt(0)
	v_lshlrev_b32_e32 v22, 12, v1
	s_mov_b64 s[28:29], 0
	v_mov_b32_e32 v4, 0
                                        ; implicit-def: $vgpr3
                                        ; implicit-def: $vgpr5
                                        ; implicit-def: $vgpr1
	v_cmp_ne_u32_e32 vcc, v0, v22
	s_and_saveexec_b64 s[30:31], vcc
	s_cbranch_execz .LBB6_11804
; %bb.11253:                            ;   in Loop: Header=BB6_4663 Depth=2
	buffer_load_dword v0, off, s[0:3], s33 offset:432 ; 4-byte Folded Reload
	buffer_load_dword v2, off, s[0:3], s33 offset:460 ; 4-byte Folded Reload
	s_waitcnt vmcnt(0)
	v_sub_u32_e32 v1, v0, v22
	v_lshlrev_b32_e32 v0, 6, v7
	v_sub_u32_e32 v0, v2, v0
	v_ashrrev_i32_e32 v2, 31, v0
	v_lshrrev_b32_e32 v2, 26, v2
	v_add_u32_e32 v2, v0, v2
	v_ashrrev_i32_e32 v3, 6, v2
	v_and_b32_e32 v2, 0xffffffc0, v2
	v_sub_u32_e32 v23, v0, v2
	v_ashrrev_i32_e32 v2, 31, v1
	v_lshrrev_b32_e32 v2, 22, v2
	v_add_u32_e32 v2, v1, v2
	v_and_b32_e32 v24, 0xfffffc00, v2
	v_lshlrev_b32_e32 v0, 4, v23
	v_sub_u32_e32 v26, v1, v24
	v_lshl_add_u32 v0, v3, 10, v0
	v_ashrrev_i32_e32 v4, 10, v2
	v_cmp_lt_i32_e32 vcc, 15, v26
	v_sub_u32_e32 v27, v1, v0
	v_addc_co_u32_e64 v1, s[28:29], 0, v4, vcc
	v_sub_u32_e32 v25, v1, v3
	v_cmp_lt_i32_e64 s[28:29], 15, v27
	s_and_saveexec_b64 s[34:35], s[28:29]
	s_cbranch_execz .LBB6_11801
; %bb.11254:                            ;   in Loop: Header=BB6_4663 Depth=2
	v_add_u32_e32 v0, v0, v22
	s_trap 2
	ds_read_b64 v[3:4], v0
	buffer_load_dword v1, off, s[0:3], s33 offset:452 ; 4-byte Folded Reload
	buffer_load_dword v2, off, s[0:3], s33 offset:456 ; 4-byte Folded Reload
	v_ashrrev_i32_e32 v5, 31, v0
	s_mov_b64 s[36:37], 0
	s_waitcnt vmcnt(0)
	v_add_co_u32_e64 v1, s[28:29], v0, v1
	v_addc_co_u32_e64 v2, s[28:29], v5, v2, s[28:29]
	s_waitcnt lgkmcnt(0)
	v_add_co_u32_e64 v16, s[28:29], v3, v0
	v_addc_co_u32_e64 v17, s[28:29], v4, v5, s[28:29]
	buffer_load_dword v3, off, s[0:3], s33 offset:444 ; 4-byte Folded Reload
	buffer_load_dword v4, off, s[0:3], s33 offset:448 ; 4-byte Folded Reload
	s_waitcnt vmcnt(1)
	v_add_co_u32_e64 v18, s[28:29], v0, v3
	s_waitcnt vmcnt(0)
	v_addc_co_u32_e64 v19, s[28:29], v5, v4, s[28:29]
	s_branch .LBB6_11257
.LBB6_11255:                            ;   in Loop: Header=BB6_11257 Depth=3
	s_or_b64 exec, exec, s[42:43]
.LBB6_11256:                            ;   in Loop: Header=BB6_11257 Depth=3
	s_or_b64 exec, exec, s[40:41]
	v_lshl_or_b32 v0, v21, 8, v20
	v_lshlrev_b32_e32 v3, 16, v32
	v_lshlrev_b32_e32 v4, 24, v9
	v_or3_b32 v10, v0, v3, v4
	v_lshl_or_b32 v0, v29, 8, v28
	v_lshlrev_b32_e32 v3, 16, v30
	v_lshlrev_b32_e32 v4, 24, v31
	v_or3_b32 v9, v0, v3, v4
	;; [unrolled: 4-line block ×3, first 2 shown]
	v_lshlrev_b32_e32 v0, 24, v5
	v_lshlrev_b32_e32 v3, 16, v7
	v_lshl_or_b32 v4, v6, 8, v8
	v_or3_b32 v12, v4, v3, v0
	buffer_load_dword v0, off, s[0:3], s33 offset:316 ; 4-byte Folded Reload
	s_waitcnt vmcnt(1)
	v_sub_u32_e32 v25, v25, v39
	global_store_dwordx4 v[18:19], v[9:12], off glc slc
	s_waitcnt vmcnt(1)
	v_add_co_u32_e64 v1, s[28:29], v1, v0
	v_addc_co_u32_e64 v2, s[28:29], 0, v2, s[28:29]
	v_add_co_u32_e64 v16, s[28:29], v16, v0
	v_addc_co_u32_e64 v17, s[28:29], 0, v17, s[28:29]
	;; [unrolled: 2-line block ×3, first 2 shown]
	v_sub_u32_e32 v27, v27, v0
	v_cmp_gt_i32_e64 s[28:29], 16, v27
	s_or_b64 s[36:37], s[28:29], s[36:37]
	s_andn2_b64 exec, exec, s[36:37]
	s_cbranch_execz .LBB6_11800
.LBB6_11257:                            ;   Parent Loop BB6_47 Depth=1
                                        ;     Parent Loop BB6_4663 Depth=2
                                        ; =>    This Inner Loop Header: Depth=3
	global_load_dwordx4 v[12:15], v[1:2], off glc slc
	global_load_dwordx4 v[8:11], v[16:17], off glc slc
	v_mov_b32_e32 v0, 0
	s_waitcnt vmcnt(1)
	v_cmp_ne_u16_sdwa s[28:29], v12, v34 src0_sel:BYTE_0 src1_sel:DWORD
	s_and_saveexec_b64 s[40:41], s[28:29]
	s_cbranch_execz .LBB6_11265
; %bb.11258:                            ;   in Loop: Header=BB6_11257 Depth=3
	v_cmp_ne_u16_sdwa s[28:29], sext(v12), s80 src0_sel:BYTE_0 src1_sel:DWORD
	v_bfrev_b32_e32 v0, 1
	s_and_saveexec_b64 s[42:43], s[28:29]
	s_cbranch_execz .LBB6_11264
; %bb.11259:                            ;   in Loop: Header=BB6_11257 Depth=3
	v_and_b32_e32 v0, 0x7c, v12
	v_and_b32_e32 v3, 3, v12
	v_cmp_ne_u32_e64 s[28:29], s81, v0
                                        ; implicit-def: $vgpr0
	s_and_saveexec_b64 s[38:39], s[28:29]
	s_xor_b64 s[38:39], exec, s[38:39]
	s_cbranch_execz .LBB6_11261
; %bb.11260:                            ;   in Loop: Header=BB6_11257 Depth=3
	v_ffbh_u32_e32 v4, v3
	v_min_u32_e32 v6, 32, v4
	v_subrev_u32_e32 v4, 29, v6
	v_lshlrev_b64 v[4:5], v4, v[12:13]
	v_bfe_u32 v0, v12, 2, 5
	v_and_b32_e32 v4, 3, v4
	v_cmp_eq_u32_e64 s[28:29], 0, v0
	v_sub_u32_e32 v5, 30, v6
	v_cndmask_b32_e64 v3, v3, v4, s[28:29]
	v_lshlrev_b32_e32 v4, 24, v12
	v_cndmask_b32_e64 v0, v0, v5, s[28:29]
	v_and_b32_e32 v4, 0x80000000, v4
	v_lshl_add_u32 v0, v0, 23, v4
	v_lshl_or_b32 v0, v3, 21, v0
	v_add_u32_e32 v0, 0x38000000, v0
                                        ; implicit-def: $vgpr3
.LBB6_11261:                            ;   in Loop: Header=BB6_11257 Depth=3
	s_andn2_saveexec_b64 s[38:39], s[38:39]
; %bb.11262:                            ;   in Loop: Header=BB6_11257 Depth=3
	v_mov_b32_e32 v0, -1
	v_cmp_gt_i16_sdwa s[28:29], sext(v12), v0 src0_sel:BYTE_0 src1_sel:DWORD
	v_mov_b32_e32 v0, 0xff800000
	v_mov_b32_e32 v4, 0x7f800000
	v_cndmask_b32_e64 v0, v0, v4, s[28:29]
	v_cmp_eq_u32_e64 s[28:29], 0, v3
	v_mov_b32_e32 v3, 0x7f800001
	v_cndmask_b32_e64 v0, v3, v0, s[28:29]
; %bb.11263:                            ;   in Loop: Header=BB6_11257 Depth=3
	s_or_b64 exec, exec, s[38:39]
.LBB6_11264:                            ;   in Loop: Header=BB6_11257 Depth=3
	s_or_b64 exec, exec, s[42:43]
.LBB6_11265:                            ;   in Loop: Header=BB6_11257 Depth=3
	s_or_b64 exec, exec, s[40:41]
	s_waitcnt vmcnt(0)
	v_cmp_gt_i16_sdwa s[40:41], v8, s83 src0_sel:BYTE_0 src1_sel:DWORD
	s_mov_b64 s[28:29], 0
	s_and_saveexec_b64 s[42:43], s[40:41]
	s_xor_b64 s[40:41], exec, s[42:43]
	s_cbranch_execz .LBB6_11780
; %bb.11266:                            ;   in Loop: Header=BB6_11257 Depth=3
	v_cmp_eq_u16_sdwa s[38:39], v8, s44 src0_sel:BYTE_0 src1_sel:DWORD
	s_mov_b64 s[28:29], -1
	s_and_saveexec_b64 s[42:43], s[38:39]
; %bb.11267:                            ;   in Loop: Header=BB6_11257 Depth=3
	s_xor_b64 s[28:29], exec, -1
; %bb.11268:                            ;   in Loop: Header=BB6_11257 Depth=3
	s_or_b64 exec, exec, s[42:43]
	s_and_b64 s[28:29], s[28:29], exec
	s_or_saveexec_b64 s[40:41], s[40:41]
	v_bfrev_b32_e32 v3, 1
	s_xor_b64 exec, exec, s[40:41]
	s_cbranch_execnz .LBB6_11781
.LBB6_11269:                            ;   in Loop: Header=BB6_11257 Depth=3
	s_or_b64 exec, exec, s[40:41]
	s_and_saveexec_b64 s[38:39], s[28:29]
	s_cbranch_execz .LBB6_11271
.LBB6_11270:                            ;   in Loop: Header=BB6_11257 Depth=3
	v_and_b32_e32 v5, 3, v8
	v_and_b32_e32 v3, 0x7c, v8
	v_cmp_eq_u32_e64 s[28:29], s81, v3
	v_ffbh_u32_e32 v3, v5
	v_min_u32_e32 v7, 32, v3
	v_subrev_u32_e32 v3, 29, v7
	v_bfe_u32 v6, v8, 2, 5
	v_lshlrev_b64 v[3:4], v3, v[8:9]
	v_cmp_eq_u32_e64 s[40:41], 0, v6
	v_sub_u32_e32 v4, 30, v7
	v_cndmask_b32_e64 v4, v6, v4, s[40:41]
	v_lshlrev_b32_e32 v6, 24, v8
	v_and_b32_e32 v3, 3, v3
	v_and_b32_e32 v6, 0x80000000, v6
	v_cndmask_b32_e64 v3, v5, v3, s[40:41]
	v_lshl_add_u32 v4, v4, 23, v6
	v_lshl_or_b32 v3, v3, 21, v4
	v_mov_b32_e32 v4, -1
	v_cmp_eq_u32_e64 s[40:41], 0, v5
	v_cmp_gt_i16_sdwa s[42:43], sext(v8), v4 src0_sel:BYTE_0 src1_sel:DWORD
	v_mov_b32_e32 v4, 0xff800000
	v_mov_b32_e32 v5, 0x7f800000
	v_cndmask_b32_e64 v4, v4, v5, s[42:43]
	v_mov_b32_e32 v5, 0x7f800001
	v_add_u32_e32 v3, 0x38000000, v3
	v_cndmask_b32_e64 v4, v5, v4, s[40:41]
	v_cndmask_b32_e64 v3, v3, v4, s[28:29]
.LBB6_11271:                            ;   in Loop: Header=BB6_11257 Depth=3
	s_or_b64 exec, exec, s[38:39]
	v_mul_f32_e32 v5, v0, v3
	v_and_b32_e32 v6, 0x7f800000, v5
	v_mov_b32_e32 v7, v34
	v_cmp_ne_u64_e64 s[28:29], s[76:77], v[6:7]
	v_and_b32_e32 v3, 0x7fffff, v5
	v_mov_b32_e32 v4, v34
                                        ; implicit-def: $vgpr28
	s_and_saveexec_b64 s[40:41], s[28:29]
	s_xor_b64 s[42:43], exec, s[40:41]
	s_cbranch_execz .LBB6_11285
; %bb.11272:                            ;   in Loop: Header=BB6_11257 Depth=3
	v_and_b32_e32 v6, 0x7fffffff, v5
	v_mov_b32_e32 v7, v34
	v_cmp_gt_u64_e64 s[28:29], s[78:79], v[6:7]
	v_and_b32_sdwa v0, v5, s44 dst_sel:DWORD dst_unused:UNUSED_PAD src0_sel:BYTE_3 src1_sel:DWORD
                                        ; implicit-def: $vgpr28
	s_and_saveexec_b64 s[40:41], s[28:29]
	s_xor_b64 s[38:39], exec, s[40:41]
	s_cbranch_execz .LBB6_11282
; %bb.11273:                            ;   in Loop: Header=BB6_11257 Depth=3
	v_mov_b32_e32 v28, 0
	v_cmp_ne_u32_e64 s[28:29], 0, v5
	s_and_saveexec_b64 s[48:49], s[28:29]
	s_cbranch_execz .LBB6_11281
; %bb.11274:                            ;   in Loop: Header=BB6_11257 Depth=3
	v_bfe_u32 v6, v5, 23, 8
	v_cmp_gt_u32_e64 s[40:41], s45, v6
	v_sub_u32_e32 v5, 0x71, v6
	v_cmp_eq_u32_e64 s[28:29], 0, v6
	v_cndmask_b32_e64 v5, 0, v5, s[40:41]
	v_mov_b32_e32 v7, 0x70
	v_cndmask_b32_e64 v7, v5, v7, s[28:29]
	v_or_b32_e32 v20, 0x800000, v3
	v_add_u32_e32 v5, 21, v7
	v_cndmask_b32_e64 v3, v20, v3, s[28:29]
	v_lshlrev_b64 v[20:21], v5, -1
	v_add_u32_e32 v5, 20, v7
	v_bfi_b32 v20, v20, 0, v3
	v_lshlrev_b64 v[28:29], v5, 1
	v_lshrrev_b64 v[3:4], v7, v[3:4]
	v_bfi_b32 v21, v21, 0, 0
	v_cmp_eq_u64_e64 s[40:41], v[20:21], v[28:29]
	v_mov_b32_e32 v5, v4
	v_mov_b32_e32 v4, v3
	s_and_saveexec_b64 s[50:51], s[40:41]
; %bb.11275:                            ;   in Loop: Header=BB6_11257 Depth=3
	v_bfe_u32 v4, v3, 21, 1
	v_add_co_u32_e64 v4, s[40:41], v3, v4
	v_add_co_u32_e64 v4, s[40:41], -1, v4
; %bb.11276:                            ;   in Loop: Header=BB6_11257 Depth=3
	s_or_b64 exec, exec, s[50:51]
	v_add_u32_e32 v5, 0xffffff81, v6
	v_mov_b32_e32 v6, 0xffffff82
	v_cndmask_b32_e64 v5, v5, v6, s[28:29]
	v_lshrrev_b32_e32 v6, 23, v3
	v_add3_u32 v7, v7, v5, v6
	v_add_u32_e32 v6, 14, v7
	v_and_b32_e32 v4, 0x1fffff, v4
	v_add_u32_e32 v3, v4, v3
	v_mov_b32_e32 v4, v34
	v_cmp_ne_u32_e64 s[28:29], 0, v6
                                        ; implicit-def: $vgpr5
	s_and_saveexec_b64 s[40:41], s[28:29]
	s_xor_b64 s[40:41], exec, s[40:41]
; %bb.11277:                            ;   in Loop: Header=BB6_11257 Depth=3
	v_cmp_lt_u64_e64 s[28:29], s[88:89], v[3:4]
	v_add_u32_e32 v5, 15, v7
	v_cndmask_b32_e64 v5, v6, v5, s[28:29]
	v_cndmask_b32_e64 v6, 0, 1, s[28:29]
	v_lshrrev_b64 v[3:4], v6, v[3:4]
; %bb.11278:                            ;   in Loop: Header=BB6_11257 Depth=3
	s_andn2_saveexec_b64 s[28:29], s[40:41]
; %bb.11279:                            ;   in Loop: Header=BB6_11257 Depth=3
	v_bfe_u32 v5, v3, 23, 1
; %bb.11280:                            ;   in Loop: Header=BB6_11257 Depth=3
	s_or_b64 exec, exec, s[28:29]
	v_lshrrev_b64 v[3:4], 21, v[3:4]
	v_cmp_gt_i32_e64 s[28:29], 32, v5
	v_cndmask_b32_e64 v4, 0, v4, s[28:29]
	v_cndmask_b32_e64 v3, 3, v3, s[28:29]
	v_cmp_eq_u64_e64 s[40:41], 0, v[3:4]
	v_min_i32_e32 v4, 31, v5
	v_lshlrev_b32_e32 v4, 2, v4
	v_cmp_eq_u32_e64 s[28:29], 0, v5
	v_and_b32_e32 v4, 0xfc, v4
	v_and_or_b32 v3, v3, 3, v4
	s_and_b64 s[28:29], s[28:29], s[40:41]
	v_cndmask_b32_e64 v3, v3, 0, s[28:29]
	v_or_b32_e32 v28, v3, v0
.LBB6_11281:                            ;   in Loop: Header=BB6_11257 Depth=3
	s_or_b64 exec, exec, s[48:49]
                                        ; implicit-def: $vgpr0
.LBB6_11282:                            ;   in Loop: Header=BB6_11257 Depth=3
	s_andn2_saveexec_b64 s[28:29], s[38:39]
; %bb.11283:                            ;   in Loop: Header=BB6_11257 Depth=3
	v_or_b32_e32 v28, 0x7b, v0
; %bb.11284:                            ;   in Loop: Header=BB6_11257 Depth=3
	s_or_b64 exec, exec, s[28:29]
                                        ; implicit-def: $vgpr5
                                        ; implicit-def: $vgpr3_vgpr4
.LBB6_11285:                            ;   in Loop: Header=BB6_11257 Depth=3
	s_andn2_saveexec_b64 s[40:41], s[42:43]
	s_cbranch_execz .LBB6_11291
; %bb.11286:                            ;   in Loop: Header=BB6_11257 Depth=3
	v_cmp_ne_u64_e64 s[28:29], 0, v[3:4]
                                        ; implicit-def: $vgpr28
	s_and_saveexec_b64 s[42:43], s[28:29]
	s_xor_b64 s[28:29], exec, s[42:43]
; %bb.11287:                            ;   in Loop: Header=BB6_11257 Depth=3
	v_or_b32_sdwa v28, v5, s83 dst_sel:DWORD dst_unused:UNUSED_PAD src0_sel:BYTE_3 src1_sel:DWORD
                                        ; implicit-def: $vgpr5
; %bb.11288:                            ;   in Loop: Header=BB6_11257 Depth=3
	s_andn2_saveexec_b64 s[42:43], s[28:29]
; %bb.11289:                            ;   in Loop: Header=BB6_11257 Depth=3
	v_cmp_lt_i32_e64 s[28:29], -1, v5
	v_bfrev_b32_e32 v0, 0.5
	v_mov_b32_e32 v3, 0x7c
	v_cndmask_b32_e64 v28, v0, v3, s[28:29]
; %bb.11290:                            ;   in Loop: Header=BB6_11257 Depth=3
	s_or_b64 exec, exec, s[42:43]
.LBB6_11291:                            ;   in Loop: Header=BB6_11257 Depth=3
	s_or_b64 exec, exec, s[40:41]
	v_lshrrev_b16_e32 v3, 8, v12
	v_cmp_ne_u16_e64 s[28:29], 0, v3
	v_mov_b32_e32 v0, 0
	s_and_saveexec_b64 s[40:41], s[28:29]
	s_cbranch_execz .LBB6_11299
; %bb.11292:                            ;   in Loop: Header=BB6_11257 Depth=3
	v_cmp_ne_u16_e64 s[28:29], s44, v3
	v_bfrev_b32_e32 v0, 1
	s_and_saveexec_b64 s[42:43], s[28:29]
	s_cbranch_execz .LBB6_11298
; %bb.11293:                            ;   in Loop: Header=BB6_11257 Depth=3
	v_and_b32_e32 v0, 0x7c, v3
	v_and_b32_e32 v5, 3, v3
	v_cmp_ne_u32_e64 s[28:29], s81, v0
                                        ; implicit-def: $vgpr0
	s_and_saveexec_b64 s[38:39], s[28:29]
	s_xor_b64 s[38:39], exec, s[38:39]
	s_cbranch_execz .LBB6_11295
; %bb.11294:                            ;   in Loop: Header=BB6_11257 Depth=3
	v_ffbh_u32_e32 v6, v5
	v_min_u32_e32 v6, 32, v6
	v_mov_b32_e32 v4, v34
	v_subrev_u32_e32 v7, 29, v6
	v_bfe_u32 v0, v3, 2, 5
	v_lshlrev_b64 v[3:4], v7, v[3:4]
	v_sub_u32_e32 v4, 30, v6
	v_cmp_eq_u32_e64 s[28:29], 0, v0
	v_cndmask_b32_e64 v0, v0, v4, s[28:29]
	v_lshlrev_b32_e32 v4, 16, v12
	v_and_b32_e32 v3, 3, v3
	v_and_b32_e32 v4, 0x80000000, v4
	v_cndmask_b32_e64 v3, v5, v3, s[28:29]
	v_lshl_add_u32 v0, v0, 23, v4
	v_lshl_or_b32 v0, v3, 21, v0
	v_add_u32_e32 v0, 0x38000000, v0
                                        ; implicit-def: $vgpr5
.LBB6_11295:                            ;   in Loop: Header=BB6_11257 Depth=3
	s_andn2_saveexec_b64 s[38:39], s[38:39]
; %bb.11296:                            ;   in Loop: Header=BB6_11257 Depth=3
	v_cmp_lt_i16_e64 s[28:29], -1, v12
	v_mov_b32_e32 v0, 0xff800000
	v_mov_b32_e32 v3, 0x7f800000
	v_cndmask_b32_e64 v0, v0, v3, s[28:29]
	v_cmp_eq_u32_e64 s[28:29], 0, v5
	v_mov_b32_e32 v3, 0x7f800001
	v_cndmask_b32_e64 v0, v3, v0, s[28:29]
; %bb.11297:                            ;   in Loop: Header=BB6_11257 Depth=3
	s_or_b64 exec, exec, s[38:39]
.LBB6_11298:                            ;   in Loop: Header=BB6_11257 Depth=3
	s_or_b64 exec, exec, s[42:43]
.LBB6_11299:                            ;   in Loop: Header=BB6_11257 Depth=3
	s_or_b64 exec, exec, s[40:41]
	v_lshrrev_b16_e32 v3, 8, v8
	v_cmp_lt_i16_e64 s[28:29], s83, v3
	s_mov_b64 s[40:41], 0
	s_and_saveexec_b64 s[42:43], s[28:29]
	s_xor_b64 s[42:43], exec, s[42:43]
	s_cbranch_execz .LBB6_11782
; %bb.11300:                            ;   in Loop: Header=BB6_11257 Depth=3
	v_cmp_eq_u16_e64 s[28:29], s44, v3
	s_mov_b64 s[40:41], -1
	s_and_saveexec_b64 s[38:39], s[28:29]
; %bb.11301:                            ;   in Loop: Header=BB6_11257 Depth=3
	s_xor_b64 s[40:41], exec, -1
; %bb.11302:                            ;   in Loop: Header=BB6_11257 Depth=3
	s_or_b64 exec, exec, s[38:39]
	s_and_b64 s[40:41], s[40:41], exec
	s_or_saveexec_b64 s[42:43], s[42:43]
	v_bfrev_b32_e32 v4, 1
	s_xor_b64 exec, exec, s[42:43]
	s_cbranch_execnz .LBB6_11783
.LBB6_11303:                            ;   in Loop: Header=BB6_11257 Depth=3
	s_or_b64 exec, exec, s[42:43]
	s_and_saveexec_b64 s[38:39], s[40:41]
	s_cbranch_execz .LBB6_11305
.LBB6_11304:                            ;   in Loop: Header=BB6_11257 Depth=3
	v_and_b32_e32 v6, 3, v3
	v_and_b32_e32 v5, 0x7c, v3
	v_cmp_eq_u32_e64 s[28:29], s81, v5
	v_ffbh_u32_e32 v5, v6
	v_min_u32_e32 v20, 32, v5
	v_mov_b32_e32 v4, v34
	v_subrev_u32_e32 v5, 29, v20
	v_bfe_u32 v7, v3, 2, 5
	v_lshlrev_b64 v[4:5], v5, v[3:4]
	v_cmp_eq_u32_e64 s[40:41], 0, v7
	v_sub_u32_e32 v5, 30, v20
	v_lshlrev_b32_e32 v3, 24, v3
	v_and_b32_e32 v4, 3, v4
	v_cndmask_b32_e64 v5, v7, v5, s[40:41]
	v_and_b32_e32 v3, 0x80000000, v3
	v_cndmask_b32_e64 v4, v6, v4, s[40:41]
	v_lshl_add_u32 v3, v5, 23, v3
	v_lshl_or_b32 v3, v4, 21, v3
	v_cmp_lt_i16_e64 s[42:43], -1, v8
	v_mov_b32_e32 v4, 0xff800000
	v_mov_b32_e32 v5, 0x7f800000
	v_cmp_eq_u32_e64 s[40:41], 0, v6
	v_cndmask_b32_e64 v4, v4, v5, s[42:43]
	v_mov_b32_e32 v5, 0x7f800001
	v_add_u32_e32 v3, 0x38000000, v3
	v_cndmask_b32_e64 v4, v5, v4, s[40:41]
	v_cndmask_b32_e64 v4, v3, v4, s[28:29]
.LBB6_11305:                            ;   in Loop: Header=BB6_11257 Depth=3
	s_or_b64 exec, exec, s[38:39]
	v_mul_f32_e32 v5, v0, v4
	v_and_b32_e32 v6, 0x7f800000, v5
	v_mov_b32_e32 v7, v34
	v_cmp_ne_u64_e64 s[28:29], s[76:77], v[6:7]
	v_and_b32_e32 v3, 0x7fffff, v5
	v_mov_b32_e32 v4, v34
                                        ; implicit-def: $vgpr29
	s_and_saveexec_b64 s[40:41], s[28:29]
	s_xor_b64 s[42:43], exec, s[40:41]
	s_cbranch_execz .LBB6_11319
; %bb.11306:                            ;   in Loop: Header=BB6_11257 Depth=3
	v_and_b32_e32 v6, 0x7fffffff, v5
	v_mov_b32_e32 v7, v34
	v_cmp_gt_u64_e64 s[28:29], s[78:79], v[6:7]
	v_and_b32_sdwa v0, v5, s44 dst_sel:DWORD dst_unused:UNUSED_PAD src0_sel:BYTE_3 src1_sel:DWORD
                                        ; implicit-def: $vgpr29
	s_and_saveexec_b64 s[40:41], s[28:29]
	s_xor_b64 s[38:39], exec, s[40:41]
	s_cbranch_execz .LBB6_11316
; %bb.11307:                            ;   in Loop: Header=BB6_11257 Depth=3
	v_mov_b32_e32 v29, 0
	v_cmp_ne_u32_e64 s[28:29], 0, v5
	s_and_saveexec_b64 s[48:49], s[28:29]
	s_cbranch_execz .LBB6_11315
; %bb.11308:                            ;   in Loop: Header=BB6_11257 Depth=3
	v_bfe_u32 v6, v5, 23, 8
	v_cmp_gt_u32_e64 s[40:41], s45, v6
	v_sub_u32_e32 v5, 0x71, v6
	v_cmp_eq_u32_e64 s[28:29], 0, v6
	v_cndmask_b32_e64 v5, 0, v5, s[40:41]
	v_mov_b32_e32 v7, 0x70
	v_cndmask_b32_e64 v7, v5, v7, s[28:29]
	v_or_b32_e32 v20, 0x800000, v3
	v_add_u32_e32 v5, 21, v7
	v_cndmask_b32_e64 v3, v20, v3, s[28:29]
	v_lshlrev_b64 v[20:21], v5, -1
	v_add_u32_e32 v5, 20, v7
	v_bfi_b32 v20, v20, 0, v3
	v_lshlrev_b64 v[29:30], v5, 1
	v_lshrrev_b64 v[3:4], v7, v[3:4]
	v_bfi_b32 v21, v21, 0, 0
	v_cmp_eq_u64_e64 s[40:41], v[20:21], v[29:30]
	v_mov_b32_e32 v5, v4
	v_mov_b32_e32 v4, v3
	s_and_saveexec_b64 s[50:51], s[40:41]
; %bb.11309:                            ;   in Loop: Header=BB6_11257 Depth=3
	v_bfe_u32 v4, v3, 21, 1
	v_add_co_u32_e64 v4, s[40:41], v3, v4
	v_add_co_u32_e64 v4, s[40:41], -1, v4
; %bb.11310:                            ;   in Loop: Header=BB6_11257 Depth=3
	s_or_b64 exec, exec, s[50:51]
	v_add_u32_e32 v5, 0xffffff81, v6
	v_mov_b32_e32 v6, 0xffffff82
	v_cndmask_b32_e64 v5, v5, v6, s[28:29]
	v_lshrrev_b32_e32 v6, 23, v3
	v_add3_u32 v7, v7, v5, v6
	v_add_u32_e32 v6, 14, v7
	v_and_b32_e32 v4, 0x1fffff, v4
	v_add_u32_e32 v3, v4, v3
	v_mov_b32_e32 v4, v34
	v_cmp_ne_u32_e64 s[28:29], 0, v6
                                        ; implicit-def: $vgpr5
	s_and_saveexec_b64 s[40:41], s[28:29]
	s_xor_b64 s[40:41], exec, s[40:41]
; %bb.11311:                            ;   in Loop: Header=BB6_11257 Depth=3
	v_cmp_lt_u64_e64 s[28:29], s[88:89], v[3:4]
	v_add_u32_e32 v5, 15, v7
	v_cndmask_b32_e64 v5, v6, v5, s[28:29]
	v_cndmask_b32_e64 v6, 0, 1, s[28:29]
	v_lshrrev_b64 v[3:4], v6, v[3:4]
; %bb.11312:                            ;   in Loop: Header=BB6_11257 Depth=3
	s_andn2_saveexec_b64 s[28:29], s[40:41]
; %bb.11313:                            ;   in Loop: Header=BB6_11257 Depth=3
	v_bfe_u32 v5, v3, 23, 1
; %bb.11314:                            ;   in Loop: Header=BB6_11257 Depth=3
	s_or_b64 exec, exec, s[28:29]
	v_lshrrev_b64 v[3:4], 21, v[3:4]
	v_cmp_gt_i32_e64 s[28:29], 32, v5
	v_cndmask_b32_e64 v4, 0, v4, s[28:29]
	v_cndmask_b32_e64 v3, 3, v3, s[28:29]
	v_cmp_eq_u64_e64 s[40:41], 0, v[3:4]
	v_min_i32_e32 v4, 31, v5
	v_lshlrev_b32_e32 v4, 2, v4
	v_cmp_eq_u32_e64 s[28:29], 0, v5
	v_and_b32_e32 v4, 0xfc, v4
	v_and_or_b32 v3, v3, 3, v4
	s_and_b64 s[28:29], s[28:29], s[40:41]
	v_cndmask_b32_e64 v3, v3, 0, s[28:29]
	v_or_b32_e32 v29, v3, v0
.LBB6_11315:                            ;   in Loop: Header=BB6_11257 Depth=3
	s_or_b64 exec, exec, s[48:49]
                                        ; implicit-def: $vgpr0
.LBB6_11316:                            ;   in Loop: Header=BB6_11257 Depth=3
	s_andn2_saveexec_b64 s[28:29], s[38:39]
; %bb.11317:                            ;   in Loop: Header=BB6_11257 Depth=3
	v_or_b32_e32 v29, 0x7b, v0
; %bb.11318:                            ;   in Loop: Header=BB6_11257 Depth=3
	s_or_b64 exec, exec, s[28:29]
                                        ; implicit-def: $vgpr5
                                        ; implicit-def: $vgpr3_vgpr4
.LBB6_11319:                            ;   in Loop: Header=BB6_11257 Depth=3
	s_andn2_saveexec_b64 s[40:41], s[42:43]
	s_cbranch_execz .LBB6_11325
; %bb.11320:                            ;   in Loop: Header=BB6_11257 Depth=3
	v_cmp_ne_u64_e64 s[28:29], 0, v[3:4]
                                        ; implicit-def: $vgpr29
	s_and_saveexec_b64 s[42:43], s[28:29]
	s_xor_b64 s[28:29], exec, s[42:43]
; %bb.11321:                            ;   in Loop: Header=BB6_11257 Depth=3
	v_or_b32_sdwa v29, v5, s83 dst_sel:DWORD dst_unused:UNUSED_PAD src0_sel:BYTE_3 src1_sel:DWORD
                                        ; implicit-def: $vgpr5
; %bb.11322:                            ;   in Loop: Header=BB6_11257 Depth=3
	s_andn2_saveexec_b64 s[42:43], s[28:29]
; %bb.11323:                            ;   in Loop: Header=BB6_11257 Depth=3
	v_cmp_lt_i32_e64 s[28:29], -1, v5
	v_bfrev_b32_e32 v0, 0.5
	v_mov_b32_e32 v3, 0x7c
	v_cndmask_b32_e64 v29, v0, v3, s[28:29]
; %bb.11324:                            ;   in Loop: Header=BB6_11257 Depth=3
	s_or_b64 exec, exec, s[42:43]
.LBB6_11325:                            ;   in Loop: Header=BB6_11257 Depth=3
	s_or_b64 exec, exec, s[40:41]
	v_lshrrev_b32_e32 v0, 16, v12
	v_cmp_ne_u16_sdwa s[28:29], v0, v34 src0_sel:BYTE_0 src1_sel:DWORD
	v_mov_b32_e32 v3, 0
	s_and_saveexec_b64 s[40:41], s[28:29]
	s_cbranch_execz .LBB6_11333
; %bb.11326:                            ;   in Loop: Header=BB6_11257 Depth=3
	v_cmp_ne_u16_sdwa s[28:29], v0, s44 src0_sel:BYTE_0 src1_sel:DWORD
	v_bfrev_b32_e32 v3, 1
	s_and_saveexec_b64 s[42:43], s[28:29]
	s_cbranch_execz .LBB6_11332
; %bb.11327:                            ;   in Loop: Header=BB6_11257 Depth=3
	v_and_b32_e32 v3, 0x7c0000, v12
	v_bfe_u32 v4, v12, 16, 2
	v_cmp_ne_u32_e64 s[28:29], s9, v3
                                        ; implicit-def: $vgpr3
	s_and_saveexec_b64 s[38:39], s[28:29]
	s_xor_b64 s[38:39], exec, s[38:39]
	s_cbranch_execz .LBB6_11329
; %bb.11328:                            ;   in Loop: Header=BB6_11257 Depth=3
	v_ffbh_u32_e32 v5, v4
	v_min_u32_e32 v7, 32, v5
	v_subrev_u32_e32 v5, 29, v7
	v_lshlrev_b64 v[5:6], v5, v[0:1]
	v_bfe_u32 v3, v12, 18, 5
	v_sub_u32_e32 v0, 30, v7
	v_and_b32_e32 v5, 3, v5
	v_cmp_eq_u32_e64 s[28:29], 0, v3
	v_cndmask_b32_e64 v0, v3, v0, s[28:29]
	v_cndmask_b32_e64 v3, v4, v5, s[28:29]
	v_lshlrev_b32_e32 v4, 8, v12
	v_and_b32_e32 v4, 0x80000000, v4
	v_lshl_add_u32 v0, v0, 23, v4
	v_lshl_or_b32 v0, v3, 21, v0
	v_add_u32_e32 v3, 0x38000000, v0
                                        ; implicit-def: $vgpr4
                                        ; implicit-def: $vgpr0
.LBB6_11329:                            ;   in Loop: Header=BB6_11257 Depth=3
	s_andn2_saveexec_b64 s[38:39], s[38:39]
; %bb.11330:                            ;   in Loop: Header=BB6_11257 Depth=3
	v_mov_b32_e32 v3, -1
	v_cmp_gt_i16_sdwa s[28:29], sext(v0), v3 src0_sel:BYTE_0 src1_sel:DWORD
	v_mov_b32_e32 v0, 0xff800000
	v_mov_b32_e32 v3, 0x7f800000
	v_cndmask_b32_e64 v0, v0, v3, s[28:29]
	v_cmp_eq_u32_e64 s[28:29], 0, v4
	v_mov_b32_e32 v3, 0x7f800001
	v_cndmask_b32_e64 v3, v3, v0, s[28:29]
; %bb.11331:                            ;   in Loop: Header=BB6_11257 Depth=3
	s_or_b64 exec, exec, s[38:39]
.LBB6_11332:                            ;   in Loop: Header=BB6_11257 Depth=3
	s_or_b64 exec, exec, s[42:43]
.LBB6_11333:                            ;   in Loop: Header=BB6_11257 Depth=3
	s_or_b64 exec, exec, s[40:41]
	v_lshrrev_b32_e32 v0, 16, v8
	v_cmp_gt_i16_sdwa s[40:41], v0, s83 src0_sel:BYTE_0 src1_sel:DWORD
	s_mov_b64 s[28:29], 0
	s_and_saveexec_b64 s[42:43], s[40:41]
	s_xor_b64 s[40:41], exec, s[42:43]
	s_cbranch_execz .LBB6_11784
; %bb.11334:                            ;   in Loop: Header=BB6_11257 Depth=3
	v_cmp_eq_u16_sdwa s[38:39], v0, s44 src0_sel:BYTE_0 src1_sel:DWORD
	s_mov_b64 s[28:29], -1
	s_and_saveexec_b64 s[42:43], s[38:39]
; %bb.11335:                            ;   in Loop: Header=BB6_11257 Depth=3
	s_xor_b64 s[28:29], exec, -1
; %bb.11336:                            ;   in Loop: Header=BB6_11257 Depth=3
	s_or_b64 exec, exec, s[42:43]
	s_and_b64 s[28:29], s[28:29], exec
	s_or_saveexec_b64 s[40:41], s[40:41]
	v_bfrev_b32_e32 v4, 1
	s_xor_b64 exec, exec, s[40:41]
	s_cbranch_execnz .LBB6_11785
.LBB6_11337:                            ;   in Loop: Header=BB6_11257 Depth=3
	s_or_b64 exec, exec, s[40:41]
	s_and_saveexec_b64 s[38:39], s[28:29]
	s_cbranch_execz .LBB6_11339
.LBB6_11338:                            ;   in Loop: Header=BB6_11257 Depth=3
	v_and_b32_e32 v6, 3, v0
	v_and_b32_e32 v4, 0x7c0000, v8
	v_cmp_eq_u32_e64 s[28:29], s9, v4
	v_ffbh_u32_e32 v4, v6
	v_min_u32_e32 v20, 32, v4
	v_subrev_u32_e32 v4, 29, v20
	v_bfe_u32 v7, v8, 18, 5
	v_lshlrev_b64 v[4:5], v4, v[0:1]
	v_cmp_eq_u32_e64 s[40:41], 0, v7
	v_sub_u32_e32 v5, 30, v20
	v_cndmask_b32_e64 v5, v7, v5, s[40:41]
	v_lshlrev_b32_e32 v7, 24, v0
	v_and_b32_e32 v4, 3, v4
	v_and_b32_e32 v7, 0x80000000, v7
	v_cndmask_b32_e64 v4, v6, v4, s[40:41]
	v_lshl_add_u32 v5, v5, 23, v7
	v_lshl_or_b32 v4, v4, 21, v5
	v_mov_b32_e32 v5, -1
	v_cmp_gt_i16_sdwa s[42:43], sext(v0), v5 src0_sel:BYTE_0 src1_sel:DWORD
	v_mov_b32_e32 v0, 0xff800000
	v_mov_b32_e32 v5, 0x7f800000
	v_cmp_eq_u32_e64 s[40:41], 0, v6
	v_cndmask_b32_e64 v0, v0, v5, s[42:43]
	v_mov_b32_e32 v5, 0x7f800001
	v_add_u32_e32 v4, 0x38000000, v4
	v_cndmask_b32_e64 v0, v5, v0, s[40:41]
	v_cndmask_b32_e64 v4, v4, v0, s[28:29]
.LBB6_11339:                            ;   in Loop: Header=BB6_11257 Depth=3
	s_or_b64 exec, exec, s[38:39]
	v_mul_f32_e32 v5, v3, v4
	v_and_b32_e32 v6, 0x7f800000, v5
	v_mov_b32_e32 v7, v34
	v_cmp_ne_u64_e64 s[28:29], s[76:77], v[6:7]
	v_and_b32_e32 v3, 0x7fffff, v5
	v_mov_b32_e32 v4, v34
                                        ; implicit-def: $vgpr30
	s_and_saveexec_b64 s[40:41], s[28:29]
	s_xor_b64 s[42:43], exec, s[40:41]
	s_cbranch_execz .LBB6_11353
; %bb.11340:                            ;   in Loop: Header=BB6_11257 Depth=3
	v_and_b32_e32 v6, 0x7fffffff, v5
	v_mov_b32_e32 v7, v34
	v_cmp_gt_u64_e64 s[28:29], s[78:79], v[6:7]
	v_and_b32_sdwa v0, v5, s44 dst_sel:DWORD dst_unused:UNUSED_PAD src0_sel:BYTE_3 src1_sel:DWORD
                                        ; implicit-def: $vgpr30
	s_and_saveexec_b64 s[40:41], s[28:29]
	s_xor_b64 s[38:39], exec, s[40:41]
	s_cbranch_execz .LBB6_11350
; %bb.11341:                            ;   in Loop: Header=BB6_11257 Depth=3
	v_mov_b32_e32 v30, 0
	v_cmp_ne_u32_e64 s[28:29], 0, v5
	s_and_saveexec_b64 s[48:49], s[28:29]
	s_cbranch_execz .LBB6_11349
; %bb.11342:                            ;   in Loop: Header=BB6_11257 Depth=3
	v_bfe_u32 v6, v5, 23, 8
	v_cmp_gt_u32_e64 s[40:41], s45, v6
	v_sub_u32_e32 v5, 0x71, v6
	v_cmp_eq_u32_e64 s[28:29], 0, v6
	v_cndmask_b32_e64 v5, 0, v5, s[40:41]
	v_mov_b32_e32 v7, 0x70
	v_cndmask_b32_e64 v7, v5, v7, s[28:29]
	v_or_b32_e32 v20, 0x800000, v3
	v_add_u32_e32 v5, 21, v7
	v_cndmask_b32_e64 v3, v20, v3, s[28:29]
	v_lshlrev_b64 v[20:21], v5, -1
	v_add_u32_e32 v5, 20, v7
	v_bfi_b32 v20, v20, 0, v3
	v_lshlrev_b64 v[30:31], v5, 1
	v_lshrrev_b64 v[3:4], v7, v[3:4]
	v_bfi_b32 v21, v21, 0, 0
	v_cmp_eq_u64_e64 s[40:41], v[20:21], v[30:31]
	v_mov_b32_e32 v5, v4
	v_mov_b32_e32 v4, v3
	s_and_saveexec_b64 s[50:51], s[40:41]
; %bb.11343:                            ;   in Loop: Header=BB6_11257 Depth=3
	v_bfe_u32 v4, v3, 21, 1
	v_add_co_u32_e64 v4, s[40:41], v3, v4
	v_add_co_u32_e64 v4, s[40:41], -1, v4
; %bb.11344:                            ;   in Loop: Header=BB6_11257 Depth=3
	s_or_b64 exec, exec, s[50:51]
	v_add_u32_e32 v5, 0xffffff81, v6
	v_mov_b32_e32 v6, 0xffffff82
	v_cndmask_b32_e64 v5, v5, v6, s[28:29]
	v_lshrrev_b32_e32 v6, 23, v3
	v_add3_u32 v7, v7, v5, v6
	v_add_u32_e32 v6, 14, v7
	v_and_b32_e32 v4, 0x1fffff, v4
	v_add_u32_e32 v3, v4, v3
	v_mov_b32_e32 v4, v34
	v_cmp_ne_u32_e64 s[28:29], 0, v6
                                        ; implicit-def: $vgpr5
	s_and_saveexec_b64 s[40:41], s[28:29]
	s_xor_b64 s[40:41], exec, s[40:41]
; %bb.11345:                            ;   in Loop: Header=BB6_11257 Depth=3
	v_cmp_lt_u64_e64 s[28:29], s[88:89], v[3:4]
	v_add_u32_e32 v5, 15, v7
	v_cndmask_b32_e64 v5, v6, v5, s[28:29]
	v_cndmask_b32_e64 v6, 0, 1, s[28:29]
	v_lshrrev_b64 v[3:4], v6, v[3:4]
; %bb.11346:                            ;   in Loop: Header=BB6_11257 Depth=3
	s_andn2_saveexec_b64 s[28:29], s[40:41]
; %bb.11347:                            ;   in Loop: Header=BB6_11257 Depth=3
	v_bfe_u32 v5, v3, 23, 1
; %bb.11348:                            ;   in Loop: Header=BB6_11257 Depth=3
	s_or_b64 exec, exec, s[28:29]
	v_lshrrev_b64 v[3:4], 21, v[3:4]
	v_cmp_gt_i32_e64 s[28:29], 32, v5
	v_cndmask_b32_e64 v4, 0, v4, s[28:29]
	v_cndmask_b32_e64 v3, 3, v3, s[28:29]
	v_cmp_eq_u64_e64 s[40:41], 0, v[3:4]
	v_min_i32_e32 v4, 31, v5
	v_lshlrev_b32_e32 v4, 2, v4
	v_cmp_eq_u32_e64 s[28:29], 0, v5
	v_and_b32_e32 v4, 0xfc, v4
	v_and_or_b32 v3, v3, 3, v4
	s_and_b64 s[28:29], s[28:29], s[40:41]
	v_cndmask_b32_e64 v3, v3, 0, s[28:29]
	v_or_b32_e32 v30, v3, v0
.LBB6_11349:                            ;   in Loop: Header=BB6_11257 Depth=3
	s_or_b64 exec, exec, s[48:49]
                                        ; implicit-def: $vgpr0
.LBB6_11350:                            ;   in Loop: Header=BB6_11257 Depth=3
	s_andn2_saveexec_b64 s[28:29], s[38:39]
; %bb.11351:                            ;   in Loop: Header=BB6_11257 Depth=3
	v_or_b32_e32 v30, 0x7b, v0
; %bb.11352:                            ;   in Loop: Header=BB6_11257 Depth=3
	s_or_b64 exec, exec, s[28:29]
                                        ; implicit-def: $vgpr5
                                        ; implicit-def: $vgpr3_vgpr4
.LBB6_11353:                            ;   in Loop: Header=BB6_11257 Depth=3
	s_andn2_saveexec_b64 s[40:41], s[42:43]
	s_cbranch_execz .LBB6_11359
; %bb.11354:                            ;   in Loop: Header=BB6_11257 Depth=3
	v_cmp_ne_u64_e64 s[28:29], 0, v[3:4]
                                        ; implicit-def: $vgpr30
	s_and_saveexec_b64 s[42:43], s[28:29]
	s_xor_b64 s[28:29], exec, s[42:43]
; %bb.11355:                            ;   in Loop: Header=BB6_11257 Depth=3
	v_or_b32_sdwa v30, v5, s83 dst_sel:DWORD dst_unused:UNUSED_PAD src0_sel:BYTE_3 src1_sel:DWORD
                                        ; implicit-def: $vgpr5
; %bb.11356:                            ;   in Loop: Header=BB6_11257 Depth=3
	s_andn2_saveexec_b64 s[42:43], s[28:29]
; %bb.11357:                            ;   in Loop: Header=BB6_11257 Depth=3
	v_cmp_lt_i32_e64 s[28:29], -1, v5
	v_bfrev_b32_e32 v0, 0.5
	v_mov_b32_e32 v3, 0x7c
	v_cndmask_b32_e64 v30, v0, v3, s[28:29]
; %bb.11358:                            ;   in Loop: Header=BB6_11257 Depth=3
	s_or_b64 exec, exec, s[42:43]
.LBB6_11359:                            ;   in Loop: Header=BB6_11257 Depth=3
	s_or_b64 exec, exec, s[40:41]
	v_cmp_lt_u32_e64 s[28:29], s57, v12
	v_mov_b32_e32 v3, 0
	s_and_saveexec_b64 s[40:41], s[28:29]
	s_cbranch_execz .LBB6_11367
; %bb.11360:                            ;   in Loop: Header=BB6_11257 Depth=3
	v_lshrrev_b32_e32 v0, 24, v12
	v_cmp_ne_u32_e64 s[28:29], s44, v0
	v_bfrev_b32_e32 v3, 1
	s_and_saveexec_b64 s[42:43], s[28:29]
	s_cbranch_execz .LBB6_11366
; %bb.11361:                            ;   in Loop: Header=BB6_11257 Depth=3
	v_and_b32_e32 v3, 0x7c000000, v12
	v_bfe_u32 v4, v12, 24, 2
	v_cmp_ne_u32_e64 s[28:29], s8, v3
                                        ; implicit-def: $vgpr3
	s_and_saveexec_b64 s[38:39], s[28:29]
	s_xor_b64 s[38:39], exec, s[38:39]
	s_cbranch_execz .LBB6_11363
; %bb.11362:                            ;   in Loop: Header=BB6_11257 Depth=3
	v_ffbh_u32_e32 v5, v4
	v_min_u32_e32 v7, 32, v5
	v_subrev_u32_e32 v5, 29, v7
	v_lshlrev_b64 v[5:6], v5, v[0:1]
	v_bfe_u32 v3, v12, 26, 5
	v_sub_u32_e32 v0, 30, v7
	v_and_b32_e32 v5, 3, v5
	v_cmp_eq_u32_e64 s[28:29], 0, v3
	v_cndmask_b32_e64 v0, v3, v0, s[28:29]
	v_cndmask_b32_e64 v3, v4, v5, s[28:29]
	v_and_b32_e32 v4, 0x80000000, v12
	v_lshl_add_u32 v0, v0, 23, v4
	v_lshl_or_b32 v0, v3, 21, v0
	v_add_u32_e32 v3, 0x38000000, v0
                                        ; implicit-def: $vgpr4
.LBB6_11363:                            ;   in Loop: Header=BB6_11257 Depth=3
	s_andn2_saveexec_b64 s[38:39], s[38:39]
; %bb.11364:                            ;   in Loop: Header=BB6_11257 Depth=3
	v_cmp_lt_i32_e64 s[28:29], -1, v12
	v_mov_b32_e32 v0, 0xff800000
	v_mov_b32_e32 v3, 0x7f800000
	v_cndmask_b32_e64 v0, v0, v3, s[28:29]
	v_cmp_eq_u32_e64 s[28:29], 0, v4
	v_mov_b32_e32 v3, 0x7f800001
	v_cndmask_b32_e64 v3, v3, v0, s[28:29]
; %bb.11365:                            ;   in Loop: Header=BB6_11257 Depth=3
	s_or_b64 exec, exec, s[38:39]
.LBB6_11366:                            ;   in Loop: Header=BB6_11257 Depth=3
	s_or_b64 exec, exec, s[42:43]
.LBB6_11367:                            ;   in Loop: Header=BB6_11257 Depth=3
	s_or_b64 exec, exec, s[40:41]
	v_bfe_u32 v6, v8, 24, 2
	v_and_b32_e32 v4, 0x7c000000, v8
	v_cmp_eq_u32_e64 s[28:29], s8, v4
	v_ffbh_u32_e32 v4, v6
	v_min_u32_e32 v20, 32, v4
	v_lshrrev_b32_e32 v0, 24, v8
	v_subrev_u32_e32 v4, 29, v20
	v_bfe_u32 v7, v8, 26, 5
	v_lshlrev_b64 v[4:5], v4, v[0:1]
	v_cmp_eq_u32_e64 s[40:41], 0, v7
	v_sub_u32_e32 v5, 30, v20
	v_and_b32_e32 v4, 3, v4
	v_cndmask_b32_e64 v5, v7, v5, s[40:41]
	v_and_b32_e32 v7, 0x80000000, v8
	v_cndmask_b32_e64 v4, v6, v4, s[40:41]
	v_lshl_add_u32 v5, v5, 23, v7
	v_lshl_or_b32 v4, v4, 21, v5
	v_cmp_eq_u32_e64 s[40:41], 0, v6
	v_cmp_lt_i32_e64 s[42:43], -1, v8
	v_mov_b32_e32 v5, 0xff800000
	v_mov_b32_e32 v6, 0x7f800000
	v_cndmask_b32_e64 v5, v5, v6, s[42:43]
	v_mov_b32_e32 v6, 0x7f800001
	v_add_u32_e32 v4, 0x38000000, v4
	v_cndmask_b32_e64 v5, v6, v5, s[40:41]
	v_cndmask_b32_e64 v4, v4, v5, s[28:29]
	v_cmp_ne_u32_e64 s[28:29], s44, v0
	v_bfrev_b32_e32 v0, 1
	v_cndmask_b32_e64 v0, v0, v4, s[28:29]
	v_cmp_lt_u32_e64 s[28:29], s57, v8
	v_cndmask_b32_e64 v0, 0, v0, s[28:29]
	v_mul_f32_e32 v5, v0, v3
	v_and_b32_e32 v6, 0x7f800000, v5
	v_mov_b32_e32 v7, v34
	v_cmp_ne_u64_e64 s[28:29], s[76:77], v[6:7]
	v_and_b32_e32 v3, 0x7fffff, v5
	v_mov_b32_e32 v4, v34
                                        ; implicit-def: $vgpr31
	s_and_saveexec_b64 s[40:41], s[28:29]
	s_xor_b64 s[42:43], exec, s[40:41]
	s_cbranch_execz .LBB6_11381
; %bb.11368:                            ;   in Loop: Header=BB6_11257 Depth=3
	v_and_b32_e32 v6, 0x7fffffff, v5
	v_mov_b32_e32 v7, v34
	v_cmp_gt_u64_e64 s[28:29], s[78:79], v[6:7]
	v_and_b32_sdwa v0, v5, s44 dst_sel:DWORD dst_unused:UNUSED_PAD src0_sel:BYTE_3 src1_sel:DWORD
                                        ; implicit-def: $vgpr31
	s_and_saveexec_b64 s[40:41], s[28:29]
	s_xor_b64 s[38:39], exec, s[40:41]
	s_cbranch_execz .LBB6_11378
; %bb.11369:                            ;   in Loop: Header=BB6_11257 Depth=3
	v_mov_b32_e32 v31, 0
	v_cmp_ne_u32_e64 s[28:29], 0, v5
	s_and_saveexec_b64 s[48:49], s[28:29]
	s_cbranch_execz .LBB6_11377
; %bb.11370:                            ;   in Loop: Header=BB6_11257 Depth=3
	v_bfe_u32 v6, v5, 23, 8
	v_cmp_gt_u32_e64 s[40:41], s45, v6
	v_sub_u32_e32 v5, 0x71, v6
	v_cmp_eq_u32_e64 s[28:29], 0, v6
	v_cndmask_b32_e64 v5, 0, v5, s[40:41]
	v_mov_b32_e32 v7, 0x70
	v_cndmask_b32_e64 v7, v5, v7, s[28:29]
	v_or_b32_e32 v20, 0x800000, v3
	v_add_u32_e32 v5, 21, v7
	v_cndmask_b32_e64 v3, v20, v3, s[28:29]
	v_lshlrev_b64 v[20:21], v5, -1
	v_add_u32_e32 v5, 20, v7
	v_bfi_b32 v20, v20, 0, v3
	v_lshlrev_b64 v[31:32], v5, 1
	v_lshrrev_b64 v[3:4], v7, v[3:4]
	v_bfi_b32 v21, v21, 0, 0
	v_cmp_eq_u64_e64 s[40:41], v[20:21], v[31:32]
	v_mov_b32_e32 v5, v4
	v_mov_b32_e32 v4, v3
	s_and_saveexec_b64 s[50:51], s[40:41]
; %bb.11371:                            ;   in Loop: Header=BB6_11257 Depth=3
	v_bfe_u32 v4, v3, 21, 1
	v_add_co_u32_e64 v4, s[40:41], v3, v4
	v_add_co_u32_e64 v4, s[40:41], -1, v4
; %bb.11372:                            ;   in Loop: Header=BB6_11257 Depth=3
	s_or_b64 exec, exec, s[50:51]
	v_add_u32_e32 v5, 0xffffff81, v6
	v_mov_b32_e32 v6, 0xffffff82
	v_cndmask_b32_e64 v5, v5, v6, s[28:29]
	v_lshrrev_b32_e32 v6, 23, v3
	v_add3_u32 v7, v7, v5, v6
	v_add_u32_e32 v6, 14, v7
	v_and_b32_e32 v4, 0x1fffff, v4
	v_add_u32_e32 v3, v4, v3
	v_mov_b32_e32 v4, v34
	v_cmp_ne_u32_e64 s[28:29], 0, v6
                                        ; implicit-def: $vgpr5
	s_and_saveexec_b64 s[40:41], s[28:29]
	s_xor_b64 s[40:41], exec, s[40:41]
; %bb.11373:                            ;   in Loop: Header=BB6_11257 Depth=3
	v_cmp_lt_u64_e64 s[28:29], s[88:89], v[3:4]
	v_add_u32_e32 v5, 15, v7
	v_cndmask_b32_e64 v5, v6, v5, s[28:29]
	v_cndmask_b32_e64 v6, 0, 1, s[28:29]
	v_lshrrev_b64 v[3:4], v6, v[3:4]
; %bb.11374:                            ;   in Loop: Header=BB6_11257 Depth=3
	s_andn2_saveexec_b64 s[28:29], s[40:41]
; %bb.11375:                            ;   in Loop: Header=BB6_11257 Depth=3
	v_bfe_u32 v5, v3, 23, 1
; %bb.11376:                            ;   in Loop: Header=BB6_11257 Depth=3
	s_or_b64 exec, exec, s[28:29]
	v_lshrrev_b64 v[3:4], 21, v[3:4]
	v_cmp_gt_i32_e64 s[28:29], 32, v5
	v_cndmask_b32_e64 v4, 0, v4, s[28:29]
	v_cndmask_b32_e64 v3, 3, v3, s[28:29]
	v_cmp_eq_u64_e64 s[40:41], 0, v[3:4]
	v_min_i32_e32 v4, 31, v5
	v_lshlrev_b32_e32 v4, 2, v4
	v_cmp_eq_u32_e64 s[28:29], 0, v5
	v_and_b32_e32 v4, 0xfc, v4
	v_and_or_b32 v3, v3, 3, v4
	s_and_b64 s[28:29], s[28:29], s[40:41]
	v_cndmask_b32_e64 v3, v3, 0, s[28:29]
	v_or_b32_e32 v31, v3, v0
.LBB6_11377:                            ;   in Loop: Header=BB6_11257 Depth=3
	s_or_b64 exec, exec, s[48:49]
                                        ; implicit-def: $vgpr0
.LBB6_11378:                            ;   in Loop: Header=BB6_11257 Depth=3
	s_andn2_saveexec_b64 s[28:29], s[38:39]
; %bb.11379:                            ;   in Loop: Header=BB6_11257 Depth=3
	v_or_b32_e32 v31, 0x7b, v0
; %bb.11380:                            ;   in Loop: Header=BB6_11257 Depth=3
	s_or_b64 exec, exec, s[28:29]
                                        ; implicit-def: $vgpr5
                                        ; implicit-def: $vgpr3_vgpr4
.LBB6_11381:                            ;   in Loop: Header=BB6_11257 Depth=3
	s_andn2_saveexec_b64 s[40:41], s[42:43]
	s_cbranch_execz .LBB6_11387
; %bb.11382:                            ;   in Loop: Header=BB6_11257 Depth=3
	v_cmp_ne_u64_e64 s[28:29], 0, v[3:4]
                                        ; implicit-def: $vgpr31
	s_and_saveexec_b64 s[42:43], s[28:29]
	s_xor_b64 s[28:29], exec, s[42:43]
; %bb.11383:                            ;   in Loop: Header=BB6_11257 Depth=3
	v_or_b32_sdwa v31, v5, s83 dst_sel:DWORD dst_unused:UNUSED_PAD src0_sel:BYTE_3 src1_sel:DWORD
                                        ; implicit-def: $vgpr5
; %bb.11384:                            ;   in Loop: Header=BB6_11257 Depth=3
	s_andn2_saveexec_b64 s[42:43], s[28:29]
; %bb.11385:                            ;   in Loop: Header=BB6_11257 Depth=3
	v_cmp_lt_i32_e64 s[28:29], -1, v5
	v_bfrev_b32_e32 v0, 0.5
	v_mov_b32_e32 v3, 0x7c
	v_cndmask_b32_e64 v31, v0, v3, s[28:29]
; %bb.11386:                            ;   in Loop: Header=BB6_11257 Depth=3
	s_or_b64 exec, exec, s[42:43]
.LBB6_11387:                            ;   in Loop: Header=BB6_11257 Depth=3
	s_or_b64 exec, exec, s[40:41]
	v_mov_b32_e32 v3, v13
	v_mov_b32_e32 v4, v34
	v_cmp_ne_u16_sdwa s[28:29], v13, v34 src0_sel:BYTE_0 src1_sel:DWORD
	v_mov_b32_e32 v0, 0
	s_and_saveexec_b64 s[40:41], s[28:29]
	s_cbranch_execz .LBB6_11395
; %bb.11388:                            ;   in Loop: Header=BB6_11257 Depth=3
	v_cmp_ne_u16_sdwa s[28:29], v13, s44 src0_sel:BYTE_0 src1_sel:DWORD
	v_bfrev_b32_e32 v0, 1
	s_and_saveexec_b64 s[42:43], s[28:29]
	s_cbranch_execz .LBB6_11394
; %bb.11389:                            ;   in Loop: Header=BB6_11257 Depth=3
	v_and_b32_e32 v0, 0x7c, v13
	v_and_b32_e32 v5, 3, v13
	v_cmp_ne_u32_e64 s[28:29], s81, v0
                                        ; implicit-def: $vgpr0
	s_and_saveexec_b64 s[38:39], s[28:29]
	s_xor_b64 s[38:39], exec, s[38:39]
	s_cbranch_execz .LBB6_11391
; %bb.11390:                            ;   in Loop: Header=BB6_11257 Depth=3
	v_ffbh_u32_e32 v6, v5
	v_min_u32_e32 v20, 32, v6
	v_subrev_u32_e32 v6, 29, v20
	v_lshlrev_b64 v[6:7], v6, v[3:4]
	v_bfe_u32 v0, v13, 2, 5
	v_sub_u32_e32 v4, 30, v20
	v_and_b32_e32 v6, 3, v6
	v_cmp_eq_u32_e64 s[28:29], 0, v0
	v_cndmask_b32_e64 v0, v0, v4, s[28:29]
	v_cndmask_b32_e64 v4, v5, v6, s[28:29]
	v_lshlrev_b32_e32 v5, 24, v13
	v_and_b32_e32 v5, 0x80000000, v5
	v_lshl_add_u32 v0, v0, 23, v5
	v_lshl_or_b32 v0, v4, 21, v0
	v_add_u32_e32 v0, 0x38000000, v0
                                        ; implicit-def: $vgpr5
.LBB6_11391:                            ;   in Loop: Header=BB6_11257 Depth=3
	s_andn2_saveexec_b64 s[38:39], s[38:39]
; %bb.11392:                            ;   in Loop: Header=BB6_11257 Depth=3
	v_mov_b32_e32 v0, -1
	v_cmp_gt_i16_sdwa s[28:29], sext(v13), v0 src0_sel:BYTE_0 src1_sel:DWORD
	v_mov_b32_e32 v0, 0xff800000
	v_mov_b32_e32 v4, 0x7f800000
	v_cndmask_b32_e64 v0, v0, v4, s[28:29]
	v_cmp_eq_u32_e64 s[28:29], 0, v5
	v_mov_b32_e32 v4, 0x7f800001
	v_cndmask_b32_e64 v0, v4, v0, s[28:29]
; %bb.11393:                            ;   in Loop: Header=BB6_11257 Depth=3
	s_or_b64 exec, exec, s[38:39]
.LBB6_11394:                            ;   in Loop: Header=BB6_11257 Depth=3
	s_or_b64 exec, exec, s[42:43]
.LBB6_11395:                            ;   in Loop: Header=BB6_11257 Depth=3
	s_or_b64 exec, exec, s[40:41]
	v_cmp_gt_i16_sdwa s[40:41], v9, s83 src0_sel:BYTE_0 src1_sel:DWORD
	s_mov_b64 s[28:29], 0
	s_and_saveexec_b64 s[42:43], s[40:41]
	s_xor_b64 s[40:41], exec, s[42:43]
	s_cbranch_execz .LBB6_11399
; %bb.11396:                            ;   in Loop: Header=BB6_11257 Depth=3
	v_cmp_eq_u16_sdwa s[38:39], v9, s44 src0_sel:BYTE_0 src1_sel:DWORD
	s_mov_b64 s[28:29], -1
	s_and_saveexec_b64 s[42:43], s[38:39]
; %bb.11397:                            ;   in Loop: Header=BB6_11257 Depth=3
	s_xor_b64 s[28:29], exec, -1
; %bb.11398:                            ;   in Loop: Header=BB6_11257 Depth=3
	s_or_b64 exec, exec, s[42:43]
	s_and_b64 s[28:29], s[28:29], exec
.LBB6_11399:                            ;   in Loop: Header=BB6_11257 Depth=3
	s_or_saveexec_b64 s[40:41], s[40:41]
	v_bfrev_b32_e32 v4, 1
	s_xor_b64 exec, exec, s[40:41]
; %bb.11400:                            ;   in Loop: Header=BB6_11257 Depth=3
	v_cmp_ne_u16_sdwa s[42:43], v9, v34 src0_sel:BYTE_0 src1_sel:DWORD
	s_andn2_b64 s[28:29], s[28:29], exec
	s_and_b64 s[42:43], s[42:43], exec
	v_mov_b32_e32 v4, 0
	s_or_b64 s[28:29], s[28:29], s[42:43]
; %bb.11401:                            ;   in Loop: Header=BB6_11257 Depth=3
	s_or_b64 exec, exec, s[40:41]
	v_mov_b32_e32 v5, v9
	v_mov_b32_e32 v6, v34
	s_and_saveexec_b64 s[38:39], s[28:29]
	s_cbranch_execz .LBB6_11403
; %bb.11402:                            ;   in Loop: Header=BB6_11257 Depth=3
	v_and_b32_e32 v4, 3, v9
	v_and_b32_e32 v7, 0x7c, v9
	v_cmp_eq_u32_e64 s[28:29], s81, v7
	v_ffbh_u32_e32 v7, v4
	v_min_u32_e32 v21, 32, v7
	v_subrev_u32_e32 v7, 29, v21
	v_bfe_u32 v20, v9, 2, 5
	v_lshlrev_b64 v[6:7], v7, v[5:6]
	v_cmp_eq_u32_e64 s[40:41], 0, v20
	v_sub_u32_e32 v7, 30, v21
	v_cndmask_b32_e64 v7, v20, v7, s[40:41]
	v_lshlrev_b32_e32 v20, 24, v9
	v_and_b32_e32 v6, 3, v6
	v_and_b32_e32 v20, 0x80000000, v20
	v_cndmask_b32_e64 v6, v4, v6, s[40:41]
	v_lshl_add_u32 v7, v7, 23, v20
	v_cmp_eq_u32_e64 s[40:41], 0, v4
	v_mov_b32_e32 v4, -1
	v_lshl_or_b32 v6, v6, 21, v7
	v_cmp_gt_i16_sdwa s[42:43], sext(v9), v4 src0_sel:BYTE_0 src1_sel:DWORD
	v_mov_b32_e32 v4, 0xff800000
	v_mov_b32_e32 v7, 0x7f800000
	v_cndmask_b32_e64 v4, v4, v7, s[42:43]
	v_mov_b32_e32 v7, 0x7f800001
	v_add_u32_e32 v6, 0x38000000, v6
	v_cndmask_b32_e64 v4, v7, v4, s[40:41]
	v_cndmask_b32_e64 v4, v6, v4, s[28:29]
.LBB6_11403:                            ;   in Loop: Header=BB6_11257 Depth=3
	s_or_b64 exec, exec, s[38:39]
	v_mul_f32_e32 v4, v0, v4
	v_and_b32_e32 v20, 0x7f800000, v4
	v_mov_b32_e32 v21, v34
	v_cmp_ne_u64_e64 s[28:29], s[76:77], v[20:21]
	v_and_b32_e32 v6, 0x7fffff, v4
	v_mov_b32_e32 v7, v34
                                        ; implicit-def: $vgpr20
	s_and_saveexec_b64 s[40:41], s[28:29]
	s_xor_b64 s[42:43], exec, s[40:41]
	s_cbranch_execz .LBB6_11417
; %bb.11404:                            ;   in Loop: Header=BB6_11257 Depth=3
	v_and_b32_e32 v20, 0x7fffffff, v4
	v_mov_b32_e32 v21, v34
	v_cmp_gt_u64_e64 s[28:29], s[78:79], v[20:21]
	v_and_b32_sdwa v0, v4, s44 dst_sel:DWORD dst_unused:UNUSED_PAD src0_sel:BYTE_3 src1_sel:DWORD
                                        ; implicit-def: $vgpr20
	s_and_saveexec_b64 s[40:41], s[28:29]
	s_xor_b64 s[38:39], exec, s[40:41]
	s_cbranch_execz .LBB6_11414
; %bb.11405:                            ;   in Loop: Header=BB6_11257 Depth=3
	v_mov_b32_e32 v20, 0
	v_cmp_ne_u32_e64 s[28:29], 0, v4
	s_and_saveexec_b64 s[48:49], s[28:29]
	s_cbranch_execz .LBB6_11413
; %bb.11406:                            ;   in Loop: Header=BB6_11257 Depth=3
	v_bfe_u32 v4, v4, 23, 8
	v_cmp_gt_u32_e64 s[40:41], s45, v4
	v_sub_u32_e32 v20, 0x71, v4
	v_cmp_eq_u32_e64 s[28:29], 0, v4
	v_cndmask_b32_e64 v20, 0, v20, s[40:41]
	v_mov_b32_e32 v32, 0x70
	v_cndmask_b32_e64 v32, v20, v32, s[28:29]
	v_or_b32_e32 v21, 0x800000, v6
	v_add_u32_e32 v20, 21, v32
	v_cndmask_b32_e64 v6, v21, v6, s[28:29]
	v_lshlrev_b64 v[20:21], v20, -1
	v_add_u32_e32 v33, 20, v32
	v_bfi_b32 v20, v20, 0, v6
	v_lshlrev_b64 v[35:36], v33, 1
	v_lshrrev_b64 v[6:7], v32, v[6:7]
	v_bfi_b32 v21, v21, 0, 0
	v_cmp_eq_u64_e64 s[40:41], v[20:21], v[35:36]
	v_mov_b32_e32 v21, v7
	v_mov_b32_e32 v20, v6
	s_and_saveexec_b64 s[50:51], s[40:41]
; %bb.11407:                            ;   in Loop: Header=BB6_11257 Depth=3
	v_bfe_u32 v7, v6, 21, 1
	v_add_co_u32_e64 v7, s[40:41], v6, v7
	v_add_co_u32_e64 v20, s[40:41], -1, v7
; %bb.11408:                            ;   in Loop: Header=BB6_11257 Depth=3
	s_or_b64 exec, exec, s[50:51]
	v_add_u32_e32 v4, 0xffffff81, v4
	v_mov_b32_e32 v7, 0xffffff82
	v_cndmask_b32_e64 v4, v4, v7, s[28:29]
	v_lshrrev_b32_e32 v7, 23, v6
	v_add3_u32 v32, v32, v4, v7
	v_add_u32_e32 v21, 14, v32
	v_and_b32_e32 v4, 0x1fffff, v20
	v_add_u32_e32 v6, v4, v6
	v_mov_b32_e32 v7, v34
	v_cmp_ne_u32_e64 s[28:29], 0, v21
                                        ; implicit-def: $vgpr4
	s_and_saveexec_b64 s[40:41], s[28:29]
	s_xor_b64 s[40:41], exec, s[40:41]
; %bb.11409:                            ;   in Loop: Header=BB6_11257 Depth=3
	v_cmp_lt_u64_e64 s[28:29], s[88:89], v[6:7]
	v_add_u32_e32 v4, 15, v32
	v_cndmask_b32_e64 v20, 0, 1, s[28:29]
	v_cndmask_b32_e64 v4, v21, v4, s[28:29]
	v_lshrrev_b64 v[6:7], v20, v[6:7]
; %bb.11410:                            ;   in Loop: Header=BB6_11257 Depth=3
	s_andn2_saveexec_b64 s[28:29], s[40:41]
; %bb.11411:                            ;   in Loop: Header=BB6_11257 Depth=3
	v_bfe_u32 v4, v6, 23, 1
; %bb.11412:                            ;   in Loop: Header=BB6_11257 Depth=3
	s_or_b64 exec, exec, s[28:29]
	v_lshrrev_b64 v[6:7], 21, v[6:7]
	v_cmp_gt_i32_e64 s[28:29], 32, v4
	v_cndmask_b32_e64 v7, 0, v7, s[28:29]
	v_cndmask_b32_e64 v6, 3, v6, s[28:29]
	v_cmp_eq_u32_e64 s[28:29], 0, v4
	v_min_i32_e32 v4, 31, v4
	v_cmp_eq_u64_e64 s[40:41], 0, v[6:7]
	v_lshlrev_b32_e32 v4, 2, v4
	v_and_b32_e32 v4, 0xfc, v4
	v_and_or_b32 v4, v6, 3, v4
	s_and_b64 s[28:29], s[28:29], s[40:41]
	v_cndmask_b32_e64 v4, v4, 0, s[28:29]
	v_or_b32_e32 v20, v4, v0
.LBB6_11413:                            ;   in Loop: Header=BB6_11257 Depth=3
	s_or_b64 exec, exec, s[48:49]
                                        ; implicit-def: $vgpr0
.LBB6_11414:                            ;   in Loop: Header=BB6_11257 Depth=3
	s_andn2_saveexec_b64 s[28:29], s[38:39]
; %bb.11415:                            ;   in Loop: Header=BB6_11257 Depth=3
	v_or_b32_e32 v20, 0x7b, v0
; %bb.11416:                            ;   in Loop: Header=BB6_11257 Depth=3
	s_or_b64 exec, exec, s[28:29]
                                        ; implicit-def: $vgpr4
                                        ; implicit-def: $vgpr6_vgpr7
.LBB6_11417:                            ;   in Loop: Header=BB6_11257 Depth=3
	s_andn2_saveexec_b64 s[40:41], s[42:43]
	s_cbranch_execz .LBB6_11423
; %bb.11418:                            ;   in Loop: Header=BB6_11257 Depth=3
	v_cmp_ne_u64_e64 s[28:29], 0, v[6:7]
                                        ; implicit-def: $vgpr20
	s_and_saveexec_b64 s[42:43], s[28:29]
	s_xor_b64 s[28:29], exec, s[42:43]
; %bb.11419:                            ;   in Loop: Header=BB6_11257 Depth=3
	v_or_b32_sdwa v20, v4, s83 dst_sel:DWORD dst_unused:UNUSED_PAD src0_sel:BYTE_3 src1_sel:DWORD
                                        ; implicit-def: $vgpr4
; %bb.11420:                            ;   in Loop: Header=BB6_11257 Depth=3
	s_andn2_saveexec_b64 s[42:43], s[28:29]
; %bb.11421:                            ;   in Loop: Header=BB6_11257 Depth=3
	v_cmp_lt_i32_e64 s[28:29], -1, v4
	v_bfrev_b32_e32 v0, 0.5
	v_mov_b32_e32 v4, 0x7c
	v_cndmask_b32_e64 v20, v0, v4, s[28:29]
; %bb.11422:                            ;   in Loop: Header=BB6_11257 Depth=3
	s_or_b64 exec, exec, s[42:43]
.LBB6_11423:                            ;   in Loop: Header=BB6_11257 Depth=3
	s_or_b64 exec, exec, s[40:41]
	v_lshrrev_b16_e32 v6, 8, v3
	v_cmp_ne_u16_e64 s[28:29], 0, v6
	v_mov_b32_e32 v0, 0
	s_and_saveexec_b64 s[40:41], s[28:29]
	s_cbranch_execz .LBB6_11431
; %bb.11424:                            ;   in Loop: Header=BB6_11257 Depth=3
	v_cmp_ne_u16_e64 s[28:29], s44, v6
	v_bfrev_b32_e32 v0, 1
	s_and_saveexec_b64 s[42:43], s[28:29]
	s_cbranch_execz .LBB6_11430
; %bb.11425:                            ;   in Loop: Header=BB6_11257 Depth=3
	v_and_b32_e32 v0, 0x7c, v6
	v_and_b32_e32 v21, 3, v6
	v_cmp_ne_u32_e64 s[28:29], s81, v0
                                        ; implicit-def: $vgpr0
	s_and_saveexec_b64 s[38:39], s[28:29]
	s_xor_b64 s[38:39], exec, s[38:39]
	s_cbranch_execz .LBB6_11427
; %bb.11426:                            ;   in Loop: Header=BB6_11257 Depth=3
	v_ffbh_u32_e32 v4, v21
	v_min_u32_e32 v4, 32, v4
	v_mov_b32_e32 v7, v34
	v_subrev_u32_e32 v32, 29, v4
	v_bfe_u32 v0, v6, 2, 5
	v_lshlrev_b64 v[6:7], v32, v[6:7]
	v_sub_u32_e32 v4, 30, v4
	v_cmp_eq_u32_e64 s[28:29], 0, v0
	v_lshlrev_b32_e32 v3, 16, v3
	v_and_b32_e32 v6, 3, v6
	v_cndmask_b32_e64 v0, v0, v4, s[28:29]
	v_and_b32_e32 v3, 0x80000000, v3
	v_cndmask_b32_e64 v4, v21, v6, s[28:29]
	v_lshl_add_u32 v0, v0, 23, v3
	v_lshl_or_b32 v0, v4, 21, v0
	v_add_u32_e32 v0, 0x38000000, v0
                                        ; implicit-def: $vgpr21
                                        ; implicit-def: $vgpr3_vgpr4
.LBB6_11427:                            ;   in Loop: Header=BB6_11257 Depth=3
	s_andn2_saveexec_b64 s[38:39], s[38:39]
; %bb.11428:                            ;   in Loop: Header=BB6_11257 Depth=3
	v_cmp_lt_i16_e64 s[28:29], -1, v3
	v_mov_b32_e32 v0, 0xff800000
	v_mov_b32_e32 v3, 0x7f800000
	v_cndmask_b32_e64 v0, v0, v3, s[28:29]
	v_cmp_eq_u32_e64 s[28:29], 0, v21
	v_mov_b32_e32 v3, 0x7f800001
	v_cndmask_b32_e64 v0, v3, v0, s[28:29]
; %bb.11429:                            ;   in Loop: Header=BB6_11257 Depth=3
	s_or_b64 exec, exec, s[38:39]
.LBB6_11430:                            ;   in Loop: Header=BB6_11257 Depth=3
	s_or_b64 exec, exec, s[42:43]
.LBB6_11431:                            ;   in Loop: Header=BB6_11257 Depth=3
	s_or_b64 exec, exec, s[40:41]
	v_lshrrev_b16_e32 v3, 8, v5
	v_cmp_lt_i16_e64 s[28:29], s83, v3
	s_mov_b64 s[40:41], 0
	s_and_saveexec_b64 s[42:43], s[28:29]
	s_xor_b64 s[42:43], exec, s[42:43]
	s_cbranch_execz .LBB6_11786
; %bb.11432:                            ;   in Loop: Header=BB6_11257 Depth=3
	v_cmp_eq_u16_e64 s[28:29], s44, v3
	s_mov_b64 s[40:41], -1
	s_and_saveexec_b64 s[38:39], s[28:29]
; %bb.11433:                            ;   in Loop: Header=BB6_11257 Depth=3
	s_xor_b64 s[40:41], exec, -1
; %bb.11434:                            ;   in Loop: Header=BB6_11257 Depth=3
	s_or_b64 exec, exec, s[38:39]
	s_and_b64 s[40:41], s[40:41], exec
	s_or_saveexec_b64 s[42:43], s[42:43]
	v_bfrev_b32_e32 v4, 1
	s_xor_b64 exec, exec, s[42:43]
	s_cbranch_execnz .LBB6_11787
.LBB6_11435:                            ;   in Loop: Header=BB6_11257 Depth=3
	s_or_b64 exec, exec, s[42:43]
	s_and_saveexec_b64 s[38:39], s[40:41]
	s_cbranch_execz .LBB6_11437
.LBB6_11436:                            ;   in Loop: Header=BB6_11257 Depth=3
	v_and_b32_e32 v21, 3, v3
	v_and_b32_e32 v6, 0x7c, v3
	v_cmp_eq_u32_e64 s[28:29], s81, v6
	v_ffbh_u32_e32 v6, v21
	v_min_u32_e32 v33, 32, v6
	v_mov_b32_e32 v4, v34
	v_subrev_u32_e32 v6, 29, v33
	v_bfe_u32 v32, v3, 2, 5
	v_lshlrev_b64 v[6:7], v6, v[3:4]
	v_cmp_eq_u32_e64 s[40:41], 0, v32
	v_sub_u32_e32 v4, 30, v33
	v_lshlrev_b32_e32 v3, 24, v3
	v_and_b32_e32 v6, 3, v6
	v_cndmask_b32_e64 v4, v32, v4, s[40:41]
	v_and_b32_e32 v3, 0x80000000, v3
	v_cndmask_b32_e64 v6, v21, v6, s[40:41]
	v_lshl_add_u32 v3, v4, 23, v3
	v_cmp_lt_i16_e64 s[42:43], -1, v5
	v_mov_b32_e32 v4, 0xff800000
	v_mov_b32_e32 v5, 0x7f800000
	v_lshl_or_b32 v3, v6, 21, v3
	v_cmp_eq_u32_e64 s[40:41], 0, v21
	v_cndmask_b32_e64 v4, v4, v5, s[42:43]
	v_mov_b32_e32 v5, 0x7f800001
	v_add_u32_e32 v3, 0x38000000, v3
	v_cndmask_b32_e64 v4, v5, v4, s[40:41]
	v_cndmask_b32_e64 v4, v3, v4, s[28:29]
.LBB6_11437:                            ;   in Loop: Header=BB6_11257 Depth=3
	s_or_b64 exec, exec, s[38:39]
	v_mul_f32_e32 v5, v0, v4
	v_and_b32_e32 v6, 0x7f800000, v5
	v_mov_b32_e32 v7, v34
	v_cmp_ne_u64_e64 s[28:29], s[76:77], v[6:7]
	v_and_b32_e32 v3, 0x7fffff, v5
	v_mov_b32_e32 v4, v34
                                        ; implicit-def: $vgpr21
	s_and_saveexec_b64 s[40:41], s[28:29]
	s_xor_b64 s[42:43], exec, s[40:41]
	s_cbranch_execz .LBB6_11451
; %bb.11438:                            ;   in Loop: Header=BB6_11257 Depth=3
	v_and_b32_e32 v6, 0x7fffffff, v5
	v_mov_b32_e32 v7, v34
	v_cmp_gt_u64_e64 s[28:29], s[78:79], v[6:7]
	v_and_b32_sdwa v0, v5, s44 dst_sel:DWORD dst_unused:UNUSED_PAD src0_sel:BYTE_3 src1_sel:DWORD
                                        ; implicit-def: $vgpr21
	s_and_saveexec_b64 s[40:41], s[28:29]
	s_xor_b64 s[38:39], exec, s[40:41]
	s_cbranch_execz .LBB6_11448
; %bb.11439:                            ;   in Loop: Header=BB6_11257 Depth=3
	v_mov_b32_e32 v21, 0
	v_cmp_ne_u32_e64 s[28:29], 0, v5
	s_and_saveexec_b64 s[48:49], s[28:29]
	s_cbranch_execz .LBB6_11447
; %bb.11440:                            ;   in Loop: Header=BB6_11257 Depth=3
	v_bfe_u32 v6, v5, 23, 8
	v_cmp_gt_u32_e64 s[40:41], s45, v6
	v_sub_u32_e32 v5, 0x71, v6
	v_cmp_eq_u32_e64 s[28:29], 0, v6
	v_cndmask_b32_e64 v5, 0, v5, s[40:41]
	v_mov_b32_e32 v7, 0x70
	v_cndmask_b32_e64 v7, v5, v7, s[28:29]
	v_add_u32_e32 v5, 21, v7
	v_or_b32_e32 v21, 0x800000, v3
	v_lshlrev_b64 v[32:33], v5, -1
	v_cndmask_b32_e64 v3, v21, v3, s[28:29]
	v_add_u32_e32 v5, 20, v7
	v_bfi_b32 v32, v32, 0, v3
	v_lshlrev_b64 v[35:36], v5, 1
	v_lshrrev_b64 v[3:4], v7, v[3:4]
	v_bfi_b32 v33, v33, 0, 0
	v_cmp_eq_u64_e64 s[40:41], v[32:33], v[35:36]
	v_mov_b32_e32 v5, v4
	v_mov_b32_e32 v4, v3
	s_and_saveexec_b64 s[50:51], s[40:41]
; %bb.11441:                            ;   in Loop: Header=BB6_11257 Depth=3
	v_bfe_u32 v4, v3, 21, 1
	v_add_co_u32_e64 v4, s[40:41], v3, v4
	v_add_co_u32_e64 v4, s[40:41], -1, v4
; %bb.11442:                            ;   in Loop: Header=BB6_11257 Depth=3
	s_or_b64 exec, exec, s[50:51]
	v_add_u32_e32 v5, 0xffffff81, v6
	v_mov_b32_e32 v6, 0xffffff82
	v_cndmask_b32_e64 v5, v5, v6, s[28:29]
	v_lshrrev_b32_e32 v6, 23, v3
	v_add3_u32 v7, v7, v5, v6
	v_add_u32_e32 v6, 14, v7
	v_and_b32_e32 v4, 0x1fffff, v4
	v_add_u32_e32 v3, v4, v3
	v_mov_b32_e32 v4, v34
	v_cmp_ne_u32_e64 s[28:29], 0, v6
                                        ; implicit-def: $vgpr5
	s_and_saveexec_b64 s[40:41], s[28:29]
	s_xor_b64 s[40:41], exec, s[40:41]
; %bb.11443:                            ;   in Loop: Header=BB6_11257 Depth=3
	v_cmp_lt_u64_e64 s[28:29], s[88:89], v[3:4]
	v_add_u32_e32 v5, 15, v7
	v_cndmask_b32_e64 v5, v6, v5, s[28:29]
	v_cndmask_b32_e64 v6, 0, 1, s[28:29]
	v_lshrrev_b64 v[3:4], v6, v[3:4]
; %bb.11444:                            ;   in Loop: Header=BB6_11257 Depth=3
	s_andn2_saveexec_b64 s[28:29], s[40:41]
; %bb.11445:                            ;   in Loop: Header=BB6_11257 Depth=3
	v_bfe_u32 v5, v3, 23, 1
; %bb.11446:                            ;   in Loop: Header=BB6_11257 Depth=3
	s_or_b64 exec, exec, s[28:29]
	v_lshrrev_b64 v[3:4], 21, v[3:4]
	v_cmp_gt_i32_e64 s[28:29], 32, v5
	v_cndmask_b32_e64 v4, 0, v4, s[28:29]
	v_cndmask_b32_e64 v3, 3, v3, s[28:29]
	v_cmp_eq_u64_e64 s[40:41], 0, v[3:4]
	v_min_i32_e32 v4, 31, v5
	v_lshlrev_b32_e32 v4, 2, v4
	v_cmp_eq_u32_e64 s[28:29], 0, v5
	v_and_b32_e32 v4, 0xfc, v4
	v_and_or_b32 v3, v3, 3, v4
	s_and_b64 s[28:29], s[28:29], s[40:41]
	v_cndmask_b32_e64 v3, v3, 0, s[28:29]
	v_or_b32_e32 v21, v3, v0
.LBB6_11447:                            ;   in Loop: Header=BB6_11257 Depth=3
	s_or_b64 exec, exec, s[48:49]
                                        ; implicit-def: $vgpr0
.LBB6_11448:                            ;   in Loop: Header=BB6_11257 Depth=3
	s_andn2_saveexec_b64 s[28:29], s[38:39]
; %bb.11449:                            ;   in Loop: Header=BB6_11257 Depth=3
	v_or_b32_e32 v21, 0x7b, v0
; %bb.11450:                            ;   in Loop: Header=BB6_11257 Depth=3
	s_or_b64 exec, exec, s[28:29]
                                        ; implicit-def: $vgpr5
                                        ; implicit-def: $vgpr3_vgpr4
.LBB6_11451:                            ;   in Loop: Header=BB6_11257 Depth=3
	s_andn2_saveexec_b64 s[40:41], s[42:43]
	s_cbranch_execz .LBB6_11457
; %bb.11452:                            ;   in Loop: Header=BB6_11257 Depth=3
	v_cmp_ne_u64_e64 s[28:29], 0, v[3:4]
                                        ; implicit-def: $vgpr21
	s_and_saveexec_b64 s[42:43], s[28:29]
	s_xor_b64 s[28:29], exec, s[42:43]
; %bb.11453:                            ;   in Loop: Header=BB6_11257 Depth=3
	v_or_b32_sdwa v21, v5, s83 dst_sel:DWORD dst_unused:UNUSED_PAD src0_sel:BYTE_3 src1_sel:DWORD
                                        ; implicit-def: $vgpr5
; %bb.11454:                            ;   in Loop: Header=BB6_11257 Depth=3
	s_andn2_saveexec_b64 s[42:43], s[28:29]
; %bb.11455:                            ;   in Loop: Header=BB6_11257 Depth=3
	v_cmp_lt_i32_e64 s[28:29], -1, v5
	v_bfrev_b32_e32 v0, 0.5
	v_mov_b32_e32 v3, 0x7c
	v_cndmask_b32_e64 v21, v0, v3, s[28:29]
; %bb.11456:                            ;   in Loop: Header=BB6_11257 Depth=3
	s_or_b64 exec, exec, s[42:43]
.LBB6_11457:                            ;   in Loop: Header=BB6_11257 Depth=3
	s_or_b64 exec, exec, s[40:41]
	v_lshrrev_b32_e32 v0, 16, v13
	v_cmp_ne_u16_sdwa s[28:29], v0, v34 src0_sel:BYTE_0 src1_sel:DWORD
	v_mov_b32_e32 v3, 0
	s_and_saveexec_b64 s[40:41], s[28:29]
	s_cbranch_execz .LBB6_11465
; %bb.11458:                            ;   in Loop: Header=BB6_11257 Depth=3
	v_cmp_ne_u16_sdwa s[28:29], v0, s44 src0_sel:BYTE_0 src1_sel:DWORD
	v_bfrev_b32_e32 v3, 1
	s_and_saveexec_b64 s[42:43], s[28:29]
	s_cbranch_execz .LBB6_11464
; %bb.11459:                            ;   in Loop: Header=BB6_11257 Depth=3
	v_and_b32_e32 v3, 0x7c0000, v13
	v_bfe_u32 v4, v13, 16, 2
	v_cmp_ne_u32_e64 s[28:29], s9, v3
                                        ; implicit-def: $vgpr3
	s_and_saveexec_b64 s[38:39], s[28:29]
	s_xor_b64 s[38:39], exec, s[38:39]
	s_cbranch_execz .LBB6_11461
; %bb.11460:                            ;   in Loop: Header=BB6_11257 Depth=3
	v_ffbh_u32_e32 v5, v4
	v_min_u32_e32 v7, 32, v5
	v_subrev_u32_e32 v5, 29, v7
	v_lshlrev_b64 v[5:6], v5, v[0:1]
	v_bfe_u32 v3, v13, 18, 5
	v_sub_u32_e32 v0, 30, v7
	v_and_b32_e32 v5, 3, v5
	v_cmp_eq_u32_e64 s[28:29], 0, v3
	v_cndmask_b32_e64 v0, v3, v0, s[28:29]
	v_cndmask_b32_e64 v3, v4, v5, s[28:29]
	v_lshlrev_b32_e32 v4, 8, v13
	v_and_b32_e32 v4, 0x80000000, v4
	v_lshl_add_u32 v0, v0, 23, v4
	v_lshl_or_b32 v0, v3, 21, v0
	v_add_u32_e32 v3, 0x38000000, v0
                                        ; implicit-def: $vgpr4
                                        ; implicit-def: $vgpr0
.LBB6_11461:                            ;   in Loop: Header=BB6_11257 Depth=3
	s_andn2_saveexec_b64 s[38:39], s[38:39]
; %bb.11462:                            ;   in Loop: Header=BB6_11257 Depth=3
	v_mov_b32_e32 v3, -1
	v_cmp_gt_i16_sdwa s[28:29], sext(v0), v3 src0_sel:BYTE_0 src1_sel:DWORD
	v_mov_b32_e32 v0, 0xff800000
	v_mov_b32_e32 v3, 0x7f800000
	v_cndmask_b32_e64 v0, v0, v3, s[28:29]
	v_cmp_eq_u32_e64 s[28:29], 0, v4
	v_mov_b32_e32 v3, 0x7f800001
	v_cndmask_b32_e64 v3, v3, v0, s[28:29]
; %bb.11463:                            ;   in Loop: Header=BB6_11257 Depth=3
	s_or_b64 exec, exec, s[38:39]
.LBB6_11464:                            ;   in Loop: Header=BB6_11257 Depth=3
	s_or_b64 exec, exec, s[42:43]
.LBB6_11465:                            ;   in Loop: Header=BB6_11257 Depth=3
	s_or_b64 exec, exec, s[40:41]
	v_lshrrev_b32_e32 v0, 16, v9
	v_cmp_gt_i16_sdwa s[40:41], v0, s83 src0_sel:BYTE_0 src1_sel:DWORD
	s_mov_b64 s[28:29], 0
	s_and_saveexec_b64 s[42:43], s[40:41]
	s_xor_b64 s[40:41], exec, s[42:43]
	s_cbranch_execz .LBB6_11788
; %bb.11466:                            ;   in Loop: Header=BB6_11257 Depth=3
	v_cmp_eq_u16_sdwa s[38:39], v0, s44 src0_sel:BYTE_0 src1_sel:DWORD
	s_mov_b64 s[28:29], -1
	s_and_saveexec_b64 s[42:43], s[38:39]
; %bb.11467:                            ;   in Loop: Header=BB6_11257 Depth=3
	s_xor_b64 s[28:29], exec, -1
; %bb.11468:                            ;   in Loop: Header=BB6_11257 Depth=3
	s_or_b64 exec, exec, s[42:43]
	s_and_b64 s[28:29], s[28:29], exec
	s_or_saveexec_b64 s[40:41], s[40:41]
	v_bfrev_b32_e32 v4, 1
	s_xor_b64 exec, exec, s[40:41]
	s_cbranch_execnz .LBB6_11789
.LBB6_11469:                            ;   in Loop: Header=BB6_11257 Depth=3
	s_or_b64 exec, exec, s[40:41]
	s_and_saveexec_b64 s[38:39], s[28:29]
	s_cbranch_execz .LBB6_11471
.LBB6_11470:                            ;   in Loop: Header=BB6_11257 Depth=3
	v_and_b32_e32 v6, 3, v0
	v_and_b32_e32 v4, 0x7c0000, v9
	v_cmp_eq_u32_e64 s[28:29], s9, v4
	v_ffbh_u32_e32 v4, v6
	v_min_u32_e32 v32, 32, v4
	v_subrev_u32_e32 v4, 29, v32
	v_bfe_u32 v7, v9, 18, 5
	v_lshlrev_b64 v[4:5], v4, v[0:1]
	v_cmp_eq_u32_e64 s[40:41], 0, v7
	v_sub_u32_e32 v5, 30, v32
	v_cndmask_b32_e64 v5, v7, v5, s[40:41]
	v_lshlrev_b32_e32 v7, 24, v0
	v_and_b32_e32 v4, 3, v4
	v_and_b32_e32 v7, 0x80000000, v7
	v_cndmask_b32_e64 v4, v6, v4, s[40:41]
	v_lshl_add_u32 v5, v5, 23, v7
	v_lshl_or_b32 v4, v4, 21, v5
	v_mov_b32_e32 v5, -1
	v_cmp_gt_i16_sdwa s[42:43], sext(v0), v5 src0_sel:BYTE_0 src1_sel:DWORD
	v_mov_b32_e32 v0, 0xff800000
	v_mov_b32_e32 v5, 0x7f800000
	v_cmp_eq_u32_e64 s[40:41], 0, v6
	v_cndmask_b32_e64 v0, v0, v5, s[42:43]
	v_mov_b32_e32 v5, 0x7f800001
	v_add_u32_e32 v4, 0x38000000, v4
	v_cndmask_b32_e64 v0, v5, v0, s[40:41]
	v_cndmask_b32_e64 v4, v4, v0, s[28:29]
.LBB6_11471:                            ;   in Loop: Header=BB6_11257 Depth=3
	s_or_b64 exec, exec, s[38:39]
	v_mul_f32_e32 v5, v3, v4
	v_and_b32_e32 v6, 0x7f800000, v5
	v_mov_b32_e32 v7, v34
	v_cmp_ne_u64_e64 s[28:29], s[76:77], v[6:7]
	v_and_b32_e32 v3, 0x7fffff, v5
	v_mov_b32_e32 v4, v34
                                        ; implicit-def: $vgpr32
	s_and_saveexec_b64 s[40:41], s[28:29]
	s_xor_b64 s[42:43], exec, s[40:41]
	s_cbranch_execz .LBB6_11485
; %bb.11472:                            ;   in Loop: Header=BB6_11257 Depth=3
	v_and_b32_e32 v6, 0x7fffffff, v5
	v_mov_b32_e32 v7, v34
	v_cmp_gt_u64_e64 s[28:29], s[78:79], v[6:7]
	v_and_b32_sdwa v0, v5, s44 dst_sel:DWORD dst_unused:UNUSED_PAD src0_sel:BYTE_3 src1_sel:DWORD
                                        ; implicit-def: $vgpr32
	s_and_saveexec_b64 s[40:41], s[28:29]
	s_xor_b64 s[38:39], exec, s[40:41]
	s_cbranch_execz .LBB6_11482
; %bb.11473:                            ;   in Loop: Header=BB6_11257 Depth=3
	v_mov_b32_e32 v32, 0
	v_cmp_ne_u32_e64 s[28:29], 0, v5
	s_and_saveexec_b64 s[48:49], s[28:29]
	s_cbranch_execz .LBB6_11481
; %bb.11474:                            ;   in Loop: Header=BB6_11257 Depth=3
	v_bfe_u32 v6, v5, 23, 8
	v_cmp_gt_u32_e64 s[40:41], s45, v6
	v_sub_u32_e32 v5, 0x71, v6
	v_cmp_eq_u32_e64 s[28:29], 0, v6
	v_cndmask_b32_e64 v5, 0, v5, s[40:41]
	v_mov_b32_e32 v7, 0x70
	v_cndmask_b32_e64 v7, v5, v7, s[28:29]
	v_or_b32_e32 v32, 0x800000, v3
	v_add_u32_e32 v5, 21, v7
	v_cndmask_b32_e64 v3, v32, v3, s[28:29]
	v_lshlrev_b64 v[32:33], v5, -1
	v_add_u32_e32 v5, 20, v7
	v_bfi_b32 v32, v32, 0, v3
	v_lshlrev_b64 v[35:36], v5, 1
	v_lshrrev_b64 v[3:4], v7, v[3:4]
	v_bfi_b32 v33, v33, 0, 0
	v_cmp_eq_u64_e64 s[40:41], v[32:33], v[35:36]
	v_mov_b32_e32 v5, v4
	v_mov_b32_e32 v4, v3
	s_and_saveexec_b64 s[50:51], s[40:41]
; %bb.11475:                            ;   in Loop: Header=BB6_11257 Depth=3
	v_bfe_u32 v4, v3, 21, 1
	v_add_co_u32_e64 v4, s[40:41], v3, v4
	v_add_co_u32_e64 v4, s[40:41], -1, v4
; %bb.11476:                            ;   in Loop: Header=BB6_11257 Depth=3
	s_or_b64 exec, exec, s[50:51]
	v_add_u32_e32 v5, 0xffffff81, v6
	v_mov_b32_e32 v6, 0xffffff82
	v_cndmask_b32_e64 v5, v5, v6, s[28:29]
	v_lshrrev_b32_e32 v6, 23, v3
	v_add3_u32 v7, v7, v5, v6
	v_add_u32_e32 v6, 14, v7
	v_and_b32_e32 v4, 0x1fffff, v4
	v_add_u32_e32 v3, v4, v3
	v_mov_b32_e32 v4, v34
	v_cmp_ne_u32_e64 s[28:29], 0, v6
                                        ; implicit-def: $vgpr5
	s_and_saveexec_b64 s[40:41], s[28:29]
	s_xor_b64 s[40:41], exec, s[40:41]
; %bb.11477:                            ;   in Loop: Header=BB6_11257 Depth=3
	v_cmp_lt_u64_e64 s[28:29], s[88:89], v[3:4]
	v_add_u32_e32 v5, 15, v7
	v_cndmask_b32_e64 v5, v6, v5, s[28:29]
	v_cndmask_b32_e64 v6, 0, 1, s[28:29]
	v_lshrrev_b64 v[3:4], v6, v[3:4]
; %bb.11478:                            ;   in Loop: Header=BB6_11257 Depth=3
	s_andn2_saveexec_b64 s[28:29], s[40:41]
; %bb.11479:                            ;   in Loop: Header=BB6_11257 Depth=3
	v_bfe_u32 v5, v3, 23, 1
; %bb.11480:                            ;   in Loop: Header=BB6_11257 Depth=3
	s_or_b64 exec, exec, s[28:29]
	v_lshrrev_b64 v[3:4], 21, v[3:4]
	v_cmp_gt_i32_e64 s[28:29], 32, v5
	v_cndmask_b32_e64 v4, 0, v4, s[28:29]
	v_cndmask_b32_e64 v3, 3, v3, s[28:29]
	v_cmp_eq_u64_e64 s[40:41], 0, v[3:4]
	v_min_i32_e32 v4, 31, v5
	v_lshlrev_b32_e32 v4, 2, v4
	v_cmp_eq_u32_e64 s[28:29], 0, v5
	v_and_b32_e32 v4, 0xfc, v4
	v_and_or_b32 v3, v3, 3, v4
	s_and_b64 s[28:29], s[28:29], s[40:41]
	v_cndmask_b32_e64 v3, v3, 0, s[28:29]
	v_or_b32_e32 v32, v3, v0
.LBB6_11481:                            ;   in Loop: Header=BB6_11257 Depth=3
	s_or_b64 exec, exec, s[48:49]
                                        ; implicit-def: $vgpr0
.LBB6_11482:                            ;   in Loop: Header=BB6_11257 Depth=3
	s_andn2_saveexec_b64 s[28:29], s[38:39]
; %bb.11483:                            ;   in Loop: Header=BB6_11257 Depth=3
	v_or_b32_e32 v32, 0x7b, v0
; %bb.11484:                            ;   in Loop: Header=BB6_11257 Depth=3
	s_or_b64 exec, exec, s[28:29]
                                        ; implicit-def: $vgpr5
                                        ; implicit-def: $vgpr3_vgpr4
.LBB6_11485:                            ;   in Loop: Header=BB6_11257 Depth=3
	s_andn2_saveexec_b64 s[40:41], s[42:43]
	s_cbranch_execz .LBB6_11491
; %bb.11486:                            ;   in Loop: Header=BB6_11257 Depth=3
	v_cmp_ne_u64_e64 s[28:29], 0, v[3:4]
                                        ; implicit-def: $vgpr32
	s_and_saveexec_b64 s[42:43], s[28:29]
	s_xor_b64 s[28:29], exec, s[42:43]
; %bb.11487:                            ;   in Loop: Header=BB6_11257 Depth=3
	v_or_b32_sdwa v32, v5, s83 dst_sel:DWORD dst_unused:UNUSED_PAD src0_sel:BYTE_3 src1_sel:DWORD
                                        ; implicit-def: $vgpr5
; %bb.11488:                            ;   in Loop: Header=BB6_11257 Depth=3
	s_andn2_saveexec_b64 s[42:43], s[28:29]
; %bb.11489:                            ;   in Loop: Header=BB6_11257 Depth=3
	v_cmp_lt_i32_e64 s[28:29], -1, v5
	v_bfrev_b32_e32 v0, 0.5
	v_mov_b32_e32 v3, 0x7c
	v_cndmask_b32_e64 v32, v0, v3, s[28:29]
; %bb.11490:                            ;   in Loop: Header=BB6_11257 Depth=3
	s_or_b64 exec, exec, s[42:43]
.LBB6_11491:                            ;   in Loop: Header=BB6_11257 Depth=3
	s_or_b64 exec, exec, s[40:41]
	v_cmp_lt_u64_e64 s[28:29], s[56:57], v[12:13]
	v_mov_b32_e32 v3, 0
	s_and_saveexec_b64 s[40:41], s[28:29]
	s_cbranch_execz .LBB6_11499
; %bb.11492:                            ;   in Loop: Header=BB6_11257 Depth=3
	v_lshrrev_b32_e32 v0, 24, v13
	v_cmp_ne_u32_e64 s[28:29], s44, v0
	v_bfrev_b32_e32 v3, 1
	s_and_saveexec_b64 s[42:43], s[28:29]
	s_cbranch_execz .LBB6_11498
; %bb.11493:                            ;   in Loop: Header=BB6_11257 Depth=3
	v_and_b32_e32 v3, 0x7c000000, v13
	v_bfe_u32 v4, v13, 24, 2
	v_cmp_ne_u32_e64 s[28:29], s8, v3
                                        ; implicit-def: $vgpr3
	s_and_saveexec_b64 s[38:39], s[28:29]
	s_xor_b64 s[38:39], exec, s[38:39]
	s_cbranch_execz .LBB6_11495
; %bb.11494:                            ;   in Loop: Header=BB6_11257 Depth=3
	v_ffbh_u32_e32 v5, v4
	v_min_u32_e32 v7, 32, v5
	v_subrev_u32_e32 v5, 29, v7
	v_lshlrev_b64 v[5:6], v5, v[0:1]
	v_bfe_u32 v3, v13, 26, 5
	v_sub_u32_e32 v0, 30, v7
	v_and_b32_e32 v5, 3, v5
	v_cmp_eq_u32_e64 s[28:29], 0, v3
	v_cndmask_b32_e64 v0, v3, v0, s[28:29]
	v_cndmask_b32_e64 v3, v4, v5, s[28:29]
	v_and_b32_e32 v4, 0x80000000, v13
	v_lshl_add_u32 v0, v0, 23, v4
	v_lshl_or_b32 v0, v3, 21, v0
	v_add_u32_e32 v3, 0x38000000, v0
                                        ; implicit-def: $vgpr4
.LBB6_11495:                            ;   in Loop: Header=BB6_11257 Depth=3
	s_andn2_saveexec_b64 s[38:39], s[38:39]
; %bb.11496:                            ;   in Loop: Header=BB6_11257 Depth=3
	v_cmp_lt_i64_e64 s[28:29], -1, v[12:13]
	v_mov_b32_e32 v0, 0xff800000
	v_mov_b32_e32 v3, 0x7f800000
	v_cndmask_b32_e64 v0, v0, v3, s[28:29]
	v_cmp_eq_u32_e64 s[28:29], 0, v4
	v_mov_b32_e32 v3, 0x7f800001
	v_cndmask_b32_e64 v3, v3, v0, s[28:29]
; %bb.11497:                            ;   in Loop: Header=BB6_11257 Depth=3
	s_or_b64 exec, exec, s[38:39]
.LBB6_11498:                            ;   in Loop: Header=BB6_11257 Depth=3
	s_or_b64 exec, exec, s[42:43]
.LBB6_11499:                            ;   in Loop: Header=BB6_11257 Depth=3
	s_or_b64 exec, exec, s[40:41]
	v_bfe_u32 v6, v9, 24, 2
	v_and_b32_e32 v4, 0x7c000000, v9
	v_cmp_eq_u32_e64 s[28:29], s8, v4
	v_ffbh_u32_e32 v4, v6
	v_min_u32_e32 v12, 32, v4
	v_lshrrev_b32_e32 v0, 24, v9
	v_subrev_u32_e32 v4, 29, v12
	v_bfe_u32 v7, v9, 26, 5
	v_lshlrev_b64 v[4:5], v4, v[0:1]
	v_cmp_eq_u32_e64 s[40:41], 0, v7
	v_sub_u32_e32 v5, 30, v12
	v_and_b32_e32 v4, 3, v4
	v_cndmask_b32_e64 v5, v7, v5, s[40:41]
	v_and_b32_e32 v7, 0x80000000, v9
	v_cndmask_b32_e64 v4, v6, v4, s[40:41]
	v_lshl_add_u32 v5, v5, 23, v7
	v_cmp_lt_i64_e64 s[42:43], -1, v[8:9]
	v_lshl_or_b32 v4, v4, 21, v5
	v_cmp_eq_u32_e64 s[40:41], 0, v6
	v_mov_b32_e32 v5, 0xff800000
	v_mov_b32_e32 v6, 0x7f800000
	v_cndmask_b32_e64 v5, v5, v6, s[42:43]
	v_mov_b32_e32 v6, 0x7f800001
	v_add_u32_e32 v4, 0x38000000, v4
	v_cndmask_b32_e64 v5, v6, v5, s[40:41]
	v_cndmask_b32_e64 v4, v4, v5, s[28:29]
	v_cmp_ne_u32_e64 s[28:29], s44, v0
	v_bfrev_b32_e32 v0, 1
	v_cndmask_b32_e64 v0, v0, v4, s[28:29]
	v_cmp_lt_u64_e64 s[28:29], s[56:57], v[8:9]
	v_mov_b32_e32 v7, v34
	v_cndmask_b32_e64 v0, 0, v0, s[28:29]
	v_mul_f32_e32 v5, v0, v3
	v_and_b32_e32 v6, 0x7f800000, v5
	v_cmp_ne_u64_e64 s[28:29], s[76:77], v[6:7]
	v_and_b32_e32 v3, 0x7fffff, v5
	v_mov_b32_e32 v4, v34
                                        ; implicit-def: $vgpr9
	s_and_saveexec_b64 s[40:41], s[28:29]
	s_xor_b64 s[42:43], exec, s[40:41]
	s_cbranch_execz .LBB6_11513
; %bb.11500:                            ;   in Loop: Header=BB6_11257 Depth=3
	v_and_b32_e32 v6, 0x7fffffff, v5
	v_mov_b32_e32 v7, v34
	v_cmp_gt_u64_e64 s[28:29], s[78:79], v[6:7]
	v_and_b32_sdwa v0, v5, s44 dst_sel:DWORD dst_unused:UNUSED_PAD src0_sel:BYTE_3 src1_sel:DWORD
                                        ; implicit-def: $vgpr9
	s_and_saveexec_b64 s[40:41], s[28:29]
	s_xor_b64 s[38:39], exec, s[40:41]
	s_cbranch_execz .LBB6_11510
; %bb.11501:                            ;   in Loop: Header=BB6_11257 Depth=3
	v_mov_b32_e32 v9, 0
	v_cmp_ne_u32_e64 s[28:29], 0, v5
	s_and_saveexec_b64 s[48:49], s[28:29]
	s_cbranch_execz .LBB6_11509
; %bb.11502:                            ;   in Loop: Header=BB6_11257 Depth=3
	v_bfe_u32 v6, v5, 23, 8
	v_cmp_gt_u32_e64 s[40:41], s45, v6
	v_sub_u32_e32 v5, 0x71, v6
	v_cmp_eq_u32_e64 s[28:29], 0, v6
	v_cndmask_b32_e64 v5, 0, v5, s[40:41]
	v_mov_b32_e32 v7, 0x70
	v_cndmask_b32_e64 v7, v5, v7, s[28:29]
	v_or_b32_e32 v8, 0x800000, v3
	v_add_u32_e32 v5, 21, v7
	v_cndmask_b32_e64 v3, v8, v3, s[28:29]
	v_lshlrev_b64 v[8:9], v5, -1
	v_add_u32_e32 v5, 20, v7
	v_bfi_b32 v8, v8, 0, v3
	v_lshlrev_b64 v[12:13], v5, 1
	v_lshrrev_b64 v[3:4], v7, v[3:4]
	v_bfi_b32 v9, v9, 0, 0
	v_cmp_eq_u64_e64 s[40:41], v[8:9], v[12:13]
	v_mov_b32_e32 v5, v4
	v_mov_b32_e32 v4, v3
	s_and_saveexec_b64 s[50:51], s[40:41]
; %bb.11503:                            ;   in Loop: Header=BB6_11257 Depth=3
	v_bfe_u32 v4, v3, 21, 1
	v_add_co_u32_e64 v4, s[40:41], v3, v4
	v_add_co_u32_e64 v4, s[40:41], -1, v4
; %bb.11504:                            ;   in Loop: Header=BB6_11257 Depth=3
	s_or_b64 exec, exec, s[50:51]
	v_add_u32_e32 v5, 0xffffff81, v6
	v_mov_b32_e32 v6, 0xffffff82
	v_cndmask_b32_e64 v5, v5, v6, s[28:29]
	v_lshrrev_b32_e32 v6, 23, v3
	v_add3_u32 v7, v7, v5, v6
	v_add_u32_e32 v6, 14, v7
	v_and_b32_e32 v4, 0x1fffff, v4
	v_add_u32_e32 v3, v4, v3
	v_mov_b32_e32 v4, v34
	v_cmp_ne_u32_e64 s[28:29], 0, v6
                                        ; implicit-def: $vgpr5
	s_and_saveexec_b64 s[40:41], s[28:29]
	s_xor_b64 s[40:41], exec, s[40:41]
; %bb.11505:                            ;   in Loop: Header=BB6_11257 Depth=3
	v_cmp_lt_u64_e64 s[28:29], s[88:89], v[3:4]
	v_add_u32_e32 v5, 15, v7
	v_cndmask_b32_e64 v5, v6, v5, s[28:29]
	v_cndmask_b32_e64 v6, 0, 1, s[28:29]
	v_lshrrev_b64 v[3:4], v6, v[3:4]
; %bb.11506:                            ;   in Loop: Header=BB6_11257 Depth=3
	s_andn2_saveexec_b64 s[28:29], s[40:41]
; %bb.11507:                            ;   in Loop: Header=BB6_11257 Depth=3
	v_bfe_u32 v5, v3, 23, 1
; %bb.11508:                            ;   in Loop: Header=BB6_11257 Depth=3
	s_or_b64 exec, exec, s[28:29]
	v_lshrrev_b64 v[3:4], 21, v[3:4]
	v_cmp_gt_i32_e64 s[28:29], 32, v5
	v_cndmask_b32_e64 v4, 0, v4, s[28:29]
	v_cndmask_b32_e64 v3, 3, v3, s[28:29]
	v_cmp_eq_u64_e64 s[40:41], 0, v[3:4]
	v_min_i32_e32 v4, 31, v5
	v_lshlrev_b32_e32 v4, 2, v4
	v_cmp_eq_u32_e64 s[28:29], 0, v5
	v_and_b32_e32 v4, 0xfc, v4
	v_and_or_b32 v3, v3, 3, v4
	s_and_b64 s[28:29], s[28:29], s[40:41]
	v_cndmask_b32_e64 v3, v3, 0, s[28:29]
	v_or_b32_e32 v9, v3, v0
.LBB6_11509:                            ;   in Loop: Header=BB6_11257 Depth=3
	s_or_b64 exec, exec, s[48:49]
                                        ; implicit-def: $vgpr0
.LBB6_11510:                            ;   in Loop: Header=BB6_11257 Depth=3
	s_andn2_saveexec_b64 s[28:29], s[38:39]
; %bb.11511:                            ;   in Loop: Header=BB6_11257 Depth=3
	v_or_b32_e32 v9, 0x7b, v0
; %bb.11512:                            ;   in Loop: Header=BB6_11257 Depth=3
	s_or_b64 exec, exec, s[28:29]
                                        ; implicit-def: $vgpr5
                                        ; implicit-def: $vgpr3_vgpr4
.LBB6_11513:                            ;   in Loop: Header=BB6_11257 Depth=3
	s_andn2_saveexec_b64 s[40:41], s[42:43]
	s_cbranch_execz .LBB6_11519
; %bb.11514:                            ;   in Loop: Header=BB6_11257 Depth=3
	v_cmp_ne_u64_e64 s[28:29], 0, v[3:4]
                                        ; implicit-def: $vgpr9
	s_and_saveexec_b64 s[42:43], s[28:29]
	s_xor_b64 s[28:29], exec, s[42:43]
; %bb.11515:                            ;   in Loop: Header=BB6_11257 Depth=3
	v_or_b32_sdwa v9, v5, s83 dst_sel:DWORD dst_unused:UNUSED_PAD src0_sel:BYTE_3 src1_sel:DWORD
                                        ; implicit-def: $vgpr5
; %bb.11516:                            ;   in Loop: Header=BB6_11257 Depth=3
	s_andn2_saveexec_b64 s[42:43], s[28:29]
; %bb.11517:                            ;   in Loop: Header=BB6_11257 Depth=3
	v_cmp_lt_i32_e64 s[28:29], -1, v5
	v_bfrev_b32_e32 v0, 0.5
	v_mov_b32_e32 v3, 0x7c
	v_cndmask_b32_e64 v9, v0, v3, s[28:29]
; %bb.11518:                            ;   in Loop: Header=BB6_11257 Depth=3
	s_or_b64 exec, exec, s[42:43]
.LBB6_11519:                            ;   in Loop: Header=BB6_11257 Depth=3
	s_or_b64 exec, exec, s[40:41]
	v_cmp_ne_u16_sdwa s[28:29], v14, v34 src0_sel:BYTE_0 src1_sel:DWORD
	v_mov_b32_e32 v0, 0
	s_and_saveexec_b64 s[40:41], s[28:29]
	s_cbranch_execz .LBB6_11527
; %bb.11520:                            ;   in Loop: Header=BB6_11257 Depth=3
	v_cmp_ne_u16_sdwa s[28:29], sext(v14), s80 src0_sel:BYTE_0 src1_sel:DWORD
	v_bfrev_b32_e32 v0, 1
	s_and_saveexec_b64 s[42:43], s[28:29]
	s_cbranch_execz .LBB6_11526
; %bb.11521:                            ;   in Loop: Header=BB6_11257 Depth=3
	v_and_b32_e32 v0, 0x7c, v14
	v_and_b32_e32 v3, 3, v14
	v_cmp_ne_u32_e64 s[28:29], s81, v0
                                        ; implicit-def: $vgpr0
	s_and_saveexec_b64 s[38:39], s[28:29]
	s_xor_b64 s[38:39], exec, s[38:39]
	s_cbranch_execz .LBB6_11523
; %bb.11522:                            ;   in Loop: Header=BB6_11257 Depth=3
	v_ffbh_u32_e32 v4, v3
	v_min_u32_e32 v6, 32, v4
	v_subrev_u32_e32 v4, 29, v6
	v_lshlrev_b64 v[4:5], v4, v[14:15]
	v_bfe_u32 v0, v14, 2, 5
	v_and_b32_e32 v4, 3, v4
	v_cmp_eq_u32_e64 s[28:29], 0, v0
	v_sub_u32_e32 v5, 30, v6
	v_cndmask_b32_e64 v3, v3, v4, s[28:29]
	v_lshlrev_b32_e32 v4, 24, v14
	v_cndmask_b32_e64 v0, v0, v5, s[28:29]
	v_and_b32_e32 v4, 0x80000000, v4
	v_lshl_add_u32 v0, v0, 23, v4
	v_lshl_or_b32 v0, v3, 21, v0
	v_add_u32_e32 v0, 0x38000000, v0
                                        ; implicit-def: $vgpr3
.LBB6_11523:                            ;   in Loop: Header=BB6_11257 Depth=3
	s_andn2_saveexec_b64 s[38:39], s[38:39]
; %bb.11524:                            ;   in Loop: Header=BB6_11257 Depth=3
	v_mov_b32_e32 v0, -1
	v_cmp_gt_i16_sdwa s[28:29], sext(v14), v0 src0_sel:BYTE_0 src1_sel:DWORD
	v_mov_b32_e32 v0, 0xff800000
	v_mov_b32_e32 v4, 0x7f800000
	v_cndmask_b32_e64 v0, v0, v4, s[28:29]
	v_cmp_eq_u32_e64 s[28:29], 0, v3
	v_mov_b32_e32 v3, 0x7f800001
	v_cndmask_b32_e64 v0, v3, v0, s[28:29]
; %bb.11525:                            ;   in Loop: Header=BB6_11257 Depth=3
	s_or_b64 exec, exec, s[38:39]
.LBB6_11526:                            ;   in Loop: Header=BB6_11257 Depth=3
	s_or_b64 exec, exec, s[42:43]
.LBB6_11527:                            ;   in Loop: Header=BB6_11257 Depth=3
	s_or_b64 exec, exec, s[40:41]
	v_cmp_gt_i16_sdwa s[40:41], v10, s83 src0_sel:BYTE_0 src1_sel:DWORD
	s_mov_b64 s[28:29], 0
	s_and_saveexec_b64 s[42:43], s[40:41]
	s_xor_b64 s[40:41], exec, s[42:43]
	s_cbranch_execz .LBB6_11790
; %bb.11528:                            ;   in Loop: Header=BB6_11257 Depth=3
	v_cmp_eq_u16_sdwa s[38:39], v10, s44 src0_sel:BYTE_0 src1_sel:DWORD
	s_mov_b64 s[28:29], -1
	s_and_saveexec_b64 s[42:43], s[38:39]
; %bb.11529:                            ;   in Loop: Header=BB6_11257 Depth=3
	s_xor_b64 s[28:29], exec, -1
; %bb.11530:                            ;   in Loop: Header=BB6_11257 Depth=3
	s_or_b64 exec, exec, s[42:43]
	s_and_b64 s[28:29], s[28:29], exec
	s_or_saveexec_b64 s[40:41], s[40:41]
	v_bfrev_b32_e32 v3, 1
	s_xor_b64 exec, exec, s[40:41]
	s_cbranch_execnz .LBB6_11791
.LBB6_11531:                            ;   in Loop: Header=BB6_11257 Depth=3
	s_or_b64 exec, exec, s[40:41]
	s_and_saveexec_b64 s[38:39], s[28:29]
	s_cbranch_execz .LBB6_11533
.LBB6_11532:                            ;   in Loop: Header=BB6_11257 Depth=3
	v_and_b32_e32 v5, 3, v10
	v_and_b32_e32 v3, 0x7c, v10
	v_cmp_eq_u32_e64 s[28:29], s81, v3
	v_ffbh_u32_e32 v3, v5
	v_min_u32_e32 v7, 32, v3
	v_subrev_u32_e32 v3, 29, v7
	v_bfe_u32 v6, v10, 2, 5
	v_lshlrev_b64 v[3:4], v3, v[10:11]
	v_cmp_eq_u32_e64 s[40:41], 0, v6
	v_sub_u32_e32 v4, 30, v7
	v_cndmask_b32_e64 v4, v6, v4, s[40:41]
	v_lshlrev_b32_e32 v6, 24, v10
	v_and_b32_e32 v3, 3, v3
	v_and_b32_e32 v6, 0x80000000, v6
	v_cndmask_b32_e64 v3, v5, v3, s[40:41]
	v_lshl_add_u32 v4, v4, 23, v6
	v_lshl_or_b32 v3, v3, 21, v4
	v_mov_b32_e32 v4, -1
	v_cmp_eq_u32_e64 s[40:41], 0, v5
	v_cmp_gt_i16_sdwa s[42:43], sext(v10), v4 src0_sel:BYTE_0 src1_sel:DWORD
	v_mov_b32_e32 v4, 0xff800000
	v_mov_b32_e32 v5, 0x7f800000
	v_cndmask_b32_e64 v4, v4, v5, s[42:43]
	v_mov_b32_e32 v5, 0x7f800001
	v_add_u32_e32 v3, 0x38000000, v3
	v_cndmask_b32_e64 v4, v5, v4, s[40:41]
	v_cndmask_b32_e64 v3, v3, v4, s[28:29]
.LBB6_11533:                            ;   in Loop: Header=BB6_11257 Depth=3
	s_or_b64 exec, exec, s[38:39]
	v_mul_f32_e32 v5, v0, v3
	v_and_b32_e32 v6, 0x7f800000, v5
	v_mov_b32_e32 v7, v34
	v_cmp_ne_u64_e64 s[28:29], s[76:77], v[6:7]
	v_and_b32_e32 v3, 0x7fffff, v5
	v_mov_b32_e32 v4, v34
                                        ; implicit-def: $vgpr12
	s_and_saveexec_b64 s[40:41], s[28:29]
	s_xor_b64 s[42:43], exec, s[40:41]
	s_cbranch_execz .LBB6_11547
; %bb.11534:                            ;   in Loop: Header=BB6_11257 Depth=3
	v_and_b32_e32 v6, 0x7fffffff, v5
	v_mov_b32_e32 v7, v34
	v_cmp_gt_u64_e64 s[28:29], s[78:79], v[6:7]
	v_and_b32_sdwa v0, v5, s44 dst_sel:DWORD dst_unused:UNUSED_PAD src0_sel:BYTE_3 src1_sel:DWORD
                                        ; implicit-def: $vgpr12
	s_and_saveexec_b64 s[40:41], s[28:29]
	s_xor_b64 s[38:39], exec, s[40:41]
	s_cbranch_execz .LBB6_11544
; %bb.11535:                            ;   in Loop: Header=BB6_11257 Depth=3
	v_mov_b32_e32 v12, 0
	v_cmp_ne_u32_e64 s[28:29], 0, v5
	s_and_saveexec_b64 s[48:49], s[28:29]
	s_cbranch_execz .LBB6_11543
; %bb.11536:                            ;   in Loop: Header=BB6_11257 Depth=3
	v_bfe_u32 v6, v5, 23, 8
	v_cmp_gt_u32_e64 s[40:41], s45, v6
	v_sub_u32_e32 v5, 0x71, v6
	v_cmp_eq_u32_e64 s[28:29], 0, v6
	v_cndmask_b32_e64 v5, 0, v5, s[40:41]
	v_mov_b32_e32 v7, 0x70
	v_cndmask_b32_e64 v7, v5, v7, s[28:29]
	v_add_u32_e32 v5, 21, v7
	v_or_b32_e32 v8, 0x800000, v3
	v_lshlrev_b64 v[12:13], v5, -1
	v_cndmask_b32_e64 v3, v8, v3, s[28:29]
	v_add_u32_e32 v5, 20, v7
	v_bfi_b32 v12, v12, 0, v3
	v_lshlrev_b64 v[35:36], v5, 1
	v_lshrrev_b64 v[3:4], v7, v[3:4]
	v_bfi_b32 v13, v13, 0, 0
	v_cmp_eq_u64_e64 s[40:41], v[12:13], v[35:36]
	v_mov_b32_e32 v5, v4
	v_mov_b32_e32 v4, v3
	s_and_saveexec_b64 s[50:51], s[40:41]
; %bb.11537:                            ;   in Loop: Header=BB6_11257 Depth=3
	v_bfe_u32 v4, v3, 21, 1
	v_add_co_u32_e64 v4, s[40:41], v3, v4
	v_add_co_u32_e64 v4, s[40:41], -1, v4
; %bb.11538:                            ;   in Loop: Header=BB6_11257 Depth=3
	s_or_b64 exec, exec, s[50:51]
	v_add_u32_e32 v5, 0xffffff81, v6
	v_mov_b32_e32 v6, 0xffffff82
	v_cndmask_b32_e64 v5, v5, v6, s[28:29]
	v_lshrrev_b32_e32 v6, 23, v3
	v_add3_u32 v7, v7, v5, v6
	v_add_u32_e32 v6, 14, v7
	v_and_b32_e32 v4, 0x1fffff, v4
	v_add_u32_e32 v3, v4, v3
	v_mov_b32_e32 v4, v34
	v_cmp_ne_u32_e64 s[28:29], 0, v6
                                        ; implicit-def: $vgpr5
	s_and_saveexec_b64 s[40:41], s[28:29]
	s_xor_b64 s[40:41], exec, s[40:41]
; %bb.11539:                            ;   in Loop: Header=BB6_11257 Depth=3
	v_cmp_lt_u64_e64 s[28:29], s[88:89], v[3:4]
	v_add_u32_e32 v5, 15, v7
	v_cndmask_b32_e64 v5, v6, v5, s[28:29]
	v_cndmask_b32_e64 v6, 0, 1, s[28:29]
	v_lshrrev_b64 v[3:4], v6, v[3:4]
; %bb.11540:                            ;   in Loop: Header=BB6_11257 Depth=3
	s_andn2_saveexec_b64 s[28:29], s[40:41]
; %bb.11541:                            ;   in Loop: Header=BB6_11257 Depth=3
	v_bfe_u32 v5, v3, 23, 1
; %bb.11542:                            ;   in Loop: Header=BB6_11257 Depth=3
	s_or_b64 exec, exec, s[28:29]
	v_lshrrev_b64 v[3:4], 21, v[3:4]
	v_cmp_gt_i32_e64 s[28:29], 32, v5
	v_cndmask_b32_e64 v4, 0, v4, s[28:29]
	v_cndmask_b32_e64 v3, 3, v3, s[28:29]
	v_cmp_eq_u64_e64 s[40:41], 0, v[3:4]
	v_min_i32_e32 v4, 31, v5
	v_lshlrev_b32_e32 v4, 2, v4
	v_cmp_eq_u32_e64 s[28:29], 0, v5
	v_and_b32_e32 v4, 0xfc, v4
	v_and_or_b32 v3, v3, 3, v4
	s_and_b64 s[28:29], s[28:29], s[40:41]
	v_cndmask_b32_e64 v3, v3, 0, s[28:29]
	v_or_b32_e32 v12, v3, v0
.LBB6_11543:                            ;   in Loop: Header=BB6_11257 Depth=3
	s_or_b64 exec, exec, s[48:49]
                                        ; implicit-def: $vgpr0
.LBB6_11544:                            ;   in Loop: Header=BB6_11257 Depth=3
	s_andn2_saveexec_b64 s[28:29], s[38:39]
; %bb.11545:                            ;   in Loop: Header=BB6_11257 Depth=3
	v_or_b32_e32 v12, 0x7b, v0
; %bb.11546:                            ;   in Loop: Header=BB6_11257 Depth=3
	s_or_b64 exec, exec, s[28:29]
                                        ; implicit-def: $vgpr5
                                        ; implicit-def: $vgpr3_vgpr4
.LBB6_11547:                            ;   in Loop: Header=BB6_11257 Depth=3
	s_andn2_saveexec_b64 s[40:41], s[42:43]
	s_cbranch_execz .LBB6_11553
; %bb.11548:                            ;   in Loop: Header=BB6_11257 Depth=3
	v_cmp_ne_u64_e64 s[28:29], 0, v[3:4]
                                        ; implicit-def: $vgpr12
	s_and_saveexec_b64 s[42:43], s[28:29]
	s_xor_b64 s[28:29], exec, s[42:43]
; %bb.11549:                            ;   in Loop: Header=BB6_11257 Depth=3
	v_or_b32_sdwa v12, v5, s83 dst_sel:DWORD dst_unused:UNUSED_PAD src0_sel:BYTE_3 src1_sel:DWORD
                                        ; implicit-def: $vgpr5
; %bb.11550:                            ;   in Loop: Header=BB6_11257 Depth=3
	s_andn2_saveexec_b64 s[42:43], s[28:29]
; %bb.11551:                            ;   in Loop: Header=BB6_11257 Depth=3
	v_cmp_lt_i32_e64 s[28:29], -1, v5
	v_bfrev_b32_e32 v0, 0.5
	v_mov_b32_e32 v3, 0x7c
	v_cndmask_b32_e64 v12, v0, v3, s[28:29]
; %bb.11552:                            ;   in Loop: Header=BB6_11257 Depth=3
	s_or_b64 exec, exec, s[42:43]
.LBB6_11553:                            ;   in Loop: Header=BB6_11257 Depth=3
	s_or_b64 exec, exec, s[40:41]
	v_lshrrev_b16_e32 v3, 8, v14
	v_cmp_ne_u16_e64 s[28:29], 0, v3
	v_mov_b32_e32 v0, 0
	s_and_saveexec_b64 s[40:41], s[28:29]
	s_cbranch_execz .LBB6_11561
; %bb.11554:                            ;   in Loop: Header=BB6_11257 Depth=3
	v_cmp_ne_u16_e64 s[28:29], s44, v3
	v_bfrev_b32_e32 v0, 1
	s_and_saveexec_b64 s[42:43], s[28:29]
	s_cbranch_execz .LBB6_11560
; %bb.11555:                            ;   in Loop: Header=BB6_11257 Depth=3
	v_and_b32_e32 v0, 0x7c, v3
	v_and_b32_e32 v5, 3, v3
	v_cmp_ne_u32_e64 s[28:29], s81, v0
                                        ; implicit-def: $vgpr0
	s_and_saveexec_b64 s[38:39], s[28:29]
	s_xor_b64 s[38:39], exec, s[38:39]
	s_cbranch_execz .LBB6_11557
; %bb.11556:                            ;   in Loop: Header=BB6_11257 Depth=3
	v_ffbh_u32_e32 v6, v5
	v_min_u32_e32 v6, 32, v6
	v_mov_b32_e32 v4, v34
	v_subrev_u32_e32 v7, 29, v6
	v_bfe_u32 v0, v3, 2, 5
	v_lshlrev_b64 v[3:4], v7, v[3:4]
	v_sub_u32_e32 v4, 30, v6
	v_cmp_eq_u32_e64 s[28:29], 0, v0
	v_cndmask_b32_e64 v0, v0, v4, s[28:29]
	v_lshlrev_b32_e32 v4, 16, v14
	v_and_b32_e32 v3, 3, v3
	v_and_b32_e32 v4, 0x80000000, v4
	v_cndmask_b32_e64 v3, v5, v3, s[28:29]
	v_lshl_add_u32 v0, v0, 23, v4
	v_lshl_or_b32 v0, v3, 21, v0
	v_add_u32_e32 v0, 0x38000000, v0
                                        ; implicit-def: $vgpr5
.LBB6_11557:                            ;   in Loop: Header=BB6_11257 Depth=3
	s_andn2_saveexec_b64 s[38:39], s[38:39]
; %bb.11558:                            ;   in Loop: Header=BB6_11257 Depth=3
	v_cmp_lt_i16_e64 s[28:29], -1, v14
	v_mov_b32_e32 v0, 0xff800000
	v_mov_b32_e32 v3, 0x7f800000
	v_cndmask_b32_e64 v0, v0, v3, s[28:29]
	v_cmp_eq_u32_e64 s[28:29], 0, v5
	v_mov_b32_e32 v3, 0x7f800001
	v_cndmask_b32_e64 v0, v3, v0, s[28:29]
; %bb.11559:                            ;   in Loop: Header=BB6_11257 Depth=3
	s_or_b64 exec, exec, s[38:39]
.LBB6_11560:                            ;   in Loop: Header=BB6_11257 Depth=3
	s_or_b64 exec, exec, s[42:43]
.LBB6_11561:                            ;   in Loop: Header=BB6_11257 Depth=3
	s_or_b64 exec, exec, s[40:41]
	v_lshrrev_b16_e32 v3, 8, v10
	v_cmp_lt_i16_e64 s[28:29], s83, v3
	s_mov_b64 s[40:41], 0
	s_and_saveexec_b64 s[42:43], s[28:29]
	s_xor_b64 s[42:43], exec, s[42:43]
	s_cbranch_execz .LBB6_11792
; %bb.11562:                            ;   in Loop: Header=BB6_11257 Depth=3
	v_cmp_eq_u16_e64 s[28:29], s44, v3
	s_mov_b64 s[40:41], -1
	s_and_saveexec_b64 s[38:39], s[28:29]
; %bb.11563:                            ;   in Loop: Header=BB6_11257 Depth=3
	s_xor_b64 s[40:41], exec, -1
; %bb.11564:                            ;   in Loop: Header=BB6_11257 Depth=3
	s_or_b64 exec, exec, s[38:39]
	s_and_b64 s[40:41], s[40:41], exec
	s_or_saveexec_b64 s[42:43], s[42:43]
	v_bfrev_b32_e32 v4, 1
	s_xor_b64 exec, exec, s[42:43]
	s_cbranch_execnz .LBB6_11793
.LBB6_11565:                            ;   in Loop: Header=BB6_11257 Depth=3
	s_or_b64 exec, exec, s[42:43]
	s_and_saveexec_b64 s[38:39], s[40:41]
	s_cbranch_execz .LBB6_11567
.LBB6_11566:                            ;   in Loop: Header=BB6_11257 Depth=3
	v_and_b32_e32 v6, 3, v3
	v_and_b32_e32 v5, 0x7c, v3
	v_cmp_eq_u32_e64 s[28:29], s81, v5
	v_ffbh_u32_e32 v5, v6
	v_min_u32_e32 v8, 32, v5
	v_mov_b32_e32 v4, v34
	v_subrev_u32_e32 v5, 29, v8
	v_bfe_u32 v7, v3, 2, 5
	v_lshlrev_b64 v[4:5], v5, v[3:4]
	v_cmp_eq_u32_e64 s[40:41], 0, v7
	v_sub_u32_e32 v5, 30, v8
	v_lshlrev_b32_e32 v3, 24, v3
	v_and_b32_e32 v4, 3, v4
	v_cndmask_b32_e64 v5, v7, v5, s[40:41]
	v_and_b32_e32 v3, 0x80000000, v3
	v_cndmask_b32_e64 v4, v6, v4, s[40:41]
	v_lshl_add_u32 v3, v5, 23, v3
	v_lshl_or_b32 v3, v4, 21, v3
	v_cmp_lt_i16_e64 s[42:43], -1, v10
	v_mov_b32_e32 v4, 0xff800000
	v_mov_b32_e32 v5, 0x7f800000
	v_cmp_eq_u32_e64 s[40:41], 0, v6
	v_cndmask_b32_e64 v4, v4, v5, s[42:43]
	v_mov_b32_e32 v5, 0x7f800001
	v_add_u32_e32 v3, 0x38000000, v3
	v_cndmask_b32_e64 v4, v5, v4, s[40:41]
	v_cndmask_b32_e64 v4, v3, v4, s[28:29]
.LBB6_11567:                            ;   in Loop: Header=BB6_11257 Depth=3
	s_or_b64 exec, exec, s[38:39]
	v_mul_f32_e32 v5, v0, v4
	v_and_b32_e32 v6, 0x7f800000, v5
	v_mov_b32_e32 v7, v34
	v_cmp_ne_u64_e64 s[28:29], s[76:77], v[6:7]
	v_and_b32_e32 v3, 0x7fffff, v5
	v_mov_b32_e32 v4, v34
                                        ; implicit-def: $vgpr13
	s_and_saveexec_b64 s[40:41], s[28:29]
	s_xor_b64 s[42:43], exec, s[40:41]
	s_cbranch_execz .LBB6_11581
; %bb.11568:                            ;   in Loop: Header=BB6_11257 Depth=3
	v_and_b32_e32 v6, 0x7fffffff, v5
	v_mov_b32_e32 v7, v34
	v_cmp_gt_u64_e64 s[28:29], s[78:79], v[6:7]
	v_and_b32_sdwa v0, v5, s44 dst_sel:DWORD dst_unused:UNUSED_PAD src0_sel:BYTE_3 src1_sel:DWORD
                                        ; implicit-def: $vgpr13
	s_and_saveexec_b64 s[40:41], s[28:29]
	s_xor_b64 s[38:39], exec, s[40:41]
	s_cbranch_execz .LBB6_11578
; %bb.11569:                            ;   in Loop: Header=BB6_11257 Depth=3
	v_mov_b32_e32 v13, 0
	v_cmp_ne_u32_e64 s[28:29], 0, v5
	s_and_saveexec_b64 s[48:49], s[28:29]
	s_cbranch_execz .LBB6_11577
; %bb.11570:                            ;   in Loop: Header=BB6_11257 Depth=3
	v_bfe_u32 v6, v5, 23, 8
	v_cmp_gt_u32_e64 s[40:41], s45, v6
	v_sub_u32_e32 v5, 0x71, v6
	v_cmp_eq_u32_e64 s[28:29], 0, v6
	v_cndmask_b32_e64 v5, 0, v5, s[40:41]
	v_mov_b32_e32 v7, 0x70
	v_cndmask_b32_e64 v7, v5, v7, s[28:29]
	v_add_u32_e32 v5, 21, v7
	v_or_b32_e32 v8, 0x800000, v3
	v_lshlrev_b64 v[35:36], v5, -1
	v_cndmask_b32_e64 v3, v8, v3, s[28:29]
	v_add_u32_e32 v5, 20, v7
	v_bfi_b32 v35, v35, 0, v3
	v_lshlrev_b64 v[37:38], v5, 1
	v_lshrrev_b64 v[3:4], v7, v[3:4]
	v_bfi_b32 v36, v36, 0, 0
	v_cmp_eq_u64_e64 s[40:41], v[35:36], v[37:38]
	v_mov_b32_e32 v5, v4
	v_mov_b32_e32 v4, v3
	s_and_saveexec_b64 s[50:51], s[40:41]
; %bb.11571:                            ;   in Loop: Header=BB6_11257 Depth=3
	v_bfe_u32 v4, v3, 21, 1
	v_add_co_u32_e64 v4, s[40:41], v3, v4
	v_add_co_u32_e64 v4, s[40:41], -1, v4
; %bb.11572:                            ;   in Loop: Header=BB6_11257 Depth=3
	s_or_b64 exec, exec, s[50:51]
	v_add_u32_e32 v5, 0xffffff81, v6
	v_mov_b32_e32 v6, 0xffffff82
	v_cndmask_b32_e64 v5, v5, v6, s[28:29]
	v_lshrrev_b32_e32 v6, 23, v3
	v_add3_u32 v7, v7, v5, v6
	v_add_u32_e32 v6, 14, v7
	v_and_b32_e32 v4, 0x1fffff, v4
	v_add_u32_e32 v3, v4, v3
	v_mov_b32_e32 v4, v34
	v_cmp_ne_u32_e64 s[28:29], 0, v6
                                        ; implicit-def: $vgpr5
	s_and_saveexec_b64 s[40:41], s[28:29]
	s_xor_b64 s[40:41], exec, s[40:41]
; %bb.11573:                            ;   in Loop: Header=BB6_11257 Depth=3
	v_cmp_lt_u64_e64 s[28:29], s[88:89], v[3:4]
	v_add_u32_e32 v5, 15, v7
	v_cndmask_b32_e64 v5, v6, v5, s[28:29]
	v_cndmask_b32_e64 v6, 0, 1, s[28:29]
	v_lshrrev_b64 v[3:4], v6, v[3:4]
; %bb.11574:                            ;   in Loop: Header=BB6_11257 Depth=3
	s_andn2_saveexec_b64 s[28:29], s[40:41]
; %bb.11575:                            ;   in Loop: Header=BB6_11257 Depth=3
	v_bfe_u32 v5, v3, 23, 1
; %bb.11576:                            ;   in Loop: Header=BB6_11257 Depth=3
	s_or_b64 exec, exec, s[28:29]
	v_lshrrev_b64 v[3:4], 21, v[3:4]
	v_cmp_gt_i32_e64 s[28:29], 32, v5
	v_cndmask_b32_e64 v4, 0, v4, s[28:29]
	v_cndmask_b32_e64 v3, 3, v3, s[28:29]
	v_cmp_eq_u64_e64 s[40:41], 0, v[3:4]
	v_min_i32_e32 v4, 31, v5
	v_lshlrev_b32_e32 v4, 2, v4
	v_cmp_eq_u32_e64 s[28:29], 0, v5
	v_and_b32_e32 v4, 0xfc, v4
	v_and_or_b32 v3, v3, 3, v4
	s_and_b64 s[28:29], s[28:29], s[40:41]
	v_cndmask_b32_e64 v3, v3, 0, s[28:29]
	v_or_b32_e32 v13, v3, v0
.LBB6_11577:                            ;   in Loop: Header=BB6_11257 Depth=3
	s_or_b64 exec, exec, s[48:49]
                                        ; implicit-def: $vgpr0
.LBB6_11578:                            ;   in Loop: Header=BB6_11257 Depth=3
	s_andn2_saveexec_b64 s[28:29], s[38:39]
; %bb.11579:                            ;   in Loop: Header=BB6_11257 Depth=3
	v_or_b32_e32 v13, 0x7b, v0
; %bb.11580:                            ;   in Loop: Header=BB6_11257 Depth=3
	s_or_b64 exec, exec, s[28:29]
                                        ; implicit-def: $vgpr5
                                        ; implicit-def: $vgpr3_vgpr4
.LBB6_11581:                            ;   in Loop: Header=BB6_11257 Depth=3
	s_andn2_saveexec_b64 s[40:41], s[42:43]
	s_cbranch_execz .LBB6_11587
; %bb.11582:                            ;   in Loop: Header=BB6_11257 Depth=3
	v_cmp_ne_u64_e64 s[28:29], 0, v[3:4]
                                        ; implicit-def: $vgpr13
	s_and_saveexec_b64 s[42:43], s[28:29]
	s_xor_b64 s[28:29], exec, s[42:43]
; %bb.11583:                            ;   in Loop: Header=BB6_11257 Depth=3
	v_or_b32_sdwa v13, v5, s83 dst_sel:DWORD dst_unused:UNUSED_PAD src0_sel:BYTE_3 src1_sel:DWORD
                                        ; implicit-def: $vgpr5
; %bb.11584:                            ;   in Loop: Header=BB6_11257 Depth=3
	s_andn2_saveexec_b64 s[42:43], s[28:29]
; %bb.11585:                            ;   in Loop: Header=BB6_11257 Depth=3
	v_cmp_lt_i32_e64 s[28:29], -1, v5
	v_bfrev_b32_e32 v0, 0.5
	v_mov_b32_e32 v3, 0x7c
	v_cndmask_b32_e64 v13, v0, v3, s[28:29]
; %bb.11586:                            ;   in Loop: Header=BB6_11257 Depth=3
	s_or_b64 exec, exec, s[42:43]
.LBB6_11587:                            ;   in Loop: Header=BB6_11257 Depth=3
	s_or_b64 exec, exec, s[40:41]
	v_lshrrev_b32_e32 v0, 16, v14
	v_cmp_ne_u16_sdwa s[28:29], v0, v34 src0_sel:BYTE_0 src1_sel:DWORD
	v_mov_b32_e32 v3, 0
	s_and_saveexec_b64 s[40:41], s[28:29]
	s_cbranch_execz .LBB6_11595
; %bb.11588:                            ;   in Loop: Header=BB6_11257 Depth=3
	v_cmp_ne_u16_sdwa s[28:29], v0, s44 src0_sel:BYTE_0 src1_sel:DWORD
	v_bfrev_b32_e32 v3, 1
	s_and_saveexec_b64 s[42:43], s[28:29]
	s_cbranch_execz .LBB6_11594
; %bb.11589:                            ;   in Loop: Header=BB6_11257 Depth=3
	v_and_b32_e32 v3, 0x7c0000, v14
	v_bfe_u32 v4, v14, 16, 2
	v_cmp_ne_u32_e64 s[28:29], s9, v3
                                        ; implicit-def: $vgpr3
	s_and_saveexec_b64 s[38:39], s[28:29]
	s_xor_b64 s[38:39], exec, s[38:39]
	s_cbranch_execz .LBB6_11591
; %bb.11590:                            ;   in Loop: Header=BB6_11257 Depth=3
	v_ffbh_u32_e32 v5, v4
	v_min_u32_e32 v7, 32, v5
	v_subrev_u32_e32 v5, 29, v7
	v_lshlrev_b64 v[5:6], v5, v[0:1]
	v_bfe_u32 v3, v14, 18, 5
	v_sub_u32_e32 v0, 30, v7
	v_and_b32_e32 v5, 3, v5
	v_cmp_eq_u32_e64 s[28:29], 0, v3
	v_cndmask_b32_e64 v0, v3, v0, s[28:29]
	v_cndmask_b32_e64 v3, v4, v5, s[28:29]
	v_lshlrev_b32_e32 v4, 8, v14
	v_and_b32_e32 v4, 0x80000000, v4
	v_lshl_add_u32 v0, v0, 23, v4
	v_lshl_or_b32 v0, v3, 21, v0
	v_add_u32_e32 v3, 0x38000000, v0
                                        ; implicit-def: $vgpr4
                                        ; implicit-def: $vgpr0
.LBB6_11591:                            ;   in Loop: Header=BB6_11257 Depth=3
	s_andn2_saveexec_b64 s[38:39], s[38:39]
; %bb.11592:                            ;   in Loop: Header=BB6_11257 Depth=3
	v_mov_b32_e32 v3, -1
	v_cmp_gt_i16_sdwa s[28:29], sext(v0), v3 src0_sel:BYTE_0 src1_sel:DWORD
	v_mov_b32_e32 v0, 0xff800000
	v_mov_b32_e32 v3, 0x7f800000
	v_cndmask_b32_e64 v0, v0, v3, s[28:29]
	v_cmp_eq_u32_e64 s[28:29], 0, v4
	v_mov_b32_e32 v3, 0x7f800001
	v_cndmask_b32_e64 v3, v3, v0, s[28:29]
; %bb.11593:                            ;   in Loop: Header=BB6_11257 Depth=3
	s_or_b64 exec, exec, s[38:39]
.LBB6_11594:                            ;   in Loop: Header=BB6_11257 Depth=3
	s_or_b64 exec, exec, s[42:43]
.LBB6_11595:                            ;   in Loop: Header=BB6_11257 Depth=3
	s_or_b64 exec, exec, s[40:41]
	v_lshrrev_b32_e32 v0, 16, v10
	v_cmp_gt_i16_sdwa s[40:41], v0, s83 src0_sel:BYTE_0 src1_sel:DWORD
	s_mov_b64 s[28:29], 0
	s_and_saveexec_b64 s[42:43], s[40:41]
	s_xor_b64 s[40:41], exec, s[42:43]
	s_cbranch_execz .LBB6_11794
; %bb.11596:                            ;   in Loop: Header=BB6_11257 Depth=3
	v_cmp_eq_u16_sdwa s[38:39], v0, s44 src0_sel:BYTE_0 src1_sel:DWORD
	s_mov_b64 s[28:29], -1
	s_and_saveexec_b64 s[42:43], s[38:39]
; %bb.11597:                            ;   in Loop: Header=BB6_11257 Depth=3
	s_xor_b64 s[28:29], exec, -1
; %bb.11598:                            ;   in Loop: Header=BB6_11257 Depth=3
	s_or_b64 exec, exec, s[42:43]
	s_and_b64 s[28:29], s[28:29], exec
	s_or_saveexec_b64 s[40:41], s[40:41]
	v_bfrev_b32_e32 v4, 1
	s_xor_b64 exec, exec, s[40:41]
	s_cbranch_execnz .LBB6_11795
.LBB6_11599:                            ;   in Loop: Header=BB6_11257 Depth=3
	s_or_b64 exec, exec, s[40:41]
	s_and_saveexec_b64 s[38:39], s[28:29]
	s_cbranch_execz .LBB6_11601
.LBB6_11600:                            ;   in Loop: Header=BB6_11257 Depth=3
	v_and_b32_e32 v6, 3, v0
	v_and_b32_e32 v4, 0x7c0000, v10
	v_cmp_eq_u32_e64 s[28:29], s9, v4
	v_ffbh_u32_e32 v4, v6
	v_min_u32_e32 v8, 32, v4
	v_subrev_u32_e32 v4, 29, v8
	v_bfe_u32 v7, v10, 18, 5
	v_lshlrev_b64 v[4:5], v4, v[0:1]
	v_cmp_eq_u32_e64 s[40:41], 0, v7
	v_sub_u32_e32 v5, 30, v8
	v_cndmask_b32_e64 v5, v7, v5, s[40:41]
	v_lshlrev_b32_e32 v7, 24, v0
	v_and_b32_e32 v4, 3, v4
	v_and_b32_e32 v7, 0x80000000, v7
	v_cndmask_b32_e64 v4, v6, v4, s[40:41]
	v_lshl_add_u32 v5, v5, 23, v7
	v_lshl_or_b32 v4, v4, 21, v5
	v_mov_b32_e32 v5, -1
	v_cmp_gt_i16_sdwa s[42:43], sext(v0), v5 src0_sel:BYTE_0 src1_sel:DWORD
	v_mov_b32_e32 v0, 0xff800000
	v_mov_b32_e32 v5, 0x7f800000
	v_cmp_eq_u32_e64 s[40:41], 0, v6
	v_cndmask_b32_e64 v0, v0, v5, s[42:43]
	v_mov_b32_e32 v5, 0x7f800001
	v_add_u32_e32 v4, 0x38000000, v4
	v_cndmask_b32_e64 v0, v5, v0, s[40:41]
	v_cndmask_b32_e64 v4, v4, v0, s[28:29]
.LBB6_11601:                            ;   in Loop: Header=BB6_11257 Depth=3
	s_or_b64 exec, exec, s[38:39]
	v_mul_f32_e32 v5, v3, v4
	v_and_b32_e32 v6, 0x7f800000, v5
	v_mov_b32_e32 v7, v34
	v_cmp_ne_u64_e64 s[28:29], s[76:77], v[6:7]
	v_and_b32_e32 v3, 0x7fffff, v5
	v_mov_b32_e32 v4, v34
                                        ; implicit-def: $vgpr33
	s_and_saveexec_b64 s[40:41], s[28:29]
	s_xor_b64 s[42:43], exec, s[40:41]
	s_cbranch_execz .LBB6_11615
; %bb.11602:                            ;   in Loop: Header=BB6_11257 Depth=3
	v_and_b32_e32 v6, 0x7fffffff, v5
	v_mov_b32_e32 v7, v34
	v_cmp_gt_u64_e64 s[28:29], s[78:79], v[6:7]
	v_and_b32_sdwa v0, v5, s44 dst_sel:DWORD dst_unused:UNUSED_PAD src0_sel:BYTE_3 src1_sel:DWORD
                                        ; implicit-def: $vgpr33
	s_and_saveexec_b64 s[40:41], s[28:29]
	s_xor_b64 s[38:39], exec, s[40:41]
	s_cbranch_execz .LBB6_11612
; %bb.11603:                            ;   in Loop: Header=BB6_11257 Depth=3
	v_mov_b32_e32 v33, 0
	v_cmp_ne_u32_e64 s[28:29], 0, v5
	s_and_saveexec_b64 s[48:49], s[28:29]
	s_cbranch_execz .LBB6_11611
; %bb.11604:                            ;   in Loop: Header=BB6_11257 Depth=3
	v_bfe_u32 v6, v5, 23, 8
	v_cmp_gt_u32_e64 s[40:41], s45, v6
	v_sub_u32_e32 v5, 0x71, v6
	v_cmp_eq_u32_e64 s[28:29], 0, v6
	v_cndmask_b32_e64 v5, 0, v5, s[40:41]
	v_mov_b32_e32 v7, 0x70
	v_cndmask_b32_e64 v7, v5, v7, s[28:29]
	v_add_u32_e32 v5, 21, v7
	v_or_b32_e32 v8, 0x800000, v3
	v_lshlrev_b64 v[35:36], v5, -1
	v_cndmask_b32_e64 v3, v8, v3, s[28:29]
	v_add_u32_e32 v5, 20, v7
	v_bfi_b32 v35, v35, 0, v3
	v_lshlrev_b64 v[37:38], v5, 1
	v_lshrrev_b64 v[3:4], v7, v[3:4]
	v_bfi_b32 v36, v36, 0, 0
	v_cmp_eq_u64_e64 s[40:41], v[35:36], v[37:38]
	v_mov_b32_e32 v5, v4
	v_mov_b32_e32 v4, v3
	s_and_saveexec_b64 s[50:51], s[40:41]
; %bb.11605:                            ;   in Loop: Header=BB6_11257 Depth=3
	v_bfe_u32 v4, v3, 21, 1
	v_add_co_u32_e64 v4, s[40:41], v3, v4
	v_add_co_u32_e64 v4, s[40:41], -1, v4
; %bb.11606:                            ;   in Loop: Header=BB6_11257 Depth=3
	s_or_b64 exec, exec, s[50:51]
	v_add_u32_e32 v5, 0xffffff81, v6
	v_mov_b32_e32 v6, 0xffffff82
	v_cndmask_b32_e64 v5, v5, v6, s[28:29]
	v_lshrrev_b32_e32 v6, 23, v3
	v_add3_u32 v7, v7, v5, v6
	v_add_u32_e32 v6, 14, v7
	v_and_b32_e32 v4, 0x1fffff, v4
	v_add_u32_e32 v3, v4, v3
	v_mov_b32_e32 v4, v34
	v_cmp_ne_u32_e64 s[28:29], 0, v6
                                        ; implicit-def: $vgpr5
	s_and_saveexec_b64 s[40:41], s[28:29]
	s_xor_b64 s[40:41], exec, s[40:41]
; %bb.11607:                            ;   in Loop: Header=BB6_11257 Depth=3
	v_cmp_lt_u64_e64 s[28:29], s[88:89], v[3:4]
	v_add_u32_e32 v5, 15, v7
	v_cndmask_b32_e64 v5, v6, v5, s[28:29]
	v_cndmask_b32_e64 v6, 0, 1, s[28:29]
	v_lshrrev_b64 v[3:4], v6, v[3:4]
; %bb.11608:                            ;   in Loop: Header=BB6_11257 Depth=3
	s_andn2_saveexec_b64 s[28:29], s[40:41]
; %bb.11609:                            ;   in Loop: Header=BB6_11257 Depth=3
	v_bfe_u32 v5, v3, 23, 1
; %bb.11610:                            ;   in Loop: Header=BB6_11257 Depth=3
	s_or_b64 exec, exec, s[28:29]
	v_lshrrev_b64 v[3:4], 21, v[3:4]
	v_cmp_gt_i32_e64 s[28:29], 32, v5
	v_cndmask_b32_e64 v4, 0, v4, s[28:29]
	v_cndmask_b32_e64 v3, 3, v3, s[28:29]
	v_cmp_eq_u64_e64 s[40:41], 0, v[3:4]
	v_min_i32_e32 v4, 31, v5
	v_lshlrev_b32_e32 v4, 2, v4
	v_cmp_eq_u32_e64 s[28:29], 0, v5
	v_and_b32_e32 v4, 0xfc, v4
	v_and_or_b32 v3, v3, 3, v4
	s_and_b64 s[28:29], s[28:29], s[40:41]
	v_cndmask_b32_e64 v3, v3, 0, s[28:29]
	v_or_b32_e32 v33, v3, v0
.LBB6_11611:                            ;   in Loop: Header=BB6_11257 Depth=3
	s_or_b64 exec, exec, s[48:49]
                                        ; implicit-def: $vgpr0
.LBB6_11612:                            ;   in Loop: Header=BB6_11257 Depth=3
	s_andn2_saveexec_b64 s[28:29], s[38:39]
; %bb.11613:                            ;   in Loop: Header=BB6_11257 Depth=3
	v_or_b32_e32 v33, 0x7b, v0
; %bb.11614:                            ;   in Loop: Header=BB6_11257 Depth=3
	s_or_b64 exec, exec, s[28:29]
                                        ; implicit-def: $vgpr5
                                        ; implicit-def: $vgpr3_vgpr4
.LBB6_11615:                            ;   in Loop: Header=BB6_11257 Depth=3
	s_andn2_saveexec_b64 s[40:41], s[42:43]
	s_cbranch_execz .LBB6_11621
; %bb.11616:                            ;   in Loop: Header=BB6_11257 Depth=3
	v_cmp_ne_u64_e64 s[28:29], 0, v[3:4]
                                        ; implicit-def: $vgpr33
	s_and_saveexec_b64 s[42:43], s[28:29]
	s_xor_b64 s[28:29], exec, s[42:43]
; %bb.11617:                            ;   in Loop: Header=BB6_11257 Depth=3
	v_or_b32_sdwa v33, v5, s83 dst_sel:DWORD dst_unused:UNUSED_PAD src0_sel:BYTE_3 src1_sel:DWORD
                                        ; implicit-def: $vgpr5
; %bb.11618:                            ;   in Loop: Header=BB6_11257 Depth=3
	s_andn2_saveexec_b64 s[42:43], s[28:29]
; %bb.11619:                            ;   in Loop: Header=BB6_11257 Depth=3
	v_cmp_lt_i32_e64 s[28:29], -1, v5
	v_bfrev_b32_e32 v0, 0.5
	v_mov_b32_e32 v3, 0x7c
	v_cndmask_b32_e64 v33, v0, v3, s[28:29]
; %bb.11620:                            ;   in Loop: Header=BB6_11257 Depth=3
	s_or_b64 exec, exec, s[42:43]
.LBB6_11621:                            ;   in Loop: Header=BB6_11257 Depth=3
	s_or_b64 exec, exec, s[40:41]
	v_cmp_lt_u32_e64 s[28:29], s57, v14
	v_mov_b32_e32 v3, 0
	s_and_saveexec_b64 s[40:41], s[28:29]
	s_cbranch_execz .LBB6_11629
; %bb.11622:                            ;   in Loop: Header=BB6_11257 Depth=3
	v_lshrrev_b32_e32 v0, 24, v14
	v_cmp_ne_u32_e64 s[28:29], s44, v0
	v_bfrev_b32_e32 v3, 1
	s_and_saveexec_b64 s[42:43], s[28:29]
	s_cbranch_execz .LBB6_11628
; %bb.11623:                            ;   in Loop: Header=BB6_11257 Depth=3
	v_and_b32_e32 v3, 0x7c000000, v14
	v_bfe_u32 v4, v14, 24, 2
	v_cmp_ne_u32_e64 s[28:29], s8, v3
                                        ; implicit-def: $vgpr3
	s_and_saveexec_b64 s[38:39], s[28:29]
	s_xor_b64 s[38:39], exec, s[38:39]
	s_cbranch_execz .LBB6_11625
; %bb.11624:                            ;   in Loop: Header=BB6_11257 Depth=3
	v_ffbh_u32_e32 v5, v4
	v_min_u32_e32 v7, 32, v5
	v_subrev_u32_e32 v5, 29, v7
	v_lshlrev_b64 v[5:6], v5, v[0:1]
	v_bfe_u32 v3, v14, 26, 5
	v_sub_u32_e32 v0, 30, v7
	v_and_b32_e32 v5, 3, v5
	v_cmp_eq_u32_e64 s[28:29], 0, v3
	v_cndmask_b32_e64 v0, v3, v0, s[28:29]
	v_cndmask_b32_e64 v3, v4, v5, s[28:29]
	v_and_b32_e32 v4, 0x80000000, v14
	v_lshl_add_u32 v0, v0, 23, v4
	v_lshl_or_b32 v0, v3, 21, v0
	v_add_u32_e32 v3, 0x38000000, v0
                                        ; implicit-def: $vgpr4
.LBB6_11625:                            ;   in Loop: Header=BB6_11257 Depth=3
	s_andn2_saveexec_b64 s[38:39], s[38:39]
; %bb.11626:                            ;   in Loop: Header=BB6_11257 Depth=3
	v_cmp_lt_i32_e64 s[28:29], -1, v14
	v_mov_b32_e32 v0, 0xff800000
	v_mov_b32_e32 v3, 0x7f800000
	v_cndmask_b32_e64 v0, v0, v3, s[28:29]
	v_cmp_eq_u32_e64 s[28:29], 0, v4
	v_mov_b32_e32 v3, 0x7f800001
	v_cndmask_b32_e64 v3, v3, v0, s[28:29]
; %bb.11627:                            ;   in Loop: Header=BB6_11257 Depth=3
	s_or_b64 exec, exec, s[38:39]
.LBB6_11628:                            ;   in Loop: Header=BB6_11257 Depth=3
	s_or_b64 exec, exec, s[42:43]
.LBB6_11629:                            ;   in Loop: Header=BB6_11257 Depth=3
	s_or_b64 exec, exec, s[40:41]
	v_bfe_u32 v6, v10, 24, 2
	v_and_b32_e32 v4, 0x7c000000, v10
	v_cmp_eq_u32_e64 s[28:29], s8, v4
	v_ffbh_u32_e32 v4, v6
	v_min_u32_e32 v8, 32, v4
	v_lshrrev_b32_e32 v0, 24, v10
	v_subrev_u32_e32 v4, 29, v8
	v_bfe_u32 v7, v10, 26, 5
	v_lshlrev_b64 v[4:5], v4, v[0:1]
	v_cmp_eq_u32_e64 s[40:41], 0, v7
	v_sub_u32_e32 v5, 30, v8
	v_and_b32_e32 v4, 3, v4
	v_cndmask_b32_e64 v5, v7, v5, s[40:41]
	v_and_b32_e32 v7, 0x80000000, v10
	v_cndmask_b32_e64 v4, v6, v4, s[40:41]
	v_lshl_add_u32 v5, v5, 23, v7
	v_lshl_or_b32 v4, v4, 21, v5
	v_cmp_eq_u32_e64 s[40:41], 0, v6
	v_cmp_lt_i32_e64 s[42:43], -1, v10
	v_mov_b32_e32 v5, 0xff800000
	v_mov_b32_e32 v6, 0x7f800000
	v_cndmask_b32_e64 v5, v5, v6, s[42:43]
	v_mov_b32_e32 v6, 0x7f800001
	v_add_u32_e32 v4, 0x38000000, v4
	v_cndmask_b32_e64 v5, v6, v5, s[40:41]
	v_cndmask_b32_e64 v4, v4, v5, s[28:29]
	v_cmp_ne_u32_e64 s[28:29], s44, v0
	v_bfrev_b32_e32 v0, 1
	v_cndmask_b32_e64 v0, v0, v4, s[28:29]
	v_cmp_lt_u32_e64 s[28:29], s57, v10
	v_cndmask_b32_e64 v0, 0, v0, s[28:29]
	v_mul_f32_e32 v5, v0, v3
	v_and_b32_e32 v6, 0x7f800000, v5
	v_mov_b32_e32 v7, v34
	v_cmp_ne_u64_e64 s[28:29], s[76:77], v[6:7]
	v_and_b32_e32 v3, 0x7fffff, v5
	v_mov_b32_e32 v4, v34
                                        ; implicit-def: $vgpr35
	s_and_saveexec_b64 s[40:41], s[28:29]
	s_xor_b64 s[42:43], exec, s[40:41]
	s_cbranch_execz .LBB6_11643
; %bb.11630:                            ;   in Loop: Header=BB6_11257 Depth=3
	v_and_b32_e32 v6, 0x7fffffff, v5
	v_mov_b32_e32 v7, v34
	v_cmp_gt_u64_e64 s[28:29], s[78:79], v[6:7]
	v_and_b32_sdwa v0, v5, s44 dst_sel:DWORD dst_unused:UNUSED_PAD src0_sel:BYTE_3 src1_sel:DWORD
                                        ; implicit-def: $vgpr35
	s_and_saveexec_b64 s[40:41], s[28:29]
	s_xor_b64 s[38:39], exec, s[40:41]
	s_cbranch_execz .LBB6_11640
; %bb.11631:                            ;   in Loop: Header=BB6_11257 Depth=3
	v_mov_b32_e32 v35, 0
	v_cmp_ne_u32_e64 s[28:29], 0, v5
	s_and_saveexec_b64 s[48:49], s[28:29]
	s_cbranch_execz .LBB6_11639
; %bb.11632:                            ;   in Loop: Header=BB6_11257 Depth=3
	v_bfe_u32 v6, v5, 23, 8
	v_cmp_gt_u32_e64 s[40:41], s45, v6
	v_sub_u32_e32 v5, 0x71, v6
	v_cmp_eq_u32_e64 s[28:29], 0, v6
	v_cndmask_b32_e64 v5, 0, v5, s[40:41]
	v_mov_b32_e32 v7, 0x70
	v_cndmask_b32_e64 v7, v5, v7, s[28:29]
	v_add_u32_e32 v5, 21, v7
	v_or_b32_e32 v8, 0x800000, v3
	v_lshlrev_b64 v[35:36], v5, -1
	v_cndmask_b32_e64 v3, v8, v3, s[28:29]
	v_add_u32_e32 v5, 20, v7
	v_bfi_b32 v35, v35, 0, v3
	v_lshlrev_b64 v[37:38], v5, 1
	v_lshrrev_b64 v[3:4], v7, v[3:4]
	v_bfi_b32 v36, v36, 0, 0
	v_cmp_eq_u64_e64 s[40:41], v[35:36], v[37:38]
	v_mov_b32_e32 v5, v4
	v_mov_b32_e32 v4, v3
	s_and_saveexec_b64 s[50:51], s[40:41]
; %bb.11633:                            ;   in Loop: Header=BB6_11257 Depth=3
	v_bfe_u32 v4, v3, 21, 1
	v_add_co_u32_e64 v4, s[40:41], v3, v4
	v_add_co_u32_e64 v4, s[40:41], -1, v4
; %bb.11634:                            ;   in Loop: Header=BB6_11257 Depth=3
	s_or_b64 exec, exec, s[50:51]
	v_add_u32_e32 v5, 0xffffff81, v6
	v_mov_b32_e32 v6, 0xffffff82
	v_cndmask_b32_e64 v5, v5, v6, s[28:29]
	v_lshrrev_b32_e32 v6, 23, v3
	v_add3_u32 v7, v7, v5, v6
	v_add_u32_e32 v6, 14, v7
	v_and_b32_e32 v4, 0x1fffff, v4
	v_add_u32_e32 v3, v4, v3
	v_mov_b32_e32 v4, v34
	v_cmp_ne_u32_e64 s[28:29], 0, v6
                                        ; implicit-def: $vgpr5
	s_and_saveexec_b64 s[40:41], s[28:29]
	s_xor_b64 s[40:41], exec, s[40:41]
; %bb.11635:                            ;   in Loop: Header=BB6_11257 Depth=3
	v_cmp_lt_u64_e64 s[28:29], s[88:89], v[3:4]
	v_add_u32_e32 v5, 15, v7
	v_cndmask_b32_e64 v5, v6, v5, s[28:29]
	v_cndmask_b32_e64 v6, 0, 1, s[28:29]
	v_lshrrev_b64 v[3:4], v6, v[3:4]
; %bb.11636:                            ;   in Loop: Header=BB6_11257 Depth=3
	s_andn2_saveexec_b64 s[28:29], s[40:41]
; %bb.11637:                            ;   in Loop: Header=BB6_11257 Depth=3
	v_bfe_u32 v5, v3, 23, 1
; %bb.11638:                            ;   in Loop: Header=BB6_11257 Depth=3
	s_or_b64 exec, exec, s[28:29]
	v_lshrrev_b64 v[3:4], 21, v[3:4]
	v_cmp_gt_i32_e64 s[28:29], 32, v5
	v_cndmask_b32_e64 v4, 0, v4, s[28:29]
	v_cndmask_b32_e64 v3, 3, v3, s[28:29]
	v_cmp_eq_u64_e64 s[40:41], 0, v[3:4]
	v_min_i32_e32 v4, 31, v5
	v_lshlrev_b32_e32 v4, 2, v4
	v_cmp_eq_u32_e64 s[28:29], 0, v5
	v_and_b32_e32 v4, 0xfc, v4
	v_and_or_b32 v3, v3, 3, v4
	s_and_b64 s[28:29], s[28:29], s[40:41]
	v_cndmask_b32_e64 v3, v3, 0, s[28:29]
	v_or_b32_e32 v35, v3, v0
.LBB6_11639:                            ;   in Loop: Header=BB6_11257 Depth=3
	s_or_b64 exec, exec, s[48:49]
                                        ; implicit-def: $vgpr0
.LBB6_11640:                            ;   in Loop: Header=BB6_11257 Depth=3
	s_andn2_saveexec_b64 s[28:29], s[38:39]
; %bb.11641:                            ;   in Loop: Header=BB6_11257 Depth=3
	v_or_b32_e32 v35, 0x7b, v0
; %bb.11642:                            ;   in Loop: Header=BB6_11257 Depth=3
	s_or_b64 exec, exec, s[28:29]
                                        ; implicit-def: $vgpr5
                                        ; implicit-def: $vgpr3_vgpr4
.LBB6_11643:                            ;   in Loop: Header=BB6_11257 Depth=3
	s_andn2_saveexec_b64 s[40:41], s[42:43]
	s_cbranch_execz .LBB6_11649
; %bb.11644:                            ;   in Loop: Header=BB6_11257 Depth=3
	v_cmp_ne_u64_e64 s[28:29], 0, v[3:4]
                                        ; implicit-def: $vgpr35
	s_and_saveexec_b64 s[42:43], s[28:29]
	s_xor_b64 s[28:29], exec, s[42:43]
; %bb.11645:                            ;   in Loop: Header=BB6_11257 Depth=3
	v_or_b32_sdwa v35, v5, s83 dst_sel:DWORD dst_unused:UNUSED_PAD src0_sel:BYTE_3 src1_sel:DWORD
                                        ; implicit-def: $vgpr5
; %bb.11646:                            ;   in Loop: Header=BB6_11257 Depth=3
	s_andn2_saveexec_b64 s[42:43], s[28:29]
; %bb.11647:                            ;   in Loop: Header=BB6_11257 Depth=3
	v_cmp_lt_i32_e64 s[28:29], -1, v5
	v_bfrev_b32_e32 v0, 0.5
	v_mov_b32_e32 v3, 0x7c
	v_cndmask_b32_e64 v35, v0, v3, s[28:29]
; %bb.11648:                            ;   in Loop: Header=BB6_11257 Depth=3
	s_or_b64 exec, exec, s[42:43]
.LBB6_11649:                            ;   in Loop: Header=BB6_11257 Depth=3
	s_or_b64 exec, exec, s[40:41]
	v_mov_b32_e32 v3, v15
	v_mov_b32_e32 v4, v34
	v_cmp_ne_u16_sdwa s[28:29], v15, v34 src0_sel:BYTE_0 src1_sel:DWORD
	v_mov_b32_e32 v0, 0
	s_and_saveexec_b64 s[40:41], s[28:29]
	s_cbranch_execz .LBB6_11657
; %bb.11650:                            ;   in Loop: Header=BB6_11257 Depth=3
	v_cmp_ne_u16_sdwa s[28:29], v15, s44 src0_sel:BYTE_0 src1_sel:DWORD
	v_bfrev_b32_e32 v0, 1
	s_and_saveexec_b64 s[42:43], s[28:29]
	s_cbranch_execz .LBB6_11656
; %bb.11651:                            ;   in Loop: Header=BB6_11257 Depth=3
	v_and_b32_e32 v0, 0x7c, v15
	v_and_b32_e32 v5, 3, v15
	v_cmp_ne_u32_e64 s[28:29], s81, v0
                                        ; implicit-def: $vgpr0
	s_and_saveexec_b64 s[38:39], s[28:29]
	s_xor_b64 s[38:39], exec, s[38:39]
	s_cbranch_execz .LBB6_11653
; %bb.11652:                            ;   in Loop: Header=BB6_11257 Depth=3
	v_ffbh_u32_e32 v6, v5
	v_min_u32_e32 v8, 32, v6
	v_subrev_u32_e32 v6, 29, v8
	v_lshlrev_b64 v[6:7], v6, v[3:4]
	v_bfe_u32 v0, v15, 2, 5
	v_sub_u32_e32 v4, 30, v8
	v_and_b32_e32 v6, 3, v6
	v_cmp_eq_u32_e64 s[28:29], 0, v0
	v_cndmask_b32_e64 v0, v0, v4, s[28:29]
	v_cndmask_b32_e64 v4, v5, v6, s[28:29]
	v_lshlrev_b32_e32 v5, 24, v15
	v_and_b32_e32 v5, 0x80000000, v5
	v_lshl_add_u32 v0, v0, 23, v5
	v_lshl_or_b32 v0, v4, 21, v0
	v_add_u32_e32 v0, 0x38000000, v0
                                        ; implicit-def: $vgpr5
.LBB6_11653:                            ;   in Loop: Header=BB6_11257 Depth=3
	s_andn2_saveexec_b64 s[38:39], s[38:39]
; %bb.11654:                            ;   in Loop: Header=BB6_11257 Depth=3
	v_mov_b32_e32 v0, -1
	v_cmp_gt_i16_sdwa s[28:29], sext(v15), v0 src0_sel:BYTE_0 src1_sel:DWORD
	v_mov_b32_e32 v0, 0xff800000
	v_mov_b32_e32 v4, 0x7f800000
	v_cndmask_b32_e64 v0, v0, v4, s[28:29]
	v_cmp_eq_u32_e64 s[28:29], 0, v5
	v_mov_b32_e32 v4, 0x7f800001
	v_cndmask_b32_e64 v0, v4, v0, s[28:29]
; %bb.11655:                            ;   in Loop: Header=BB6_11257 Depth=3
	s_or_b64 exec, exec, s[38:39]
.LBB6_11656:                            ;   in Loop: Header=BB6_11257 Depth=3
	s_or_b64 exec, exec, s[42:43]
.LBB6_11657:                            ;   in Loop: Header=BB6_11257 Depth=3
	s_or_b64 exec, exec, s[40:41]
	v_cmp_gt_i16_sdwa s[40:41], v11, s83 src0_sel:BYTE_0 src1_sel:DWORD
	s_mov_b64 s[28:29], 0
	s_and_saveexec_b64 s[42:43], s[40:41]
	s_xor_b64 s[40:41], exec, s[42:43]
	s_cbranch_execz .LBB6_11661
; %bb.11658:                            ;   in Loop: Header=BB6_11257 Depth=3
	v_cmp_eq_u16_sdwa s[38:39], v11, s44 src0_sel:BYTE_0 src1_sel:DWORD
	s_mov_b64 s[28:29], -1
	s_and_saveexec_b64 s[42:43], s[38:39]
; %bb.11659:                            ;   in Loop: Header=BB6_11257 Depth=3
	s_xor_b64 s[28:29], exec, -1
; %bb.11660:                            ;   in Loop: Header=BB6_11257 Depth=3
	s_or_b64 exec, exec, s[42:43]
	s_and_b64 s[28:29], s[28:29], exec
.LBB6_11661:                            ;   in Loop: Header=BB6_11257 Depth=3
	s_or_saveexec_b64 s[40:41], s[40:41]
	v_bfrev_b32_e32 v4, 1
	s_xor_b64 exec, exec, s[40:41]
; %bb.11662:                            ;   in Loop: Header=BB6_11257 Depth=3
	v_cmp_ne_u16_sdwa s[42:43], v11, v34 src0_sel:BYTE_0 src1_sel:DWORD
	s_andn2_b64 s[28:29], s[28:29], exec
	s_and_b64 s[42:43], s[42:43], exec
	v_mov_b32_e32 v4, 0
	s_or_b64 s[28:29], s[28:29], s[42:43]
; %bb.11663:                            ;   in Loop: Header=BB6_11257 Depth=3
	s_or_b64 exec, exec, s[40:41]
	v_mov_b32_e32 v5, v11
	v_mov_b32_e32 v6, v34
	s_and_saveexec_b64 s[38:39], s[28:29]
	s_cbranch_execz .LBB6_11665
; %bb.11664:                            ;   in Loop: Header=BB6_11257 Depth=3
	v_and_b32_e32 v4, 3, v11
	v_and_b32_e32 v7, 0x7c, v11
	v_cmp_eq_u32_e64 s[28:29], s81, v7
	v_ffbh_u32_e32 v7, v4
	v_min_u32_e32 v36, 32, v7
	v_subrev_u32_e32 v7, 29, v36
	v_bfe_u32 v8, v11, 2, 5
	v_lshlrev_b64 v[6:7], v7, v[5:6]
	v_cmp_eq_u32_e64 s[40:41], 0, v8
	v_sub_u32_e32 v7, 30, v36
	v_cndmask_b32_e64 v7, v8, v7, s[40:41]
	v_lshlrev_b32_e32 v8, 24, v11
	v_and_b32_e32 v6, 3, v6
	v_and_b32_e32 v8, 0x80000000, v8
	v_cndmask_b32_e64 v6, v4, v6, s[40:41]
	v_lshl_add_u32 v7, v7, 23, v8
	v_cmp_eq_u32_e64 s[40:41], 0, v4
	v_mov_b32_e32 v4, -1
	v_lshl_or_b32 v6, v6, 21, v7
	v_cmp_gt_i16_sdwa s[42:43], sext(v11), v4 src0_sel:BYTE_0 src1_sel:DWORD
	v_mov_b32_e32 v4, 0xff800000
	v_mov_b32_e32 v7, 0x7f800000
	v_cndmask_b32_e64 v4, v4, v7, s[42:43]
	v_mov_b32_e32 v7, 0x7f800001
	v_add_u32_e32 v6, 0x38000000, v6
	v_cndmask_b32_e64 v4, v7, v4, s[40:41]
	v_cndmask_b32_e64 v4, v6, v4, s[28:29]
.LBB6_11665:                            ;   in Loop: Header=BB6_11257 Depth=3
	s_or_b64 exec, exec, s[38:39]
	v_mul_f32_e32 v4, v0, v4
	v_and_b32_e32 v7, 0x7f800000, v4
	v_mov_b32_e32 v8, v34
	v_cmp_ne_u64_e64 s[28:29], s[76:77], v[7:8]
	v_and_b32_e32 v6, 0x7fffff, v4
	v_mov_b32_e32 v7, v34
                                        ; implicit-def: $vgpr8
	s_and_saveexec_b64 s[40:41], s[28:29]
	s_xor_b64 s[42:43], exec, s[40:41]
	s_cbranch_execz .LBB6_11679
; %bb.11666:                            ;   in Loop: Header=BB6_11257 Depth=3
	v_and_b32_e32 v36, 0x7fffffff, v4
	v_mov_b32_e32 v37, v34
	v_cmp_gt_u64_e64 s[28:29], s[78:79], v[36:37]
	v_and_b32_sdwa v0, v4, s44 dst_sel:DWORD dst_unused:UNUSED_PAD src0_sel:BYTE_3 src1_sel:DWORD
                                        ; implicit-def: $vgpr8
	s_and_saveexec_b64 s[40:41], s[28:29]
	s_xor_b64 s[38:39], exec, s[40:41]
	s_cbranch_execz .LBB6_11676
; %bb.11667:                            ;   in Loop: Header=BB6_11257 Depth=3
	v_mov_b32_e32 v8, 0
	v_cmp_ne_u32_e64 s[28:29], 0, v4
	s_and_saveexec_b64 s[48:49], s[28:29]
	s_cbranch_execz .LBB6_11675
; %bb.11668:                            ;   in Loop: Header=BB6_11257 Depth=3
	v_bfe_u32 v4, v4, 23, 8
	v_cmp_gt_u32_e64 s[40:41], s45, v4
	v_sub_u32_e32 v8, 0x71, v4
	v_cmp_eq_u32_e64 s[28:29], 0, v4
	v_cndmask_b32_e64 v8, 0, v8, s[40:41]
	v_mov_b32_e32 v36, 0x70
	v_cndmask_b32_e64 v36, v8, v36, s[28:29]
	v_or_b32_e32 v37, 0x800000, v6
	v_add_u32_e32 v8, 21, v36
	v_cndmask_b32_e64 v6, v37, v6, s[28:29]
	v_lshlrev_b64 v[37:38], v8, -1
	v_add_u32_e32 v8, 20, v36
	v_bfi_b32 v37, v37, 0, v6
	v_lshlrev_b64 v[48:49], v8, 1
	v_lshrrev_b64 v[6:7], v36, v[6:7]
	v_bfi_b32 v38, v38, 0, 0
	v_cmp_eq_u64_e64 s[40:41], v[37:38], v[48:49]
	v_mov_b32_e32 v8, v7
	v_mov_b32_e32 v7, v6
	s_and_saveexec_b64 s[50:51], s[40:41]
; %bb.11669:                            ;   in Loop: Header=BB6_11257 Depth=3
	v_bfe_u32 v7, v6, 21, 1
	v_add_co_u32_e64 v7, s[40:41], v6, v7
	v_add_co_u32_e64 v7, s[40:41], -1, v7
; %bb.11670:                            ;   in Loop: Header=BB6_11257 Depth=3
	s_or_b64 exec, exec, s[50:51]
	v_add_u32_e32 v4, 0xffffff81, v4
	v_mov_b32_e32 v8, 0xffffff82
	v_cndmask_b32_e64 v4, v4, v8, s[28:29]
	v_lshrrev_b32_e32 v8, 23, v6
	v_add3_u32 v36, v36, v4, v8
	v_add_u32_e32 v8, 14, v36
	v_and_b32_e32 v4, 0x1fffff, v7
	v_add_u32_e32 v6, v4, v6
	v_mov_b32_e32 v7, v34
	v_cmp_ne_u32_e64 s[28:29], 0, v8
                                        ; implicit-def: $vgpr4
	s_and_saveexec_b64 s[40:41], s[28:29]
	s_xor_b64 s[40:41], exec, s[40:41]
; %bb.11671:                            ;   in Loop: Header=BB6_11257 Depth=3
	v_cmp_lt_u64_e64 s[28:29], s[88:89], v[6:7]
	v_add_u32_e32 v4, 15, v36
	v_cndmask_b32_e64 v4, v8, v4, s[28:29]
	v_cndmask_b32_e64 v8, 0, 1, s[28:29]
	v_lshrrev_b64 v[6:7], v8, v[6:7]
; %bb.11672:                            ;   in Loop: Header=BB6_11257 Depth=3
	s_andn2_saveexec_b64 s[28:29], s[40:41]
; %bb.11673:                            ;   in Loop: Header=BB6_11257 Depth=3
	v_bfe_u32 v4, v6, 23, 1
; %bb.11674:                            ;   in Loop: Header=BB6_11257 Depth=3
	s_or_b64 exec, exec, s[28:29]
	v_lshrrev_b64 v[6:7], 21, v[6:7]
	v_cmp_gt_i32_e64 s[28:29], 32, v4
	v_cndmask_b32_e64 v7, 0, v7, s[28:29]
	v_cndmask_b32_e64 v6, 3, v6, s[28:29]
	v_cmp_eq_u32_e64 s[28:29], 0, v4
	v_min_i32_e32 v4, 31, v4
	v_cmp_eq_u64_e64 s[40:41], 0, v[6:7]
	v_lshlrev_b32_e32 v4, 2, v4
	v_and_b32_e32 v4, 0xfc, v4
	v_and_or_b32 v4, v6, 3, v4
	s_and_b64 s[28:29], s[28:29], s[40:41]
	v_cndmask_b32_e64 v4, v4, 0, s[28:29]
	v_or_b32_e32 v8, v4, v0
.LBB6_11675:                            ;   in Loop: Header=BB6_11257 Depth=3
	s_or_b64 exec, exec, s[48:49]
                                        ; implicit-def: $vgpr0
.LBB6_11676:                            ;   in Loop: Header=BB6_11257 Depth=3
	s_andn2_saveexec_b64 s[28:29], s[38:39]
; %bb.11677:                            ;   in Loop: Header=BB6_11257 Depth=3
	v_or_b32_e32 v8, 0x7b, v0
; %bb.11678:                            ;   in Loop: Header=BB6_11257 Depth=3
	s_or_b64 exec, exec, s[28:29]
                                        ; implicit-def: $vgpr4
                                        ; implicit-def: $vgpr6_vgpr7
.LBB6_11679:                            ;   in Loop: Header=BB6_11257 Depth=3
	s_andn2_saveexec_b64 s[40:41], s[42:43]
	s_cbranch_execz .LBB6_11685
; %bb.11680:                            ;   in Loop: Header=BB6_11257 Depth=3
	v_cmp_ne_u64_e64 s[28:29], 0, v[6:7]
                                        ; implicit-def: $vgpr8
	s_and_saveexec_b64 s[42:43], s[28:29]
	s_xor_b64 s[28:29], exec, s[42:43]
; %bb.11681:                            ;   in Loop: Header=BB6_11257 Depth=3
	v_or_b32_sdwa v8, v4, s83 dst_sel:DWORD dst_unused:UNUSED_PAD src0_sel:BYTE_3 src1_sel:DWORD
                                        ; implicit-def: $vgpr4
; %bb.11682:                            ;   in Loop: Header=BB6_11257 Depth=3
	s_andn2_saveexec_b64 s[42:43], s[28:29]
; %bb.11683:                            ;   in Loop: Header=BB6_11257 Depth=3
	v_cmp_lt_i32_e64 s[28:29], -1, v4
	v_bfrev_b32_e32 v0, 0.5
	v_mov_b32_e32 v4, 0x7c
	v_cndmask_b32_e64 v8, v0, v4, s[28:29]
; %bb.11684:                            ;   in Loop: Header=BB6_11257 Depth=3
	s_or_b64 exec, exec, s[42:43]
.LBB6_11685:                            ;   in Loop: Header=BB6_11257 Depth=3
	s_or_b64 exec, exec, s[40:41]
	v_lshrrev_b16_e32 v6, 8, v3
	v_cmp_ne_u16_e64 s[28:29], 0, v6
	v_mov_b32_e32 v0, 0
	s_and_saveexec_b64 s[40:41], s[28:29]
	s_cbranch_execz .LBB6_11693
; %bb.11686:                            ;   in Loop: Header=BB6_11257 Depth=3
	v_cmp_ne_u16_e64 s[28:29], s44, v6
	v_bfrev_b32_e32 v0, 1
	s_and_saveexec_b64 s[42:43], s[28:29]
	s_cbranch_execz .LBB6_11692
; %bb.11687:                            ;   in Loop: Header=BB6_11257 Depth=3
	v_and_b32_e32 v0, 0x7c, v6
	v_and_b32_e32 v36, 3, v6
	v_cmp_ne_u32_e64 s[28:29], s81, v0
                                        ; implicit-def: $vgpr0
	s_and_saveexec_b64 s[38:39], s[28:29]
	s_xor_b64 s[38:39], exec, s[38:39]
	s_cbranch_execz .LBB6_11689
; %bb.11688:                            ;   in Loop: Header=BB6_11257 Depth=3
	v_ffbh_u32_e32 v4, v36
	v_min_u32_e32 v4, 32, v4
	v_mov_b32_e32 v7, v34
	v_subrev_u32_e32 v37, 29, v4
	v_bfe_u32 v0, v6, 2, 5
	v_lshlrev_b64 v[6:7], v37, v[6:7]
	v_sub_u32_e32 v4, 30, v4
	v_cmp_eq_u32_e64 s[28:29], 0, v0
	v_lshlrev_b32_e32 v3, 16, v3
	v_and_b32_e32 v6, 3, v6
	v_cndmask_b32_e64 v0, v0, v4, s[28:29]
	v_and_b32_e32 v3, 0x80000000, v3
	v_cndmask_b32_e64 v4, v36, v6, s[28:29]
	v_lshl_add_u32 v0, v0, 23, v3
	v_lshl_or_b32 v0, v4, 21, v0
	v_add_u32_e32 v0, 0x38000000, v0
                                        ; implicit-def: $vgpr36
                                        ; implicit-def: $vgpr3_vgpr4
.LBB6_11689:                            ;   in Loop: Header=BB6_11257 Depth=3
	s_andn2_saveexec_b64 s[38:39], s[38:39]
; %bb.11690:                            ;   in Loop: Header=BB6_11257 Depth=3
	v_cmp_lt_i16_e64 s[28:29], -1, v3
	v_mov_b32_e32 v0, 0xff800000
	v_mov_b32_e32 v3, 0x7f800000
	v_cndmask_b32_e64 v0, v0, v3, s[28:29]
	v_cmp_eq_u32_e64 s[28:29], 0, v36
	v_mov_b32_e32 v3, 0x7f800001
	v_cndmask_b32_e64 v0, v3, v0, s[28:29]
; %bb.11691:                            ;   in Loop: Header=BB6_11257 Depth=3
	s_or_b64 exec, exec, s[38:39]
.LBB6_11692:                            ;   in Loop: Header=BB6_11257 Depth=3
	s_or_b64 exec, exec, s[42:43]
.LBB6_11693:                            ;   in Loop: Header=BB6_11257 Depth=3
	s_or_b64 exec, exec, s[40:41]
	v_lshrrev_b16_e32 v3, 8, v5
	v_cmp_lt_i16_e64 s[28:29], s83, v3
	s_mov_b64 s[40:41], 0
	s_and_saveexec_b64 s[42:43], s[28:29]
	s_xor_b64 s[42:43], exec, s[42:43]
	s_cbranch_execz .LBB6_11796
; %bb.11694:                            ;   in Loop: Header=BB6_11257 Depth=3
	v_cmp_eq_u16_e64 s[28:29], s44, v3
	s_mov_b64 s[40:41], -1
	s_and_saveexec_b64 s[38:39], s[28:29]
; %bb.11695:                            ;   in Loop: Header=BB6_11257 Depth=3
	s_xor_b64 s[40:41], exec, -1
; %bb.11696:                            ;   in Loop: Header=BB6_11257 Depth=3
	s_or_b64 exec, exec, s[38:39]
	s_and_b64 s[40:41], s[40:41], exec
	s_or_saveexec_b64 s[42:43], s[42:43]
	v_bfrev_b32_e32 v4, 1
	s_xor_b64 exec, exec, s[42:43]
	s_cbranch_execnz .LBB6_11797
.LBB6_11697:                            ;   in Loop: Header=BB6_11257 Depth=3
	s_or_b64 exec, exec, s[42:43]
	s_and_saveexec_b64 s[38:39], s[40:41]
	s_cbranch_execz .LBB6_11699
.LBB6_11698:                            ;   in Loop: Header=BB6_11257 Depth=3
	v_and_b32_e32 v36, 3, v3
	v_and_b32_e32 v6, 0x7c, v3
	v_cmp_eq_u32_e64 s[28:29], s81, v6
	v_ffbh_u32_e32 v6, v36
	v_min_u32_e32 v38, 32, v6
	v_mov_b32_e32 v4, v34
	v_subrev_u32_e32 v6, 29, v38
	v_bfe_u32 v37, v3, 2, 5
	v_lshlrev_b64 v[6:7], v6, v[3:4]
	v_cmp_eq_u32_e64 s[40:41], 0, v37
	v_sub_u32_e32 v4, 30, v38
	v_lshlrev_b32_e32 v3, 24, v3
	v_and_b32_e32 v6, 3, v6
	v_cndmask_b32_e64 v4, v37, v4, s[40:41]
	v_and_b32_e32 v3, 0x80000000, v3
	v_cndmask_b32_e64 v6, v36, v6, s[40:41]
	v_lshl_add_u32 v3, v4, 23, v3
	v_cmp_lt_i16_e64 s[42:43], -1, v5
	v_mov_b32_e32 v4, 0xff800000
	v_mov_b32_e32 v5, 0x7f800000
	v_lshl_or_b32 v3, v6, 21, v3
	v_cmp_eq_u32_e64 s[40:41], 0, v36
	v_cndmask_b32_e64 v4, v4, v5, s[42:43]
	v_mov_b32_e32 v5, 0x7f800001
	v_add_u32_e32 v3, 0x38000000, v3
	v_cndmask_b32_e64 v4, v5, v4, s[40:41]
	v_cndmask_b32_e64 v4, v3, v4, s[28:29]
.LBB6_11699:                            ;   in Loop: Header=BB6_11257 Depth=3
	s_or_b64 exec, exec, s[38:39]
	v_mul_f32_e32 v5, v0, v4
	v_and_b32_e32 v6, 0x7f800000, v5
	v_mov_b32_e32 v7, v34
	v_cmp_ne_u64_e64 s[28:29], s[76:77], v[6:7]
	v_and_b32_e32 v3, 0x7fffff, v5
	v_mov_b32_e32 v4, v34
                                        ; implicit-def: $vgpr6
	s_and_saveexec_b64 s[40:41], s[28:29]
	s_xor_b64 s[42:43], exec, s[40:41]
	s_cbranch_execz .LBB6_11713
; %bb.11700:                            ;   in Loop: Header=BB6_11257 Depth=3
	v_and_b32_e32 v6, 0x7fffffff, v5
	v_mov_b32_e32 v7, v34
	v_cmp_gt_u64_e64 s[28:29], s[78:79], v[6:7]
	v_and_b32_sdwa v0, v5, s44 dst_sel:DWORD dst_unused:UNUSED_PAD src0_sel:BYTE_3 src1_sel:DWORD
                                        ; implicit-def: $vgpr6
	s_and_saveexec_b64 s[40:41], s[28:29]
	s_xor_b64 s[38:39], exec, s[40:41]
	s_cbranch_execz .LBB6_11710
; %bb.11701:                            ;   in Loop: Header=BB6_11257 Depth=3
	v_mov_b32_e32 v6, 0
	v_cmp_ne_u32_e64 s[28:29], 0, v5
	s_and_saveexec_b64 s[48:49], s[28:29]
	s_cbranch_execz .LBB6_11709
; %bb.11702:                            ;   in Loop: Header=BB6_11257 Depth=3
	v_bfe_u32 v6, v5, 23, 8
	v_cmp_gt_u32_e64 s[40:41], s45, v6
	v_sub_u32_e32 v5, 0x71, v6
	v_cmp_eq_u32_e64 s[28:29], 0, v6
	v_cndmask_b32_e64 v5, 0, v5, s[40:41]
	v_mov_b32_e32 v7, 0x70
	v_cndmask_b32_e64 v7, v5, v7, s[28:29]
	v_or_b32_e32 v36, 0x800000, v3
	v_add_u32_e32 v5, 21, v7
	v_cndmask_b32_e64 v3, v36, v3, s[28:29]
	v_lshlrev_b64 v[36:37], v5, -1
	v_add_u32_e32 v5, 20, v7
	v_bfi_b32 v36, v36, 0, v3
	v_lshlrev_b64 v[38:39], v5, 1
	v_lshrrev_b64 v[3:4], v7, v[3:4]
	v_bfi_b32 v37, v37, 0, 0
	v_cmp_eq_u64_e64 s[40:41], v[36:37], v[38:39]
	v_mov_b32_e32 v5, v4
	v_mov_b32_e32 v4, v3
	s_and_saveexec_b64 s[50:51], s[40:41]
; %bb.11703:                            ;   in Loop: Header=BB6_11257 Depth=3
	v_bfe_u32 v4, v3, 21, 1
	v_add_co_u32_e64 v4, s[40:41], v3, v4
	v_add_co_u32_e64 v4, s[40:41], -1, v4
; %bb.11704:                            ;   in Loop: Header=BB6_11257 Depth=3
	s_or_b64 exec, exec, s[50:51]
	v_add_u32_e32 v5, 0xffffff81, v6
	v_mov_b32_e32 v6, 0xffffff82
	v_cndmask_b32_e64 v5, v5, v6, s[28:29]
	v_lshrrev_b32_e32 v6, 23, v3
	v_add3_u32 v7, v7, v5, v6
	v_add_u32_e32 v6, 14, v7
	v_and_b32_e32 v4, 0x1fffff, v4
	v_add_u32_e32 v3, v4, v3
	v_mov_b32_e32 v4, v34
	v_cmp_ne_u32_e64 s[28:29], 0, v6
                                        ; implicit-def: $vgpr5
	s_and_saveexec_b64 s[40:41], s[28:29]
	s_xor_b64 s[40:41], exec, s[40:41]
; %bb.11705:                            ;   in Loop: Header=BB6_11257 Depth=3
	v_cmp_lt_u64_e64 s[28:29], s[88:89], v[3:4]
	v_add_u32_e32 v5, 15, v7
	v_cndmask_b32_e64 v5, v6, v5, s[28:29]
	v_cndmask_b32_e64 v6, 0, 1, s[28:29]
	v_lshrrev_b64 v[3:4], v6, v[3:4]
; %bb.11706:                            ;   in Loop: Header=BB6_11257 Depth=3
	s_or_saveexec_b64 s[28:29], s[40:41]
	buffer_load_dword v39, off, s[0:3], s33 offset:100 ; 4-byte Folded Reload
	s_xor_b64 exec, exec, s[28:29]
; %bb.11707:                            ;   in Loop: Header=BB6_11257 Depth=3
	v_bfe_u32 v5, v3, 23, 1
; %bb.11708:                            ;   in Loop: Header=BB6_11257 Depth=3
	s_or_b64 exec, exec, s[28:29]
	v_lshrrev_b64 v[3:4], 21, v[3:4]
	v_cmp_gt_i32_e64 s[28:29], 32, v5
	v_cndmask_b32_e64 v4, 0, v4, s[28:29]
	v_cndmask_b32_e64 v3, 3, v3, s[28:29]
	v_cmp_eq_u64_e64 s[40:41], 0, v[3:4]
	v_min_i32_e32 v4, 31, v5
	v_lshlrev_b32_e32 v4, 2, v4
	v_cmp_eq_u32_e64 s[28:29], 0, v5
	v_and_b32_e32 v4, 0xfc, v4
	v_and_or_b32 v3, v3, 3, v4
	s_and_b64 s[28:29], s[28:29], s[40:41]
	v_cndmask_b32_e64 v3, v3, 0, s[28:29]
	v_or_b32_e32 v6, v3, v0
.LBB6_11709:                            ;   in Loop: Header=BB6_11257 Depth=3
	s_or_b64 exec, exec, s[48:49]
                                        ; implicit-def: $vgpr0
.LBB6_11710:                            ;   in Loop: Header=BB6_11257 Depth=3
	s_andn2_saveexec_b64 s[28:29], s[38:39]
; %bb.11711:                            ;   in Loop: Header=BB6_11257 Depth=3
	v_or_b32_e32 v6, 0x7b, v0
; %bb.11712:                            ;   in Loop: Header=BB6_11257 Depth=3
	s_or_b64 exec, exec, s[28:29]
                                        ; implicit-def: $vgpr5
                                        ; implicit-def: $vgpr3_vgpr4
.LBB6_11713:                            ;   in Loop: Header=BB6_11257 Depth=3
	s_andn2_saveexec_b64 s[40:41], s[42:43]
	s_cbranch_execz .LBB6_11719
; %bb.11714:                            ;   in Loop: Header=BB6_11257 Depth=3
	v_cmp_ne_u64_e64 s[28:29], 0, v[3:4]
                                        ; implicit-def: $vgpr6
	s_and_saveexec_b64 s[42:43], s[28:29]
	s_xor_b64 s[28:29], exec, s[42:43]
; %bb.11715:                            ;   in Loop: Header=BB6_11257 Depth=3
	v_or_b32_sdwa v6, v5, s83 dst_sel:DWORD dst_unused:UNUSED_PAD src0_sel:BYTE_3 src1_sel:DWORD
                                        ; implicit-def: $vgpr5
; %bb.11716:                            ;   in Loop: Header=BB6_11257 Depth=3
	s_andn2_saveexec_b64 s[42:43], s[28:29]
; %bb.11717:                            ;   in Loop: Header=BB6_11257 Depth=3
	v_cmp_lt_i32_e64 s[28:29], -1, v5
	v_bfrev_b32_e32 v0, 0.5
	v_mov_b32_e32 v3, 0x7c
	v_cndmask_b32_e64 v6, v0, v3, s[28:29]
; %bb.11718:                            ;   in Loop: Header=BB6_11257 Depth=3
	s_or_b64 exec, exec, s[42:43]
.LBB6_11719:                            ;   in Loop: Header=BB6_11257 Depth=3
	s_or_b64 exec, exec, s[40:41]
	v_lshrrev_b32_e32 v0, 16, v15
	v_cmp_ne_u16_sdwa s[28:29], v0, v34 src0_sel:BYTE_0 src1_sel:DWORD
	v_mov_b32_e32 v3, 0
	s_and_saveexec_b64 s[40:41], s[28:29]
	s_cbranch_execz .LBB6_11727
; %bb.11720:                            ;   in Loop: Header=BB6_11257 Depth=3
	v_cmp_ne_u16_sdwa s[28:29], v0, s44 src0_sel:BYTE_0 src1_sel:DWORD
	v_bfrev_b32_e32 v3, 1
	s_and_saveexec_b64 s[42:43], s[28:29]
	s_cbranch_execz .LBB6_11726
; %bb.11721:                            ;   in Loop: Header=BB6_11257 Depth=3
	v_and_b32_e32 v3, 0x7c0000, v15
	v_bfe_u32 v4, v15, 16, 2
	v_cmp_ne_u32_e64 s[28:29], s9, v3
                                        ; implicit-def: $vgpr3
	s_and_saveexec_b64 s[38:39], s[28:29]
	s_xor_b64 s[38:39], exec, s[38:39]
	s_cbranch_execz .LBB6_11723
; %bb.11722:                            ;   in Loop: Header=BB6_11257 Depth=3
	v_ffbh_u32_e32 v5, v4
	v_min_u32_e32 v5, 32, v5
	v_subrev_u32_e32 v7, 29, v5
	v_lshlrev_b64 v[36:37], v7, v[0:1]
	v_bfe_u32 v3, v15, 18, 5
	v_sub_u32_e32 v0, 30, v5
	v_and_b32_e32 v5, 3, v36
	v_cmp_eq_u32_e64 s[28:29], 0, v3
	v_cndmask_b32_e64 v0, v3, v0, s[28:29]
	v_cndmask_b32_e64 v3, v4, v5, s[28:29]
	v_lshlrev_b32_e32 v4, 8, v15
	v_and_b32_e32 v4, 0x80000000, v4
	v_lshl_add_u32 v0, v0, 23, v4
	v_lshl_or_b32 v0, v3, 21, v0
	v_add_u32_e32 v3, 0x38000000, v0
                                        ; implicit-def: $vgpr4
                                        ; implicit-def: $vgpr0
.LBB6_11723:                            ;   in Loop: Header=BB6_11257 Depth=3
	s_andn2_saveexec_b64 s[38:39], s[38:39]
; %bb.11724:                            ;   in Loop: Header=BB6_11257 Depth=3
	v_mov_b32_e32 v3, -1
	v_cmp_gt_i16_sdwa s[28:29], sext(v0), v3 src0_sel:BYTE_0 src1_sel:DWORD
	v_mov_b32_e32 v0, 0xff800000
	v_mov_b32_e32 v3, 0x7f800000
	v_cndmask_b32_e64 v0, v0, v3, s[28:29]
	v_cmp_eq_u32_e64 s[28:29], 0, v4
	v_mov_b32_e32 v3, 0x7f800001
	v_cndmask_b32_e64 v3, v3, v0, s[28:29]
; %bb.11725:                            ;   in Loop: Header=BB6_11257 Depth=3
	s_or_b64 exec, exec, s[38:39]
.LBB6_11726:                            ;   in Loop: Header=BB6_11257 Depth=3
	s_or_b64 exec, exec, s[42:43]
.LBB6_11727:                            ;   in Loop: Header=BB6_11257 Depth=3
	s_or_b64 exec, exec, s[40:41]
	v_lshrrev_b32_e32 v0, 16, v11
	v_cmp_gt_i16_sdwa s[40:41], v0, s83 src0_sel:BYTE_0 src1_sel:DWORD
	s_mov_b64 s[28:29], 0
	s_and_saveexec_b64 s[42:43], s[40:41]
	s_xor_b64 s[40:41], exec, s[42:43]
	s_cbranch_execz .LBB6_11798
; %bb.11728:                            ;   in Loop: Header=BB6_11257 Depth=3
	v_cmp_eq_u16_sdwa s[38:39], v0, s44 src0_sel:BYTE_0 src1_sel:DWORD
	s_mov_b64 s[28:29], -1
	s_and_saveexec_b64 s[42:43], s[38:39]
; %bb.11729:                            ;   in Loop: Header=BB6_11257 Depth=3
	s_xor_b64 s[28:29], exec, -1
; %bb.11730:                            ;   in Loop: Header=BB6_11257 Depth=3
	s_or_b64 exec, exec, s[42:43]
	s_and_b64 s[28:29], s[28:29], exec
	s_or_saveexec_b64 s[40:41], s[40:41]
	v_bfrev_b32_e32 v4, 1
	s_xor_b64 exec, exec, s[40:41]
	s_cbranch_execnz .LBB6_11799
.LBB6_11731:                            ;   in Loop: Header=BB6_11257 Depth=3
	s_or_b64 exec, exec, s[40:41]
	s_and_saveexec_b64 s[38:39], s[28:29]
	s_cbranch_execz .LBB6_11733
.LBB6_11732:                            ;   in Loop: Header=BB6_11257 Depth=3
	v_and_b32_e32 v7, 3, v0
	v_and_b32_e32 v4, 0x7c0000, v11
	v_cmp_eq_u32_e64 s[28:29], s9, v4
	v_ffbh_u32_e32 v4, v7
	v_min_u32_e32 v37, 32, v4
	v_subrev_u32_e32 v4, 29, v37
	v_bfe_u32 v36, v11, 18, 5
	v_lshlrev_b64 v[4:5], v4, v[0:1]
	v_cmp_eq_u32_e64 s[40:41], 0, v36
	v_sub_u32_e32 v5, 30, v37
	v_cndmask_b32_e64 v5, v36, v5, s[40:41]
	v_lshlrev_b32_e32 v36, 24, v0
	v_and_b32_e32 v4, 3, v4
	v_and_b32_e32 v36, 0x80000000, v36
	v_cndmask_b32_e64 v4, v7, v4, s[40:41]
	v_lshl_add_u32 v5, v5, 23, v36
	v_lshl_or_b32 v4, v4, 21, v5
	v_mov_b32_e32 v5, -1
	v_cmp_gt_i16_sdwa s[42:43], sext(v0), v5 src0_sel:BYTE_0 src1_sel:DWORD
	v_mov_b32_e32 v0, 0xff800000
	v_mov_b32_e32 v5, 0x7f800000
	v_cmp_eq_u32_e64 s[40:41], 0, v7
	v_cndmask_b32_e64 v0, v0, v5, s[42:43]
	v_mov_b32_e32 v5, 0x7f800001
	v_add_u32_e32 v4, 0x38000000, v4
	v_cndmask_b32_e64 v0, v5, v0, s[40:41]
	v_cndmask_b32_e64 v4, v4, v0, s[28:29]
.LBB6_11733:                            ;   in Loop: Header=BB6_11257 Depth=3
	s_or_b64 exec, exec, s[38:39]
	v_mul_f32_e32 v5, v3, v4
	v_and_b32_e32 v36, 0x7f800000, v5
	v_mov_b32_e32 v37, v34
	v_cmp_ne_u64_e64 s[28:29], s[76:77], v[36:37]
	v_and_b32_e32 v3, 0x7fffff, v5
	v_mov_b32_e32 v4, v34
                                        ; implicit-def: $vgpr7
	s_and_saveexec_b64 s[40:41], s[28:29]
	s_xor_b64 s[42:43], exec, s[40:41]
	s_cbranch_execz .LBB6_11747
; %bb.11734:                            ;   in Loop: Header=BB6_11257 Depth=3
	v_and_b32_e32 v36, 0x7fffffff, v5
	v_mov_b32_e32 v37, v34
	v_cmp_gt_u64_e64 s[28:29], s[78:79], v[36:37]
	v_and_b32_sdwa v0, v5, s44 dst_sel:DWORD dst_unused:UNUSED_PAD src0_sel:BYTE_3 src1_sel:DWORD
                                        ; implicit-def: $vgpr7
	s_and_saveexec_b64 s[40:41], s[28:29]
	s_xor_b64 s[38:39], exec, s[40:41]
	s_cbranch_execz .LBB6_11744
; %bb.11735:                            ;   in Loop: Header=BB6_11257 Depth=3
	v_mov_b32_e32 v7, 0
	v_cmp_ne_u32_e64 s[28:29], 0, v5
	s_and_saveexec_b64 s[48:49], s[28:29]
	s_cbranch_execz .LBB6_11743
; %bb.11736:                            ;   in Loop: Header=BB6_11257 Depth=3
	v_bfe_u32 v7, v5, 23, 8
	v_cmp_gt_u32_e64 s[40:41], s45, v7
	v_sub_u32_e32 v5, 0x71, v7
	v_cmp_eq_u32_e64 s[28:29], 0, v7
	v_cndmask_b32_e64 v5, 0, v5, s[40:41]
	v_mov_b32_e32 v36, 0x70
	v_cndmask_b32_e64 v36, v5, v36, s[28:29]
	v_or_b32_e32 v37, 0x800000, v3
	v_add_u32_e32 v5, 21, v36
	v_cndmask_b32_e64 v3, v37, v3, s[28:29]
	v_lshlrev_b64 v[37:38], v5, -1
	v_add_u32_e32 v5, 20, v36
	v_bfi_b32 v37, v37, 0, v3
	v_lshlrev_b64 v[48:49], v5, 1
	v_lshrrev_b64 v[3:4], v36, v[3:4]
	v_bfi_b32 v38, v38, 0, 0
	v_cmp_eq_u64_e64 s[40:41], v[37:38], v[48:49]
	v_mov_b32_e32 v5, v4
	v_mov_b32_e32 v4, v3
	s_and_saveexec_b64 s[50:51], s[40:41]
; %bb.11737:                            ;   in Loop: Header=BB6_11257 Depth=3
	v_bfe_u32 v4, v3, 21, 1
	v_add_co_u32_e64 v4, s[40:41], v3, v4
	v_add_co_u32_e64 v4, s[40:41], -1, v4
; %bb.11738:                            ;   in Loop: Header=BB6_11257 Depth=3
	s_or_b64 exec, exec, s[50:51]
	v_add_u32_e32 v5, 0xffffff81, v7
	v_mov_b32_e32 v7, 0xffffff82
	v_cndmask_b32_e64 v5, v5, v7, s[28:29]
	v_lshrrev_b32_e32 v7, 23, v3
	v_add3_u32 v36, v36, v5, v7
	v_add_u32_e32 v7, 14, v36
	v_and_b32_e32 v4, 0x1fffff, v4
	v_add_u32_e32 v3, v4, v3
	v_mov_b32_e32 v4, v34
	v_cmp_ne_u32_e64 s[28:29], 0, v7
                                        ; implicit-def: $vgpr5
	s_and_saveexec_b64 s[40:41], s[28:29]
	s_xor_b64 s[40:41], exec, s[40:41]
; %bb.11739:                            ;   in Loop: Header=BB6_11257 Depth=3
	v_cmp_lt_u64_e64 s[28:29], s[88:89], v[3:4]
	v_add_u32_e32 v5, 15, v36
	v_cndmask_b32_e64 v5, v7, v5, s[28:29]
	v_cndmask_b32_e64 v7, 0, 1, s[28:29]
	v_lshrrev_b64 v[3:4], v7, v[3:4]
; %bb.11740:                            ;   in Loop: Header=BB6_11257 Depth=3
	s_andn2_saveexec_b64 s[28:29], s[40:41]
; %bb.11741:                            ;   in Loop: Header=BB6_11257 Depth=3
	v_bfe_u32 v5, v3, 23, 1
; %bb.11742:                            ;   in Loop: Header=BB6_11257 Depth=3
	s_or_b64 exec, exec, s[28:29]
	v_lshrrev_b64 v[3:4], 21, v[3:4]
	v_cmp_gt_i32_e64 s[28:29], 32, v5
	v_cndmask_b32_e64 v4, 0, v4, s[28:29]
	v_cndmask_b32_e64 v3, 3, v3, s[28:29]
	v_cmp_eq_u64_e64 s[40:41], 0, v[3:4]
	v_min_i32_e32 v4, 31, v5
	v_lshlrev_b32_e32 v4, 2, v4
	v_cmp_eq_u32_e64 s[28:29], 0, v5
	v_and_b32_e32 v4, 0xfc, v4
	v_and_or_b32 v3, v3, 3, v4
	s_and_b64 s[28:29], s[28:29], s[40:41]
	v_cndmask_b32_e64 v3, v3, 0, s[28:29]
	v_or_b32_e32 v7, v3, v0
.LBB6_11743:                            ;   in Loop: Header=BB6_11257 Depth=3
	s_or_b64 exec, exec, s[48:49]
                                        ; implicit-def: $vgpr0
.LBB6_11744:                            ;   in Loop: Header=BB6_11257 Depth=3
	s_andn2_saveexec_b64 s[28:29], s[38:39]
; %bb.11745:                            ;   in Loop: Header=BB6_11257 Depth=3
	v_or_b32_e32 v7, 0x7b, v0
; %bb.11746:                            ;   in Loop: Header=BB6_11257 Depth=3
	s_or_b64 exec, exec, s[28:29]
                                        ; implicit-def: $vgpr5
                                        ; implicit-def: $vgpr3_vgpr4
.LBB6_11747:                            ;   in Loop: Header=BB6_11257 Depth=3
	s_andn2_saveexec_b64 s[40:41], s[42:43]
	s_cbranch_execz .LBB6_11753
; %bb.11748:                            ;   in Loop: Header=BB6_11257 Depth=3
	v_cmp_ne_u64_e64 s[28:29], 0, v[3:4]
                                        ; implicit-def: $vgpr7
	s_and_saveexec_b64 s[42:43], s[28:29]
	s_xor_b64 s[28:29], exec, s[42:43]
; %bb.11749:                            ;   in Loop: Header=BB6_11257 Depth=3
	v_or_b32_sdwa v7, v5, s83 dst_sel:DWORD dst_unused:UNUSED_PAD src0_sel:BYTE_3 src1_sel:DWORD
                                        ; implicit-def: $vgpr5
; %bb.11750:                            ;   in Loop: Header=BB6_11257 Depth=3
	s_andn2_saveexec_b64 s[42:43], s[28:29]
; %bb.11751:                            ;   in Loop: Header=BB6_11257 Depth=3
	v_cmp_lt_i32_e64 s[28:29], -1, v5
	v_bfrev_b32_e32 v0, 0.5
	v_mov_b32_e32 v3, 0x7c
	v_cndmask_b32_e64 v7, v0, v3, s[28:29]
; %bb.11752:                            ;   in Loop: Header=BB6_11257 Depth=3
	s_or_b64 exec, exec, s[42:43]
.LBB6_11753:                            ;   in Loop: Header=BB6_11257 Depth=3
	s_or_b64 exec, exec, s[40:41]
	v_cmp_lt_u64_e64 s[28:29], s[56:57], v[14:15]
	v_mov_b32_e32 v3, 0
	s_and_saveexec_b64 s[40:41], s[28:29]
	s_cbranch_execz .LBB6_11761
; %bb.11754:                            ;   in Loop: Header=BB6_11257 Depth=3
	v_lshrrev_b32_e32 v0, 24, v15
	v_cmp_ne_u32_e64 s[28:29], s44, v0
	v_bfrev_b32_e32 v3, 1
	s_and_saveexec_b64 s[42:43], s[28:29]
	s_cbranch_execz .LBB6_11760
; %bb.11755:                            ;   in Loop: Header=BB6_11257 Depth=3
	v_and_b32_e32 v3, 0x7c000000, v15
	v_bfe_u32 v4, v15, 24, 2
	v_cmp_ne_u32_e64 s[28:29], s8, v3
                                        ; implicit-def: $vgpr3
	s_and_saveexec_b64 s[38:39], s[28:29]
	s_xor_b64 s[38:39], exec, s[38:39]
	s_cbranch_execz .LBB6_11757
; %bb.11756:                            ;   in Loop: Header=BB6_11257 Depth=3
	v_ffbh_u32_e32 v5, v4
	v_min_u32_e32 v5, 32, v5
	v_subrev_u32_e32 v14, 29, v5
	v_lshlrev_b64 v[36:37], v14, v[0:1]
	v_bfe_u32 v3, v15, 26, 5
	v_sub_u32_e32 v0, 30, v5
	v_and_b32_e32 v5, 3, v36
	v_cmp_eq_u32_e64 s[28:29], 0, v3
	v_cndmask_b32_e64 v0, v3, v0, s[28:29]
	v_cndmask_b32_e64 v3, v4, v5, s[28:29]
	v_and_b32_e32 v4, 0x80000000, v15
	v_lshl_add_u32 v0, v0, 23, v4
	v_lshl_or_b32 v0, v3, 21, v0
	v_add_u32_e32 v3, 0x38000000, v0
                                        ; implicit-def: $vgpr4
                                        ; implicit-def: $vgpr14_vgpr15
.LBB6_11757:                            ;   in Loop: Header=BB6_11257 Depth=3
	s_andn2_saveexec_b64 s[38:39], s[38:39]
; %bb.11758:                            ;   in Loop: Header=BB6_11257 Depth=3
	v_cmp_lt_i64_e64 s[28:29], -1, v[14:15]
	v_mov_b32_e32 v0, 0xff800000
	v_mov_b32_e32 v3, 0x7f800000
	v_cndmask_b32_e64 v0, v0, v3, s[28:29]
	v_cmp_eq_u32_e64 s[28:29], 0, v4
	v_mov_b32_e32 v3, 0x7f800001
	v_cndmask_b32_e64 v3, v3, v0, s[28:29]
; %bb.11759:                            ;   in Loop: Header=BB6_11257 Depth=3
	s_or_b64 exec, exec, s[38:39]
.LBB6_11760:                            ;   in Loop: Header=BB6_11257 Depth=3
	s_or_b64 exec, exec, s[42:43]
.LBB6_11761:                            ;   in Loop: Header=BB6_11257 Depth=3
	s_or_b64 exec, exec, s[40:41]
	v_bfe_u32 v14, v11, 24, 2
	v_and_b32_e32 v4, 0x7c000000, v11
	v_cmp_eq_u32_e64 s[28:29], s8, v4
	v_ffbh_u32_e32 v4, v14
	v_min_u32_e32 v36, 32, v4
	v_lshrrev_b32_e32 v0, 24, v11
	v_subrev_u32_e32 v4, 29, v36
	v_bfe_u32 v15, v11, 26, 5
	v_lshlrev_b64 v[4:5], v4, v[0:1]
	v_cmp_eq_u32_e64 s[40:41], 0, v15
	v_sub_u32_e32 v5, 30, v36
	v_and_b32_e32 v4, 3, v4
	v_cndmask_b32_e64 v5, v15, v5, s[40:41]
	v_and_b32_e32 v15, 0x80000000, v11
	v_cndmask_b32_e64 v4, v14, v4, s[40:41]
	v_lshl_add_u32 v5, v5, 23, v15
	v_cmp_lt_i64_e64 s[42:43], -1, v[10:11]
	v_lshl_or_b32 v4, v4, 21, v5
	v_cmp_eq_u32_e64 s[40:41], 0, v14
	v_mov_b32_e32 v5, 0xff800000
	v_mov_b32_e32 v14, 0x7f800000
	v_cndmask_b32_e64 v5, v5, v14, s[42:43]
	v_mov_b32_e32 v14, 0x7f800001
	v_add_u32_e32 v4, 0x38000000, v4
	v_cndmask_b32_e64 v5, v14, v5, s[40:41]
	v_cndmask_b32_e64 v4, v4, v5, s[28:29]
	v_cmp_ne_u32_e64 s[28:29], s44, v0
	v_bfrev_b32_e32 v0, 1
	v_cndmask_b32_e64 v0, v0, v4, s[28:29]
	v_cmp_lt_u64_e64 s[28:29], s[56:57], v[10:11]
	v_mov_b32_e32 v15, v34
	v_cndmask_b32_e64 v0, 0, v0, s[28:29]
	v_mul_f32_e32 v10, v0, v3
	v_and_b32_e32 v14, 0x7f800000, v10
	v_cmp_ne_u64_e64 s[28:29], s[76:77], v[14:15]
	v_and_b32_e32 v3, 0x7fffff, v10
	v_mov_b32_e32 v4, v34
                                        ; implicit-def: $vgpr5
	s_and_saveexec_b64 s[40:41], s[28:29]
	s_xor_b64 s[42:43], exec, s[40:41]
	s_cbranch_execz .LBB6_11775
; %bb.11762:                            ;   in Loop: Header=BB6_11257 Depth=3
	v_and_b32_e32 v14, 0x7fffffff, v10
	v_mov_b32_e32 v15, v34
	v_cmp_gt_u64_e64 s[28:29], s[78:79], v[14:15]
	v_and_b32_sdwa v0, v10, s44 dst_sel:DWORD dst_unused:UNUSED_PAD src0_sel:BYTE_3 src1_sel:DWORD
                                        ; implicit-def: $vgpr5
	s_and_saveexec_b64 s[40:41], s[28:29]
	s_xor_b64 s[38:39], exec, s[40:41]
	s_cbranch_execz .LBB6_11772
; %bb.11763:                            ;   in Loop: Header=BB6_11257 Depth=3
	v_mov_b32_e32 v5, 0
	v_cmp_ne_u32_e64 s[28:29], 0, v10
	s_and_saveexec_b64 s[48:49], s[28:29]
	s_cbranch_execz .LBB6_11771
; %bb.11764:                            ;   in Loop: Header=BB6_11257 Depth=3
	v_bfe_u32 v10, v10, 23, 8
	v_cmp_gt_u32_e64 s[40:41], s45, v10
	v_sub_u32_e32 v5, 0x71, v10
	v_cmp_eq_u32_e64 s[28:29], 0, v10
	v_cndmask_b32_e64 v5, 0, v5, s[40:41]
	v_mov_b32_e32 v11, 0x70
	v_cndmask_b32_e64 v11, v5, v11, s[28:29]
	v_or_b32_e32 v14, 0x800000, v3
	v_add_u32_e32 v5, 21, v11
	v_cndmask_b32_e64 v3, v14, v3, s[28:29]
	v_lshlrev_b64 v[14:15], v5, -1
	v_add_u32_e32 v5, 20, v11
	v_bfi_b32 v14, v14, 0, v3
	v_lshlrev_b64 v[36:37], v5, 1
	v_lshrrev_b64 v[3:4], v11, v[3:4]
	v_bfi_b32 v15, v15, 0, 0
	v_cmp_eq_u64_e64 s[40:41], v[14:15], v[36:37]
	v_mov_b32_e32 v5, v4
	v_mov_b32_e32 v4, v3
	s_and_saveexec_b64 s[50:51], s[40:41]
; %bb.11765:                            ;   in Loop: Header=BB6_11257 Depth=3
	v_bfe_u32 v4, v3, 21, 1
	v_add_co_u32_e64 v4, s[40:41], v3, v4
	v_add_co_u32_e64 v4, s[40:41], -1, v4
; %bb.11766:                            ;   in Loop: Header=BB6_11257 Depth=3
	s_or_b64 exec, exec, s[50:51]
	v_add_u32_e32 v5, 0xffffff81, v10
	v_mov_b32_e32 v10, 0xffffff82
	v_cndmask_b32_e64 v5, v5, v10, s[28:29]
	v_lshrrev_b32_e32 v10, 23, v3
	v_add3_u32 v11, v11, v5, v10
	v_add_u32_e32 v10, 14, v11
	v_and_b32_e32 v4, 0x1fffff, v4
	v_add_u32_e32 v3, v4, v3
	v_mov_b32_e32 v4, v34
	v_cmp_ne_u32_e64 s[28:29], 0, v10
                                        ; implicit-def: $vgpr5
	s_and_saveexec_b64 s[40:41], s[28:29]
	s_xor_b64 s[40:41], exec, s[40:41]
; %bb.11767:                            ;   in Loop: Header=BB6_11257 Depth=3
	v_cmp_lt_u64_e64 s[28:29], s[88:89], v[3:4]
	v_add_u32_e32 v5, 15, v11
	v_cndmask_b32_e64 v5, v10, v5, s[28:29]
	v_cndmask_b32_e64 v10, 0, 1, s[28:29]
	v_lshrrev_b64 v[3:4], v10, v[3:4]
; %bb.11768:                            ;   in Loop: Header=BB6_11257 Depth=3
	s_andn2_saveexec_b64 s[28:29], s[40:41]
; %bb.11769:                            ;   in Loop: Header=BB6_11257 Depth=3
	v_bfe_u32 v5, v3, 23, 1
; %bb.11770:                            ;   in Loop: Header=BB6_11257 Depth=3
	s_or_b64 exec, exec, s[28:29]
	v_lshrrev_b64 v[3:4], 21, v[3:4]
	v_cmp_gt_i32_e64 s[28:29], 32, v5
	v_cndmask_b32_e64 v4, 0, v4, s[28:29]
	v_cndmask_b32_e64 v3, 3, v3, s[28:29]
	v_cmp_eq_u64_e64 s[40:41], 0, v[3:4]
	v_min_i32_e32 v4, 31, v5
	v_lshlrev_b32_e32 v4, 2, v4
	v_cmp_eq_u32_e64 s[28:29], 0, v5
	v_and_b32_e32 v4, 0xfc, v4
	v_and_or_b32 v3, v3, 3, v4
	s_and_b64 s[28:29], s[28:29], s[40:41]
	v_cndmask_b32_e64 v3, v3, 0, s[28:29]
	v_or_b32_e32 v5, v3, v0
.LBB6_11771:                            ;   in Loop: Header=BB6_11257 Depth=3
	s_or_b64 exec, exec, s[48:49]
                                        ; implicit-def: $vgpr0
.LBB6_11772:                            ;   in Loop: Header=BB6_11257 Depth=3
	s_andn2_saveexec_b64 s[28:29], s[38:39]
; %bb.11773:                            ;   in Loop: Header=BB6_11257 Depth=3
	v_or_b32_e32 v5, 0x7b, v0
; %bb.11774:                            ;   in Loop: Header=BB6_11257 Depth=3
	s_or_b64 exec, exec, s[28:29]
                                        ; implicit-def: $vgpr10
                                        ; implicit-def: $vgpr3_vgpr4
.LBB6_11775:                            ;   in Loop: Header=BB6_11257 Depth=3
	s_andn2_saveexec_b64 s[40:41], s[42:43]
	s_cbranch_execz .LBB6_11256
; %bb.11776:                            ;   in Loop: Header=BB6_11257 Depth=3
	v_cmp_ne_u64_e64 s[28:29], 0, v[3:4]
                                        ; implicit-def: $vgpr5
	s_and_saveexec_b64 s[42:43], s[28:29]
	s_xor_b64 s[28:29], exec, s[42:43]
; %bb.11777:                            ;   in Loop: Header=BB6_11257 Depth=3
	v_or_b32_sdwa v5, v10, s83 dst_sel:DWORD dst_unused:UNUSED_PAD src0_sel:BYTE_3 src1_sel:DWORD
                                        ; implicit-def: $vgpr10
; %bb.11778:                            ;   in Loop: Header=BB6_11257 Depth=3
	s_andn2_saveexec_b64 s[42:43], s[28:29]
	s_cbranch_execz .LBB6_11255
; %bb.11779:                            ;   in Loop: Header=BB6_11257 Depth=3
	v_cmp_lt_i32_e64 s[28:29], -1, v10
	v_bfrev_b32_e32 v0, 0.5
	v_mov_b32_e32 v3, 0x7c
	v_cndmask_b32_e64 v5, v0, v3, s[28:29]
	s_branch .LBB6_11255
.LBB6_11780:                            ;   in Loop: Header=BB6_11257 Depth=3
	s_or_saveexec_b64 s[40:41], s[40:41]
	v_bfrev_b32_e32 v3, 1
	s_xor_b64 exec, exec, s[40:41]
	s_cbranch_execz .LBB6_11269
.LBB6_11781:                            ;   in Loop: Header=BB6_11257 Depth=3
	v_cmp_ne_u16_sdwa s[42:43], v8, v34 src0_sel:BYTE_0 src1_sel:DWORD
	s_andn2_b64 s[28:29], s[28:29], exec
	s_and_b64 s[42:43], s[42:43], exec
	v_mov_b32_e32 v3, 0
	s_or_b64 s[28:29], s[28:29], s[42:43]
	s_or_b64 exec, exec, s[40:41]
	s_and_saveexec_b64 s[38:39], s[28:29]
	s_cbranch_execnz .LBB6_11270
	s_branch .LBB6_11271
.LBB6_11782:                            ;   in Loop: Header=BB6_11257 Depth=3
	s_or_saveexec_b64 s[42:43], s[42:43]
	v_bfrev_b32_e32 v4, 1
	s_xor_b64 exec, exec, s[42:43]
	s_cbranch_execz .LBB6_11303
.LBB6_11783:                            ;   in Loop: Header=BB6_11257 Depth=3
	v_cmp_ne_u16_e64 s[28:29], 0, v3
	s_andn2_b64 s[40:41], s[40:41], exec
	s_and_b64 s[28:29], s[28:29], exec
	v_mov_b32_e32 v4, 0
	s_or_b64 s[40:41], s[40:41], s[28:29]
	s_or_b64 exec, exec, s[42:43]
	s_and_saveexec_b64 s[38:39], s[40:41]
	s_cbranch_execnz .LBB6_11304
	s_branch .LBB6_11305
.LBB6_11784:                            ;   in Loop: Header=BB6_11257 Depth=3
	s_or_saveexec_b64 s[40:41], s[40:41]
	v_bfrev_b32_e32 v4, 1
	s_xor_b64 exec, exec, s[40:41]
	s_cbranch_execz .LBB6_11337
.LBB6_11785:                            ;   in Loop: Header=BB6_11257 Depth=3
	v_cmp_ne_u16_sdwa s[42:43], v0, v34 src0_sel:BYTE_0 src1_sel:DWORD
	s_andn2_b64 s[28:29], s[28:29], exec
	s_and_b64 s[42:43], s[42:43], exec
	v_mov_b32_e32 v4, 0
	s_or_b64 s[28:29], s[28:29], s[42:43]
	s_or_b64 exec, exec, s[40:41]
	s_and_saveexec_b64 s[38:39], s[28:29]
	s_cbranch_execnz .LBB6_11338
	s_branch .LBB6_11339
.LBB6_11786:                            ;   in Loop: Header=BB6_11257 Depth=3
	s_or_saveexec_b64 s[42:43], s[42:43]
	v_bfrev_b32_e32 v4, 1
	s_xor_b64 exec, exec, s[42:43]
	s_cbranch_execz .LBB6_11435
.LBB6_11787:                            ;   in Loop: Header=BB6_11257 Depth=3
	v_cmp_ne_u16_e64 s[28:29], 0, v3
	s_andn2_b64 s[40:41], s[40:41], exec
	s_and_b64 s[28:29], s[28:29], exec
	v_mov_b32_e32 v4, 0
	s_or_b64 s[40:41], s[40:41], s[28:29]
	s_or_b64 exec, exec, s[42:43]
	s_and_saveexec_b64 s[38:39], s[40:41]
	s_cbranch_execnz .LBB6_11436
	s_branch .LBB6_11437
.LBB6_11788:                            ;   in Loop: Header=BB6_11257 Depth=3
	s_or_saveexec_b64 s[40:41], s[40:41]
	v_bfrev_b32_e32 v4, 1
	s_xor_b64 exec, exec, s[40:41]
	s_cbranch_execz .LBB6_11469
.LBB6_11789:                            ;   in Loop: Header=BB6_11257 Depth=3
	v_cmp_ne_u16_sdwa s[42:43], v0, v34 src0_sel:BYTE_0 src1_sel:DWORD
	s_andn2_b64 s[28:29], s[28:29], exec
	s_and_b64 s[42:43], s[42:43], exec
	v_mov_b32_e32 v4, 0
	s_or_b64 s[28:29], s[28:29], s[42:43]
	s_or_b64 exec, exec, s[40:41]
	s_and_saveexec_b64 s[38:39], s[28:29]
	s_cbranch_execnz .LBB6_11470
	s_branch .LBB6_11471
.LBB6_11790:                            ;   in Loop: Header=BB6_11257 Depth=3
	s_or_saveexec_b64 s[40:41], s[40:41]
	v_bfrev_b32_e32 v3, 1
	s_xor_b64 exec, exec, s[40:41]
	s_cbranch_execz .LBB6_11531
.LBB6_11791:                            ;   in Loop: Header=BB6_11257 Depth=3
	v_cmp_ne_u16_sdwa s[42:43], v10, v34 src0_sel:BYTE_0 src1_sel:DWORD
	s_andn2_b64 s[28:29], s[28:29], exec
	s_and_b64 s[42:43], s[42:43], exec
	v_mov_b32_e32 v3, 0
	s_or_b64 s[28:29], s[28:29], s[42:43]
	s_or_b64 exec, exec, s[40:41]
	s_and_saveexec_b64 s[38:39], s[28:29]
	s_cbranch_execnz .LBB6_11532
	s_branch .LBB6_11533
.LBB6_11792:                            ;   in Loop: Header=BB6_11257 Depth=3
	s_or_saveexec_b64 s[42:43], s[42:43]
	v_bfrev_b32_e32 v4, 1
	s_xor_b64 exec, exec, s[42:43]
	s_cbranch_execz .LBB6_11565
.LBB6_11793:                            ;   in Loop: Header=BB6_11257 Depth=3
	v_cmp_ne_u16_e64 s[28:29], 0, v3
	s_andn2_b64 s[40:41], s[40:41], exec
	s_and_b64 s[28:29], s[28:29], exec
	v_mov_b32_e32 v4, 0
	s_or_b64 s[40:41], s[40:41], s[28:29]
	s_or_b64 exec, exec, s[42:43]
	s_and_saveexec_b64 s[38:39], s[40:41]
	s_cbranch_execnz .LBB6_11566
	s_branch .LBB6_11567
.LBB6_11794:                            ;   in Loop: Header=BB6_11257 Depth=3
	s_or_saveexec_b64 s[40:41], s[40:41]
	v_bfrev_b32_e32 v4, 1
	s_xor_b64 exec, exec, s[40:41]
	s_cbranch_execz .LBB6_11599
.LBB6_11795:                            ;   in Loop: Header=BB6_11257 Depth=3
	v_cmp_ne_u16_sdwa s[42:43], v0, v34 src0_sel:BYTE_0 src1_sel:DWORD
	s_andn2_b64 s[28:29], s[28:29], exec
	s_and_b64 s[42:43], s[42:43], exec
	v_mov_b32_e32 v4, 0
	s_or_b64 s[28:29], s[28:29], s[42:43]
	s_or_b64 exec, exec, s[40:41]
	s_and_saveexec_b64 s[38:39], s[28:29]
	s_cbranch_execnz .LBB6_11600
	s_branch .LBB6_11601
.LBB6_11796:                            ;   in Loop: Header=BB6_11257 Depth=3
	s_or_saveexec_b64 s[42:43], s[42:43]
	v_bfrev_b32_e32 v4, 1
	s_xor_b64 exec, exec, s[42:43]
	s_cbranch_execz .LBB6_11697
.LBB6_11797:                            ;   in Loop: Header=BB6_11257 Depth=3
	v_cmp_ne_u16_e64 s[28:29], 0, v3
	s_andn2_b64 s[40:41], s[40:41], exec
	s_and_b64 s[28:29], s[28:29], exec
	v_mov_b32_e32 v4, 0
	s_or_b64 s[40:41], s[40:41], s[28:29]
	s_or_b64 exec, exec, s[42:43]
	s_and_saveexec_b64 s[38:39], s[40:41]
	s_cbranch_execnz .LBB6_11698
	s_branch .LBB6_11699
.LBB6_11798:                            ;   in Loop: Header=BB6_11257 Depth=3
	s_or_saveexec_b64 s[40:41], s[40:41]
	v_bfrev_b32_e32 v4, 1
	s_xor_b64 exec, exec, s[40:41]
	s_cbranch_execz .LBB6_11731
.LBB6_11799:                            ;   in Loop: Header=BB6_11257 Depth=3
	v_cmp_ne_u16_sdwa s[42:43], v0, v34 src0_sel:BYTE_0 src1_sel:DWORD
	s_andn2_b64 s[28:29], s[28:29], exec
	s_and_b64 s[42:43], s[42:43], exec
	v_mov_b32_e32 v4, 0
	s_or_b64 s[28:29], s[28:29], s[42:43]
	s_or_b64 exec, exec, s[40:41]
	s_and_saveexec_b64 s[38:39], s[28:29]
	s_cbranch_execnz .LBB6_11732
	s_branch .LBB6_11733
.LBB6_11800:                            ;   in Loop: Header=BB6_4663 Depth=2
	s_or_b64 exec, exec, s[36:37]
.LBB6_11801:                            ;   in Loop: Header=BB6_4663 Depth=2
	s_or_b64 exec, exec, s[34:35]
	buffer_load_dword v0, off, s[0:3], s33 offset:432 ; 4-byte Folded Reload
	v_mov_b32_e32 v4, 0
	s_mov_b64 s[42:43], 0
                                        ; implicit-def: $vgpr5
                                        ; implicit-def: $vgpr1
	s_waitcnt vmcnt(0)
	v_and_b32_e32 v0, 15, v0
	v_cndmask_b32_e32 v3, v26, v0, vcc
	v_cmp_ne_u32_e64 s[28:29], 0, v3
	s_and_saveexec_b64 s[40:41], s[28:29]
	s_cbranch_execz .LBB6_11803
; %bb.11802:                            ;   in Loop: Header=BB6_4663 Depth=2
	v_sub_u32_e32 v0, v26, v0
	v_cndmask_b32_e32 v0, 0, v0, vcc
	v_cmp_lt_i32_e32 vcc, 0, v25
	v_add3_u32 v4, v24, v22, v0
	v_cndmask_b32_e32 v0, 0, v39, vcc
	v_sub_u32_e32 v0, v0, v25
	v_lshl_add_u32 v5, v0, 6, v23
	v_ashrrev_i32_e32 v0, 31, v5
	v_lshrrev_b32_e32 v0, 26, v0
	v_add_u32_e32 v0, v5, v0
	v_ashrrev_i32_e32 v1, 6, v0
	s_mov_b64 s[42:43], exec
.LBB6_11803:                            ;   in Loop: Header=BB6_4663 Depth=2
	s_or_b64 exec, exec, s[40:41]
	s_and_b64 s[28:29], s[42:43], exec
.LBB6_11804:                            ;   in Loop: Header=BB6_4663 Depth=2
	s_or_b64 exec, exec, s[30:31]
	s_and_saveexec_b64 s[40:41], s[28:29]
	s_cbranch_execz .LBB6_13133
.LBB6_11805:                            ;   in Loop: Header=BB6_4663 Depth=2
	s_waitcnt vmcnt(0)
	v_ashrrev_i32_e32 v0, 31, v3
	v_lshrrev_b32_e32 v0, 21, v0
	v_add_u32_e32 v0, v3, v0
	v_ashrrev_i32_e32 v2, 11, v0
	v_sub_u32_e32 v0, v2, v1
	v_cmp_lt_i32_e32 vcc, 0, v0
	s_and_saveexec_b64 s[42:43], vcc
	s_cbranch_execz .LBB6_13089
; %bb.11806:                            ;   in Loop: Header=BB6_4663 Depth=2
	buffer_store_dword v2, off, s[0:3], s33 offset:400 ; 4-byte Folded Spill
	v_ashrrev_i32_e32 v2, 31, v5
	v_lshrrev_b32_e32 v2, 26, v2
	v_add_u32_e32 v2, v5, v2
	v_and_b32_e32 v2, 0xffffffc0, v2
	v_sub_u32_e32 v2, v5, v2
	v_lshlrev_b32_e32 v1, 11, v1
	buffer_store_dword v5, off, s[0:3], s33 offset:392 ; 4-byte Folded Spill
	buffer_store_dword v4, off, s[0:3], s33 offset:384 ; 4-byte Folded Spill
	v_add3_u32 v6, v4, v2, v1
	s_trap 2
	ds_read_b64 v[4:5], v0
	buffer_load_dword v1, off, s[0:3], s33 offset:452 ; 4-byte Folded Reload
	buffer_load_dword v2, off, s[0:3], s33 offset:456 ; 4-byte Folded Reload
	;; [unrolled: 1-line block ×4, first 2 shown]
	v_ashrrev_i32_e32 v7, 31, v6
	s_mov_b64 s[30:31], 0
	s_waitcnt vmcnt(0)
	v_add_co_u32_e32 v1, vcc, v6, v1
	v_addc_co_u32_e32 v2, vcc, v7, v2, vcc
	s_waitcnt lgkmcnt(0)
	v_add_co_u32_e32 v4, vcc, v4, v6
	v_addc_co_u32_e32 v5, vcc, v5, v7, vcc
	v_add_co_u32_e32 v8, vcc, 0x7c0, v8
	v_addc_co_u32_e32 v9, vcc, 0, v9, vcc
	;; [unrolled: 2-line block ×3, first 2 shown]
	s_branch .LBB6_11809
.LBB6_11807:                            ;   in Loop: Header=BB6_11809 Depth=3
	s_or_b64 exec, exec, s[34:35]
.LBB6_11808:                            ;   in Loop: Header=BB6_11809 Depth=3
	s_or_b64 exec, exec, s[28:29]
	v_add_co_u32_e32 v6, vcc, 0xfffff840, v8
	v_addc_co_u32_e32 v7, vcc, -1, v9, vcc
	flat_store_byte v[6:7], v26 glc slc
	v_add_co_u32_e32 v6, vcc, 0xfffff880, v8
	v_addc_co_u32_e32 v7, vcc, -1, v9, vcc
	flat_store_byte v[6:7], v24 glc slc
	;; [unrolled: 3-line block ×31, first 2 shown]
	flat_store_byte v[8:9], v10 glc slc
	buffer_load_dword v6, off, s[0:3], s33 offset:272 ; 4-byte Folded Reload
	s_nop 0
	buffer_load_dword v39, off, s[0:3], s33 offset:100 ; 4-byte Folded Reload
	s_waitcnt vmcnt(0)
	v_add_co_u32_e32 v1, vcc, v1, v6
	v_addc_co_u32_e32 v2, vcc, 0, v2, vcc
	v_add_co_u32_e32 v4, vcc, v4, v6
	v_addc_co_u32_e32 v5, vcc, 0, v5, vcc
	v_sub_u32_e32 v0, v0, v39
	v_cmp_gt_i32_e32 vcc, 1, v0
	s_or_b64 s[30:31], vcc, s[30:31]
	v_add_co_u32_e32 v8, vcc, v8, v6
	v_addc_co_u32_e32 v9, vcc, 0, v9, vcc
	s_andn2_b64 exec, exec, s[30:31]
	s_cbranch_execz .LBB6_13088
.LBB6_11809:                            ;   Parent Loop BB6_47 Depth=1
                                        ;     Parent Loop BB6_4663 Depth=2
                                        ; =>    This Inner Loop Header: Depth=3
	flat_load_sbyte v25, v[1:2] glc slc
	flat_load_sbyte v23, v[1:2] offset:64 glc slc
	flat_load_sbyte v28, v[1:2] offset:128 glc slc
	;; [unrolled: 1-line block ×20, first 2 shown]
	v_mov_b32_e32 v26, 0
	s_waitcnt vmcnt(0) lgkmcnt(0)
	buffer_store_dword v6, off, s[0:3], s33 offset:376 ; 4-byte Folded Spill
	s_nop 0
	buffer_store_dword v7, off, s[0:3], s33 offset:380 ; 4-byte Folded Spill
	flat_load_sbyte v6, v[1:2] offset:1344 glc slc
	v_cmp_ne_u16_e32 vcc, 0, v25
	s_waitcnt vmcnt(0) lgkmcnt(0)
	buffer_store_dword v6, off, s[0:3], s33 offset:264 ; 4-byte Folded Spill
	s_nop 0
	buffer_store_dword v7, off, s[0:3], s33 offset:268 ; 4-byte Folded Spill
	flat_load_sbyte v6, v[1:2] offset:1408 glc slc
	s_waitcnt vmcnt(0) lgkmcnt(0)
	buffer_store_dword v6, off, s[0:3], s33 offset:248 ; 4-byte Folded Spill
	s_nop 0
	buffer_store_dword v7, off, s[0:3], s33 offset:252 ; 4-byte Folded Spill
	flat_load_sbyte v6, v[1:2] offset:1472 glc slc
	;; [unrolled: 5-line block ×3, first 2 shown]
	v_mov_b32_e32 v7, 0
	s_waitcnt vmcnt(0) lgkmcnt(0)
	buffer_store_dword v6, off, s[0:3], s33 offset:216 ; 4-byte Folded Spill
	s_nop 0
	buffer_store_dword v7, off, s[0:3], s33 offset:220 ; 4-byte Folded Spill
	flat_load_sbyte v6, v[1:2] offset:1600 glc slc
	s_waitcnt vmcnt(0) lgkmcnt(0)
	buffer_store_dword v6, off, s[0:3], s33 offset:200 ; 4-byte Folded Spill
	s_nop 0
	buffer_store_dword v7, off, s[0:3], s33 offset:204 ; 4-byte Folded Spill
	flat_load_sbyte v6, v[1:2] offset:1664 glc slc
	;; [unrolled: 5-line block ×7, first 2 shown]
	s_waitcnt vmcnt(0) lgkmcnt(0)
	buffer_store_dword v6, off, s[0:3], s33 offset:104 ; 4-byte Folded Spill
	s_nop 0
	buffer_store_dword v7, off, s[0:3], s33 offset:108 ; 4-byte Folded Spill
	flat_load_sbyte v24, v[4:5] glc slc
	flat_load_sbyte v22, v[4:5] offset:64 glc slc
	flat_load_sbyte v21, v[4:5] offset:128 glc slc
	;; [unrolled: 1-line block ×21, first 2 shown]
	s_waitcnt vmcnt(0) lgkmcnt(0)
	buffer_store_dword v29, off, s[0:3], s33 offset:256 ; 4-byte Folded Spill
	s_nop 0
	buffer_store_dword v30, off, s[0:3], s33 offset:260 ; 4-byte Folded Spill
	flat_load_sbyte v29, v[4:5] offset:1408 glc slc
	s_waitcnt vmcnt(0) lgkmcnt(0)
	buffer_store_dword v29, off, s[0:3], s33 offset:240 ; 4-byte Folded Spill
	s_nop 0
	buffer_store_dword v30, off, s[0:3], s33 offset:244 ; 4-byte Folded Spill
	flat_load_sbyte v29, v[4:5] offset:1472 glc slc
	;; [unrolled: 5-line block ×10, first 2 shown]
	s_waitcnt vmcnt(0) lgkmcnt(0)
	buffer_store_dword v29, off, s[0:3], s33 offset:92 ; 4-byte Folded Spill
	s_nop 0
	buffer_store_dword v30, off, s[0:3], s33 offset:96 ; 4-byte Folded Spill
	s_and_saveexec_b64 s[28:29], vcc
	s_cbranch_execz .LBB6_11817
; %bb.11810:                            ;   in Loop: Header=BB6_11809 Depth=3
	v_cmp_ne_u16_e32 vcc, s80, v25
	v_bfrev_b32_e32 v26, 1
	s_and_saveexec_b64 s[34:35], vcc
	s_cbranch_execz .LBB6_11816
; %bb.11811:                            ;   in Loop: Header=BB6_11809 Depth=3
	v_and_b32_e32 v26, 0x7c, v25
	v_and_b32_e32 v29, 3, v25
	v_cmp_ne_u32_e32 vcc, s81, v26
                                        ; implicit-def: $vgpr26
	s_and_saveexec_b64 s[36:37], vcc
	s_xor_b64 s[36:37], exec, s[36:37]
	s_cbranch_execz .LBB6_11813
; %bb.11812:                            ;   in Loop: Header=BB6_11809 Depth=3
	v_and_b32_e32 v30, 0xff, v25
	v_bfe_u32 v33, v30, 2, 5
	v_ffbh_u32_e32 v30, v29
	v_mov_b32_e32 v36, v35
	v_min_u32_e32 v35, 32, v30
	v_mov_b32_e32 v26, v34
	v_subrev_u32_e32 v30, 29, v35
	v_lshlrev_b64 v[30:31], v30, v[25:26]
	v_sub_u32_e32 v26, 30, v35
	v_cmp_eq_u32_e32 vcc, 0, v33
	v_and_b32_e32 v30, 3, v30
	v_cndmask_b32_e32 v26, v33, v26, vcc
	v_and_b32_sdwa v25, sext(v25), s82 dst_sel:DWORD dst_unused:UNUSED_PAD src0_sel:WORD_0 src1_sel:DWORD
	v_cndmask_b32_e32 v29, v29, v30, vcc
	v_lshl_add_u32 v25, v26, 23, v25
	v_lshl_or_b32 v25, v29, 21, v25
	v_mov_b32_e32 v35, v36
	v_add_u32_e32 v26, 0x38000000, v25
                                        ; implicit-def: $vgpr29
                                        ; implicit-def: $vgpr25
.LBB6_11813:                            ;   in Loop: Header=BB6_11809 Depth=3
	s_andn2_saveexec_b64 s[36:37], s[36:37]
; %bb.11814:                            ;   in Loop: Header=BB6_11809 Depth=3
	v_cmp_lt_i16_e32 vcc, -1, v25
	v_mov_b32_e32 v25, 0xff800000
	v_mov_b32_e32 v26, 0x7f800000
	v_cndmask_b32_e32 v25, v25, v26, vcc
	v_cmp_eq_u32_e32 vcc, 0, v29
	v_mov_b32_e32 v26, 0x7f800001
	v_cndmask_b32_e32 v26, v26, v25, vcc
; %bb.11815:                            ;   in Loop: Header=BB6_11809 Depth=3
	s_or_b64 exec, exec, s[36:37]
.LBB6_11816:                            ;   in Loop: Header=BB6_11809 Depth=3
	s_or_b64 exec, exec, s[34:35]
.LBB6_11817:                            ;   in Loop: Header=BB6_11809 Depth=3
	s_or_b64 exec, exec, s[28:29]
	v_cmp_ne_u16_e32 vcc, 0, v24
	s_and_saveexec_b64 s[28:29], vcc
	s_cbranch_execz .LBB6_11825
; %bb.11818:                            ;   in Loop: Header=BB6_11809 Depth=3
	v_cmp_ne_u16_e32 vcc, s80, v24
	v_bfrev_b32_e32 v7, 1
	s_and_saveexec_b64 s[34:35], vcc
	s_cbranch_execz .LBB6_11824
; %bb.11819:                            ;   in Loop: Header=BB6_11809 Depth=3
	v_and_b32_e32 v7, 0x7c, v24
	v_and_b32_e32 v29, 3, v24
	v_cmp_ne_u32_e32 vcc, s81, v7
                                        ; implicit-def: $vgpr7
	s_and_saveexec_b64 s[36:37], vcc
	s_xor_b64 s[36:37], exec, s[36:37]
	s_cbranch_execz .LBB6_11821
; %bb.11820:                            ;   in Loop: Header=BB6_11809 Depth=3
	v_ffbh_u32_e32 v30, v29
	v_min_u32_e32 v33, 32, v30
	v_and_b32_e32 v7, 0xff, v24
	v_mov_b32_e32 v25, v34
	v_subrev_u32_e32 v30, 29, v33
	v_bfe_u32 v7, v7, 2, 5
	v_lshlrev_b64 v[30:31], v30, v[24:25]
	v_sub_u32_e32 v25, 30, v33
	v_cmp_eq_u32_e32 vcc, 0, v7
	v_and_b32_e32 v30, 3, v30
	v_cndmask_b32_e32 v7, v7, v25, vcc
	v_and_b32_sdwa v24, sext(v24), s82 dst_sel:DWORD dst_unused:UNUSED_PAD src0_sel:WORD_0 src1_sel:DWORD
	v_cndmask_b32_e32 v25, v29, v30, vcc
	v_lshl_add_u32 v7, v7, 23, v24
	v_lshl_or_b32 v7, v25, 21, v7
	v_add_u32_e32 v7, 0x38000000, v7
                                        ; implicit-def: $vgpr29
                                        ; implicit-def: $vgpr24
.LBB6_11821:                            ;   in Loop: Header=BB6_11809 Depth=3
	s_andn2_saveexec_b64 s[36:37], s[36:37]
; %bb.11822:                            ;   in Loop: Header=BB6_11809 Depth=3
	v_cmp_lt_i16_e32 vcc, -1, v24
	v_mov_b32_e32 v7, 0xff800000
	v_mov_b32_e32 v24, 0x7f800000
	v_cndmask_b32_e32 v7, v7, v24, vcc
	v_cmp_eq_u32_e32 vcc, 0, v29
	v_mov_b32_e32 v24, 0x7f800001
	v_cndmask_b32_e32 v7, v24, v7, vcc
; %bb.11823:                            ;   in Loop: Header=BB6_11809 Depth=3
	s_or_b64 exec, exec, s[36:37]
.LBB6_11824:                            ;   in Loop: Header=BB6_11809 Depth=3
	s_or_b64 exec, exec, s[34:35]
.LBB6_11825:                            ;   in Loop: Header=BB6_11809 Depth=3
	s_or_b64 exec, exec, s[28:29]
	v_mul_f32_e32 v29, v26, v7
	v_and_b32_e32 v25, 0x7f800000, v29
	v_mov_b32_e32 v26, v34
	v_cmp_ne_u64_e32 vcc, s[76:77], v[25:26]
	v_and_b32_e32 v24, 0x7fffff, v29
	v_mov_b32_e32 v25, v34
                                        ; implicit-def: $vgpr26
	s_and_saveexec_b64 s[28:29], vcc
	s_xor_b64 s[34:35], exec, s[28:29]
	s_cbranch_execz .LBB6_11843
; %bb.11826:                            ;   in Loop: Header=BB6_11809 Depth=3
	v_and_b32_e32 v30, 0x7fffffff, v29
	v_mov_b32_e32 v31, v34
	v_cmp_gt_u64_e32 vcc, s[78:79], v[30:31]
	v_and_b32_sdwa v7, v29, s44 dst_sel:DWORD dst_unused:UNUSED_PAD src0_sel:BYTE_3 src1_sel:DWORD
                                        ; implicit-def: $vgpr26
	s_and_saveexec_b64 s[28:29], vcc
	s_xor_b64 s[36:37], exec, s[28:29]
	s_cbranch_execz .LBB6_11840
; %bb.11827:                            ;   in Loop: Header=BB6_11809 Depth=3
	v_cmp_ne_u32_e32 vcc, 0, v29
	v_mov_b32_e32 v26, 0
	s_and_saveexec_b64 s[38:39], vcc
	s_cbranch_execz .LBB6_11839
; %bb.11828:                            ;   in Loop: Header=BB6_11809 Depth=3
	v_bfe_u32 v29, v29, 23, 8
	v_cmp_gt_u32_e64 s[28:29], s45, v29
	v_sub_u32_e32 v26, 0x71, v29
	v_cmp_eq_u32_e32 vcc, 0, v29
	v_cndmask_b32_e64 v26, 0, v26, s[28:29]
	v_mov_b32_e32 v31, 0x70
	v_cndmask_b32_e32 v33, v26, v31, vcc
	v_or_b32_e32 v30, 0x800000, v24
	v_add_u32_e32 v26, 21, v33
	v_cndmask_b32_e32 v24, v30, v24, vcc
	v_lshlrev_b64 v[30:31], v26, -1
	v_add_u32_e32 v26, 20, v33
	v_mov_b32_e32 v41, v35
	v_bfi_b32 v30, v30, 0, v24
	v_lshlrev_b64 v[35:36], v26, 1
	v_lshrrev_b64 v[24:25], v33, v[24:25]
	v_bfi_b32 v31, v31, 0, 0
	v_cmp_eq_u64_e64 s[28:29], v[30:31], v[35:36]
	v_mov_b32_e32 v26, v25
	v_mov_b32_e32 v25, v24
	s_and_saveexec_b64 s[48:49], s[28:29]
; %bb.11829:                            ;   in Loop: Header=BB6_11809 Depth=3
	v_bfe_u32 v25, v24, 21, 1
	v_add_co_u32_e64 v25, s[28:29], v24, v25
	v_add_co_u32_e64 v25, s[28:29], -1, v25
; %bb.11830:                            ;   in Loop: Header=BB6_11809 Depth=3
	s_or_b64 exec, exec, s[48:49]
	v_add_u32_e32 v26, 0xffffff81, v29
	v_mov_b32_e32 v29, 0xffffff82
	v_cndmask_b32_e32 v26, v26, v29, vcc
	v_lshrrev_b32_e32 v29, 23, v24
	v_add3_u32 v33, v33, v26, v29
	v_add_u32_e32 v26, 14, v33
	v_and_b32_e32 v25, 0x1fffff, v25
	v_add_u32_e32 v24, v25, v24
	v_mov_b32_e32 v25, v34
	v_cmp_ne_u32_e32 vcc, 0, v26
                                        ; implicit-def: $vgpr29
	s_and_saveexec_b64 s[28:29], vcc
	s_xor_b64 s[28:29], exec, s[28:29]
; %bb.11831:                            ;   in Loop: Header=BB6_11809 Depth=3
	v_cmp_lt_u64_e32 vcc, s[88:89], v[24:25]
	v_add_u32_e32 v29, 15, v33
	v_cndmask_b32_e32 v29, v26, v29, vcc
	v_cndmask_b32_e64 v26, 0, 1, vcc
	v_lshrrev_b64 v[24:25], v26, v[24:25]
; %bb.11832:                            ;   in Loop: Header=BB6_11809 Depth=3
	s_or_saveexec_b64 s[28:29], s[28:29]
	v_mov_b32_e32 v35, v41
	s_xor_b64 exec, exec, s[28:29]
; %bb.11833:                            ;   in Loop: Header=BB6_11809 Depth=3
	v_bfe_u32 v29, v24, 23, 1
; %bb.11834:                            ;   in Loop: Header=BB6_11809 Depth=3
	s_or_b64 exec, exec, s[28:29]
	v_lshrrev_b64 v[24:25], 21, v[24:25]
	v_cmp_gt_i32_e32 vcc, 32, v29
	v_cndmask_b32_e32 v25, 0, v25, vcc
	v_cndmask_b32_e32 v24, 3, v24, vcc
	v_cmp_ne_u64_e32 vcc, 0, v[24:25]
	v_cmp_ne_u32_e64 s[28:29], 0, v29
	s_or_b64 s[28:29], s[28:29], vcc
                                        ; implicit-def: $vgpr26
	s_and_saveexec_b64 vcc, s[28:29]
	s_xor_b64 s[28:29], exec, vcc
; %bb.11835:                            ;   in Loop: Header=BB6_11809 Depth=3
	v_min_i32_e32 v25, 31, v29
	v_lshl_or_b32 v7, v25, 2, v7
	v_and_or_b32 v26, v24, 3, v7
                                        ; implicit-def: $vgpr7
; %bb.11836:                            ;   in Loop: Header=BB6_11809 Depth=3
	s_andn2_saveexec_b64 s[28:29], s[28:29]
; %bb.11837:                            ;   in Loop: Header=BB6_11809 Depth=3
	v_mov_b32_e32 v26, v7
; %bb.11838:                            ;   in Loop: Header=BB6_11809 Depth=3
	s_or_b64 exec, exec, s[28:29]
.LBB6_11839:                            ;   in Loop: Header=BB6_11809 Depth=3
	s_or_b64 exec, exec, s[38:39]
                                        ; implicit-def: $vgpr7
.LBB6_11840:                            ;   in Loop: Header=BB6_11809 Depth=3
	s_andn2_saveexec_b64 s[28:29], s[36:37]
; %bb.11841:                            ;   in Loop: Header=BB6_11809 Depth=3
	v_or_b32_e32 v26, 0x7b, v7
; %bb.11842:                            ;   in Loop: Header=BB6_11809 Depth=3
	s_or_b64 exec, exec, s[28:29]
                                        ; implicit-def: $vgpr29
                                        ; implicit-def: $vgpr24_vgpr25
.LBB6_11843:                            ;   in Loop: Header=BB6_11809 Depth=3
	s_andn2_saveexec_b64 s[28:29], s[34:35]
	s_cbranch_execz .LBB6_11849
; %bb.11844:                            ;   in Loop: Header=BB6_11809 Depth=3
	v_cmp_ne_u64_e32 vcc, 0, v[24:25]
                                        ; implicit-def: $vgpr26
	s_and_saveexec_b64 s[34:35], vcc
	s_xor_b64 vcc, exec, s[34:35]
; %bb.11845:                            ;   in Loop: Header=BB6_11809 Depth=3
	v_or_b32_sdwa v26, v29, s83 dst_sel:DWORD dst_unused:UNUSED_PAD src0_sel:BYTE_3 src1_sel:DWORD
                                        ; implicit-def: $vgpr29
; %bb.11846:                            ;   in Loop: Header=BB6_11809 Depth=3
	s_andn2_saveexec_b64 s[34:35], vcc
; %bb.11847:                            ;   in Loop: Header=BB6_11809 Depth=3
	v_cmp_lt_i32_e32 vcc, -1, v29
	v_mov_b32_e32 v7, 0x7c
	v_cndmask_b32_e32 v26, -4, v7, vcc
; %bb.11848:                            ;   in Loop: Header=BB6_11809 Depth=3
	s_or_b64 exec, exec, s[34:35]
.LBB6_11849:                            ;   in Loop: Header=BB6_11809 Depth=3
	s_or_b64 exec, exec, s[28:29]
	v_cmp_ne_u16_e32 vcc, 0, v23
	v_mov_b32_e32 v7, 0
	v_mov_b32_e32 v24, 0
	s_and_saveexec_b64 s[28:29], vcc
	s_cbranch_execz .LBB6_11857
; %bb.11850:                            ;   in Loop: Header=BB6_11809 Depth=3
	v_cmp_ne_u16_e32 vcc, s80, v23
	v_bfrev_b32_e32 v24, 1
	s_and_saveexec_b64 s[34:35], vcc
	s_cbranch_execz .LBB6_11856
; %bb.11851:                            ;   in Loop: Header=BB6_11809 Depth=3
	v_and_b32_e32 v24, 0x7c, v23
	v_and_b32_e32 v25, 3, v23
	v_cmp_ne_u32_e32 vcc, s81, v24
                                        ; implicit-def: $vgpr24
	s_and_saveexec_b64 s[36:37], vcc
	s_xor_b64 s[36:37], exec, s[36:37]
	s_cbranch_execz .LBB6_11853
; %bb.11852:                            ;   in Loop: Header=BB6_11809 Depth=3
	v_and_b32_e32 v29, 0xff, v23
	v_bfe_u32 v31, v29, 2, 5
	v_ffbh_u32_e32 v29, v25
	v_min_u32_e32 v33, 32, v29
	v_mov_b32_e32 v24, v34
	v_subrev_u32_e32 v29, 29, v33
	v_lshlrev_b64 v[29:30], v29, v[23:24]
	v_sub_u32_e32 v24, 30, v33
	v_cmp_eq_u32_e32 vcc, 0, v31
	v_and_b32_e32 v29, 3, v29
	v_cndmask_b32_e32 v24, v31, v24, vcc
	v_and_b32_sdwa v23, sext(v23), s82 dst_sel:DWORD dst_unused:UNUSED_PAD src0_sel:WORD_0 src1_sel:DWORD
	v_cndmask_b32_e32 v25, v25, v29, vcc
	v_lshl_add_u32 v23, v24, 23, v23
	v_lshl_or_b32 v23, v25, 21, v23
	v_add_u32_e32 v24, 0x38000000, v23
                                        ; implicit-def: $vgpr25
                                        ; implicit-def: $vgpr23
.LBB6_11853:                            ;   in Loop: Header=BB6_11809 Depth=3
	s_andn2_saveexec_b64 s[36:37], s[36:37]
; %bb.11854:                            ;   in Loop: Header=BB6_11809 Depth=3
	v_cmp_lt_i16_e32 vcc, -1, v23
	v_mov_b32_e32 v23, 0xff800000
	v_mov_b32_e32 v24, 0x7f800000
	v_cndmask_b32_e32 v23, v23, v24, vcc
	v_cmp_eq_u32_e32 vcc, 0, v25
	v_mov_b32_e32 v24, 0x7f800001
	v_cndmask_b32_e32 v24, v24, v23, vcc
; %bb.11855:                            ;   in Loop: Header=BB6_11809 Depth=3
	s_or_b64 exec, exec, s[36:37]
.LBB6_11856:                            ;   in Loop: Header=BB6_11809 Depth=3
	s_or_b64 exec, exec, s[34:35]
.LBB6_11857:                            ;   in Loop: Header=BB6_11809 Depth=3
	s_or_b64 exec, exec, s[28:29]
	v_cmp_ne_u16_e32 vcc, 0, v22
	s_and_saveexec_b64 s[28:29], vcc
	s_cbranch_execz .LBB6_11865
; %bb.11858:                            ;   in Loop: Header=BB6_11809 Depth=3
	v_cmp_ne_u16_e32 vcc, s80, v22
	v_bfrev_b32_e32 v7, 1
	s_and_saveexec_b64 s[34:35], vcc
	s_cbranch_execz .LBB6_11864
; %bb.11859:                            ;   in Loop: Header=BB6_11809 Depth=3
	v_and_b32_e32 v7, 0x7c, v22
	v_and_b32_e32 v25, 3, v22
	v_cmp_ne_u32_e32 vcc, s81, v7
                                        ; implicit-def: $vgpr7
	s_and_saveexec_b64 s[36:37], vcc
	s_xor_b64 s[36:37], exec, s[36:37]
	s_cbranch_execz .LBB6_11861
; %bb.11860:                            ;   in Loop: Header=BB6_11809 Depth=3
	v_ffbh_u32_e32 v29, v25
	v_min_u32_e32 v31, 32, v29
	v_and_b32_e32 v7, 0xff, v22
	v_mov_b32_e32 v23, v34
	v_subrev_u32_e32 v29, 29, v31
	v_bfe_u32 v7, v7, 2, 5
	v_lshlrev_b64 v[29:30], v29, v[22:23]
	v_sub_u32_e32 v23, 30, v31
	v_cmp_eq_u32_e32 vcc, 0, v7
	v_and_b32_e32 v29, 3, v29
	v_cndmask_b32_e32 v7, v7, v23, vcc
	v_and_b32_sdwa v22, sext(v22), s82 dst_sel:DWORD dst_unused:UNUSED_PAD src0_sel:WORD_0 src1_sel:DWORD
	v_cndmask_b32_e32 v23, v25, v29, vcc
	v_lshl_add_u32 v7, v7, 23, v22
	v_lshl_or_b32 v7, v23, 21, v7
	v_add_u32_e32 v7, 0x38000000, v7
                                        ; implicit-def: $vgpr25
                                        ; implicit-def: $vgpr22
.LBB6_11861:                            ;   in Loop: Header=BB6_11809 Depth=3
	s_andn2_saveexec_b64 s[36:37], s[36:37]
; %bb.11862:                            ;   in Loop: Header=BB6_11809 Depth=3
	v_cmp_lt_i16_e32 vcc, -1, v22
	v_mov_b32_e32 v7, 0xff800000
	v_mov_b32_e32 v22, 0x7f800000
	v_cndmask_b32_e32 v7, v7, v22, vcc
	v_cmp_eq_u32_e32 vcc, 0, v25
	v_mov_b32_e32 v22, 0x7f800001
	v_cndmask_b32_e32 v7, v22, v7, vcc
; %bb.11863:                            ;   in Loop: Header=BB6_11809 Depth=3
	s_or_b64 exec, exec, s[36:37]
.LBB6_11864:                            ;   in Loop: Header=BB6_11809 Depth=3
	s_or_b64 exec, exec, s[34:35]
.LBB6_11865:                            ;   in Loop: Header=BB6_11809 Depth=3
	s_or_b64 exec, exec, s[28:29]
	v_mul_f32_e32 v25, v24, v7
	v_and_b32_e32 v23, 0x7f800000, v25
	v_mov_b32_e32 v24, v34
	v_cmp_ne_u64_e32 vcc, s[76:77], v[23:24]
	v_and_b32_e32 v22, 0x7fffff, v25
	v_mov_b32_e32 v23, v34
                                        ; implicit-def: $vgpr24
	s_and_saveexec_b64 s[28:29], vcc
	s_xor_b64 s[34:35], exec, s[28:29]
	s_cbranch_execz .LBB6_11883
; %bb.11866:                            ;   in Loop: Header=BB6_11809 Depth=3
	v_and_b32_e32 v29, 0x7fffffff, v25
	v_mov_b32_e32 v30, v34
	v_cmp_gt_u64_e32 vcc, s[78:79], v[29:30]
	v_and_b32_sdwa v7, v25, s44 dst_sel:DWORD dst_unused:UNUSED_PAD src0_sel:BYTE_3 src1_sel:DWORD
                                        ; implicit-def: $vgpr24
	s_and_saveexec_b64 s[28:29], vcc
	s_xor_b64 s[36:37], exec, s[28:29]
	s_cbranch_execz .LBB6_11880
; %bb.11867:                            ;   in Loop: Header=BB6_11809 Depth=3
	v_cmp_ne_u32_e32 vcc, 0, v25
	v_mov_b32_e32 v24, 0
	s_and_saveexec_b64 s[38:39], vcc
	s_cbranch_execz .LBB6_11879
; %bb.11868:                            ;   in Loop: Header=BB6_11809 Depth=3
	v_bfe_u32 v25, v25, 23, 8
	v_cmp_gt_u32_e64 s[28:29], s45, v25
	v_sub_u32_e32 v24, 0x71, v25
	v_cmp_eq_u32_e32 vcc, 0, v25
	v_cndmask_b32_e64 v24, 0, v24, s[28:29]
	v_mov_b32_e32 v29, 0x70
	v_cndmask_b32_e32 v29, v24, v29, vcc
	v_or_b32_e32 v30, 0x800000, v22
	v_add_u32_e32 v24, 21, v29
	v_cndmask_b32_e32 v22, v30, v22, vcc
	v_lshlrev_b64 v[30:31], v24, -1
	v_add_u32_e32 v24, 20, v29
	v_mov_b32_e32 v33, v35
	v_bfi_b32 v30, v30, 0, v22
	v_lshlrev_b64 v[35:36], v24, 1
	v_lshrrev_b64 v[22:23], v29, v[22:23]
	v_bfi_b32 v31, v31, 0, 0
	v_cmp_eq_u64_e64 s[28:29], v[30:31], v[35:36]
	v_mov_b32_e32 v24, v23
	v_mov_b32_e32 v23, v22
	s_and_saveexec_b64 s[48:49], s[28:29]
; %bb.11869:                            ;   in Loop: Header=BB6_11809 Depth=3
	v_bfe_u32 v23, v22, 21, 1
	v_add_co_u32_e64 v23, s[28:29], v22, v23
	v_add_co_u32_e64 v23, s[28:29], -1, v23
; %bb.11870:                            ;   in Loop: Header=BB6_11809 Depth=3
	s_or_b64 exec, exec, s[48:49]
	v_add_u32_e32 v24, 0xffffff81, v25
	v_mov_b32_e32 v25, 0xffffff82
	v_cndmask_b32_e32 v24, v24, v25, vcc
	v_lshrrev_b32_e32 v25, 23, v22
	v_add3_u32 v29, v29, v24, v25
	v_add_u32_e32 v24, 14, v29
	v_and_b32_e32 v23, 0x1fffff, v23
	v_add_u32_e32 v22, v23, v22
	v_mov_b32_e32 v23, v34
	v_cmp_ne_u32_e32 vcc, 0, v24
                                        ; implicit-def: $vgpr25
	s_and_saveexec_b64 s[28:29], vcc
	s_xor_b64 s[28:29], exec, s[28:29]
; %bb.11871:                            ;   in Loop: Header=BB6_11809 Depth=3
	v_cmp_lt_u64_e32 vcc, s[88:89], v[22:23]
	v_add_u32_e32 v25, 15, v29
	v_cndmask_b32_e32 v25, v24, v25, vcc
	v_cndmask_b32_e64 v24, 0, 1, vcc
	v_lshrrev_b64 v[22:23], v24, v[22:23]
; %bb.11872:                            ;   in Loop: Header=BB6_11809 Depth=3
	s_or_saveexec_b64 s[28:29], s[28:29]
	v_mov_b32_e32 v35, v33
	s_xor_b64 exec, exec, s[28:29]
; %bb.11873:                            ;   in Loop: Header=BB6_11809 Depth=3
	v_bfe_u32 v25, v22, 23, 1
; %bb.11874:                            ;   in Loop: Header=BB6_11809 Depth=3
	s_or_b64 exec, exec, s[28:29]
	v_lshrrev_b64 v[22:23], 21, v[22:23]
	v_cmp_gt_i32_e32 vcc, 32, v25
	v_cndmask_b32_e32 v23, 0, v23, vcc
	v_cndmask_b32_e32 v22, 3, v22, vcc
	v_cmp_ne_u64_e32 vcc, 0, v[22:23]
	v_cmp_ne_u32_e64 s[28:29], 0, v25
	s_or_b64 s[28:29], s[28:29], vcc
                                        ; implicit-def: $vgpr24
	s_and_saveexec_b64 vcc, s[28:29]
	s_xor_b64 s[28:29], exec, vcc
; %bb.11875:                            ;   in Loop: Header=BB6_11809 Depth=3
	v_min_i32_e32 v23, 31, v25
	v_lshl_or_b32 v7, v23, 2, v7
	v_and_or_b32 v24, v22, 3, v7
                                        ; implicit-def: $vgpr7
; %bb.11876:                            ;   in Loop: Header=BB6_11809 Depth=3
	s_andn2_saveexec_b64 s[28:29], s[28:29]
; %bb.11877:                            ;   in Loop: Header=BB6_11809 Depth=3
	v_mov_b32_e32 v24, v7
; %bb.11878:                            ;   in Loop: Header=BB6_11809 Depth=3
	s_or_b64 exec, exec, s[28:29]
.LBB6_11879:                            ;   in Loop: Header=BB6_11809 Depth=3
	s_or_b64 exec, exec, s[38:39]
                                        ; implicit-def: $vgpr7
.LBB6_11880:                            ;   in Loop: Header=BB6_11809 Depth=3
	s_andn2_saveexec_b64 s[28:29], s[36:37]
; %bb.11881:                            ;   in Loop: Header=BB6_11809 Depth=3
	v_or_b32_e32 v24, 0x7b, v7
; %bb.11882:                            ;   in Loop: Header=BB6_11809 Depth=3
	s_or_b64 exec, exec, s[28:29]
                                        ; implicit-def: $vgpr25
                                        ; implicit-def: $vgpr22_vgpr23
.LBB6_11883:                            ;   in Loop: Header=BB6_11809 Depth=3
	s_andn2_saveexec_b64 s[28:29], s[34:35]
	s_cbranch_execz .LBB6_11889
; %bb.11884:                            ;   in Loop: Header=BB6_11809 Depth=3
	v_cmp_ne_u64_e32 vcc, 0, v[22:23]
                                        ; implicit-def: $vgpr24
	s_and_saveexec_b64 s[34:35], vcc
	s_xor_b64 vcc, exec, s[34:35]
; %bb.11885:                            ;   in Loop: Header=BB6_11809 Depth=3
	v_or_b32_sdwa v24, v25, s83 dst_sel:DWORD dst_unused:UNUSED_PAD src0_sel:BYTE_3 src1_sel:DWORD
                                        ; implicit-def: $vgpr25
; %bb.11886:                            ;   in Loop: Header=BB6_11809 Depth=3
	s_andn2_saveexec_b64 s[34:35], vcc
; %bb.11887:                            ;   in Loop: Header=BB6_11809 Depth=3
	v_cmp_lt_i32_e32 vcc, -1, v25
	v_mov_b32_e32 v7, 0x7c
	v_cndmask_b32_e32 v24, -4, v7, vcc
; %bb.11888:                            ;   in Loop: Header=BB6_11809 Depth=3
	s_or_b64 exec, exec, s[34:35]
.LBB6_11889:                            ;   in Loop: Header=BB6_11809 Depth=3
	s_or_b64 exec, exec, s[28:29]
	v_cmp_ne_u16_e32 vcc, 0, v28
	v_mov_b32_e32 v7, 0
	v_mov_b32_e32 v23, 0
	s_and_saveexec_b64 s[28:29], vcc
	s_cbranch_execz .LBB6_11897
; %bb.11890:                            ;   in Loop: Header=BB6_11809 Depth=3
	v_cmp_ne_u16_e32 vcc, s80, v28
	v_bfrev_b32_e32 v23, 1
	s_and_saveexec_b64 s[34:35], vcc
	s_cbranch_execz .LBB6_11896
; %bb.11891:                            ;   in Loop: Header=BB6_11809 Depth=3
	v_and_b32_e32 v23, 0x7c, v28
	v_and_b32_e32 v22, 3, v28
	v_cmp_ne_u32_e32 vcc, s81, v23
                                        ; implicit-def: $vgpr23
	s_and_saveexec_b64 s[36:37], vcc
	s_xor_b64 s[36:37], exec, s[36:37]
	s_cbranch_execz .LBB6_11893
; %bb.11892:                            ;   in Loop: Header=BB6_11809 Depth=3
	v_ffbh_u32_e32 v25, v22
	v_min_u32_e32 v25, 32, v25
	v_and_b32_e32 v23, 0xff, v28
	v_mov_b32_e32 v29, v34
	v_subrev_u32_e32 v30, 29, v25
	v_bfe_u32 v23, v23, 2, 5
	v_lshlrev_b64 v[29:30], v30, v[28:29]
	v_sub_u32_e32 v25, 30, v25
	v_cmp_eq_u32_e32 vcc, 0, v23
	v_and_b32_e32 v29, 3, v29
	v_cndmask_b32_e32 v23, v23, v25, vcc
	v_and_b32_sdwa v25, sext(v28), s82 dst_sel:DWORD dst_unused:UNUSED_PAD src0_sel:WORD_0 src1_sel:DWORD
	v_cndmask_b32_e32 v22, v22, v29, vcc
	v_lshl_add_u32 v23, v23, 23, v25
	v_lshl_or_b32 v22, v22, 21, v23
	v_add_u32_e32 v23, 0x38000000, v22
                                        ; implicit-def: $vgpr22
                                        ; implicit-def: $vgpr28
.LBB6_11893:                            ;   in Loop: Header=BB6_11809 Depth=3
	s_andn2_saveexec_b64 s[36:37], s[36:37]
; %bb.11894:                            ;   in Loop: Header=BB6_11809 Depth=3
	v_cmp_lt_i16_e32 vcc, -1, v28
	v_mov_b32_e32 v23, 0xff800000
	v_mov_b32_e32 v25, 0x7f800000
	v_cndmask_b32_e32 v23, v23, v25, vcc
	v_cmp_eq_u32_e32 vcc, 0, v22
	v_mov_b32_e32 v22, 0x7f800001
	v_cndmask_b32_e32 v23, v22, v23, vcc
; %bb.11895:                            ;   in Loop: Header=BB6_11809 Depth=3
	s_or_b64 exec, exec, s[36:37]
.LBB6_11896:                            ;   in Loop: Header=BB6_11809 Depth=3
	s_or_b64 exec, exec, s[34:35]
.LBB6_11897:                            ;   in Loop: Header=BB6_11809 Depth=3
	s_or_b64 exec, exec, s[28:29]
	v_cmp_ne_u16_e32 vcc, 0, v21
	s_and_saveexec_b64 s[28:29], vcc
	s_cbranch_execz .LBB6_11905
; %bb.11898:                            ;   in Loop: Header=BB6_11809 Depth=3
	v_cmp_ne_u16_e32 vcc, s80, v21
	v_bfrev_b32_e32 v7, 1
	s_and_saveexec_b64 s[34:35], vcc
	s_cbranch_execz .LBB6_11904
; %bb.11899:                            ;   in Loop: Header=BB6_11809 Depth=3
	v_and_b32_e32 v7, 0x7c, v21
	v_and_b32_e32 v25, 3, v21
	v_cmp_ne_u32_e32 vcc, s81, v7
                                        ; implicit-def: $vgpr7
	s_and_saveexec_b64 s[36:37], vcc
	s_xor_b64 s[36:37], exec, s[36:37]
	s_cbranch_execz .LBB6_11901
; %bb.11900:                            ;   in Loop: Header=BB6_11809 Depth=3
	v_ffbh_u32_e32 v28, v25
	v_min_u32_e32 v30, 32, v28
	v_and_b32_e32 v7, 0xff, v21
	v_mov_b32_e32 v22, v34
	v_subrev_u32_e32 v28, 29, v30
	v_bfe_u32 v7, v7, 2, 5
	v_lshlrev_b64 v[28:29], v28, v[21:22]
	v_sub_u32_e32 v22, 30, v30
	v_cmp_eq_u32_e32 vcc, 0, v7
	v_and_b32_e32 v28, 3, v28
	v_cndmask_b32_e32 v7, v7, v22, vcc
	v_and_b32_sdwa v21, sext(v21), s82 dst_sel:DWORD dst_unused:UNUSED_PAD src0_sel:WORD_0 src1_sel:DWORD
	v_cndmask_b32_e32 v22, v25, v28, vcc
	v_lshl_add_u32 v7, v7, 23, v21
	v_lshl_or_b32 v7, v22, 21, v7
	v_add_u32_e32 v7, 0x38000000, v7
                                        ; implicit-def: $vgpr25
                                        ; implicit-def: $vgpr21
.LBB6_11901:                            ;   in Loop: Header=BB6_11809 Depth=3
	s_andn2_saveexec_b64 s[36:37], s[36:37]
; %bb.11902:                            ;   in Loop: Header=BB6_11809 Depth=3
	v_cmp_lt_i16_e32 vcc, -1, v21
	v_mov_b32_e32 v7, 0xff800000
	v_mov_b32_e32 v21, 0x7f800000
	v_cndmask_b32_e32 v7, v7, v21, vcc
	v_cmp_eq_u32_e32 vcc, 0, v25
	v_mov_b32_e32 v21, 0x7f800001
	v_cndmask_b32_e32 v7, v21, v7, vcc
; %bb.11903:                            ;   in Loop: Header=BB6_11809 Depth=3
	s_or_b64 exec, exec, s[36:37]
.LBB6_11904:                            ;   in Loop: Header=BB6_11809 Depth=3
	s_or_b64 exec, exec, s[34:35]
.LBB6_11905:                            ;   in Loop: Header=BB6_11809 Depth=3
	s_or_b64 exec, exec, s[28:29]
	v_mul_f32_e32 v25, v23, v7
	v_and_b32_e32 v22, 0x7f800000, v25
	v_mov_b32_e32 v23, v34
	v_cmp_ne_u64_e32 vcc, s[76:77], v[22:23]
	v_and_b32_e32 v21, 0x7fffff, v25
	v_mov_b32_e32 v22, v34
                                        ; implicit-def: $vgpr23
	s_and_saveexec_b64 s[28:29], vcc
	s_xor_b64 s[34:35], exec, s[28:29]
	s_cbranch_execz .LBB6_11923
; %bb.11906:                            ;   in Loop: Header=BB6_11809 Depth=3
	v_and_b32_e32 v28, 0x7fffffff, v25
	v_mov_b32_e32 v29, v34
	v_cmp_gt_u64_e32 vcc, s[78:79], v[28:29]
	v_and_b32_sdwa v7, v25, s44 dst_sel:DWORD dst_unused:UNUSED_PAD src0_sel:BYTE_3 src1_sel:DWORD
                                        ; implicit-def: $vgpr23
	s_and_saveexec_b64 s[28:29], vcc
	s_xor_b64 s[36:37], exec, s[28:29]
	s_cbranch_execz .LBB6_11920
; %bb.11907:                            ;   in Loop: Header=BB6_11809 Depth=3
	v_cmp_ne_u32_e32 vcc, 0, v25
	v_mov_b32_e32 v23, 0
	s_and_saveexec_b64 s[38:39], vcc
	s_cbranch_execz .LBB6_11919
; %bb.11908:                            ;   in Loop: Header=BB6_11809 Depth=3
	v_bfe_u32 v25, v25, 23, 8
	v_cmp_gt_u32_e64 s[28:29], s45, v25
	v_sub_u32_e32 v23, 0x71, v25
	v_cmp_eq_u32_e32 vcc, 0, v25
	v_cndmask_b32_e64 v23, 0, v23, s[28:29]
	v_mov_b32_e32 v28, 0x70
	v_cndmask_b32_e32 v28, v23, v28, vcc
	v_or_b32_e32 v29, 0x800000, v21
	v_add_u32_e32 v23, 21, v28
	v_cndmask_b32_e32 v21, v29, v21, vcc
	v_lshlrev_b64 v[29:30], v23, -1
	v_add_u32_e32 v23, 20, v28
	v_mov_b32_e32 v31, v35
	v_bfi_b32 v29, v29, 0, v21
	v_lshlrev_b64 v[35:36], v23, 1
	v_lshrrev_b64 v[21:22], v28, v[21:22]
	v_bfi_b32 v30, v30, 0, 0
	v_cmp_eq_u64_e64 s[28:29], v[29:30], v[35:36]
	v_mov_b32_e32 v23, v22
	v_mov_b32_e32 v22, v21
	s_and_saveexec_b64 s[48:49], s[28:29]
; %bb.11909:                            ;   in Loop: Header=BB6_11809 Depth=3
	v_bfe_u32 v22, v21, 21, 1
	v_add_co_u32_e64 v22, s[28:29], v21, v22
	v_add_co_u32_e64 v22, s[28:29], -1, v22
; %bb.11910:                            ;   in Loop: Header=BB6_11809 Depth=3
	s_or_b64 exec, exec, s[48:49]
	v_add_u32_e32 v23, 0xffffff81, v25
	v_mov_b32_e32 v25, 0xffffff82
	v_cndmask_b32_e32 v23, v23, v25, vcc
	v_lshrrev_b32_e32 v25, 23, v21
	v_add3_u32 v28, v28, v23, v25
	v_add_u32_e32 v23, 14, v28
	v_and_b32_e32 v22, 0x1fffff, v22
	v_add_u32_e32 v21, v22, v21
	v_mov_b32_e32 v22, v34
	v_cmp_ne_u32_e32 vcc, 0, v23
                                        ; implicit-def: $vgpr25
	s_and_saveexec_b64 s[28:29], vcc
	s_xor_b64 s[28:29], exec, s[28:29]
; %bb.11911:                            ;   in Loop: Header=BB6_11809 Depth=3
	v_cmp_lt_u64_e32 vcc, s[88:89], v[21:22]
	v_add_u32_e32 v25, 15, v28
	v_cndmask_b32_e32 v25, v23, v25, vcc
	v_cndmask_b32_e64 v23, 0, 1, vcc
	v_lshrrev_b64 v[21:22], v23, v[21:22]
; %bb.11912:                            ;   in Loop: Header=BB6_11809 Depth=3
	s_or_saveexec_b64 s[28:29], s[28:29]
	v_mov_b32_e32 v35, v31
	s_xor_b64 exec, exec, s[28:29]
; %bb.11913:                            ;   in Loop: Header=BB6_11809 Depth=3
	v_bfe_u32 v25, v21, 23, 1
; %bb.11914:                            ;   in Loop: Header=BB6_11809 Depth=3
	s_or_b64 exec, exec, s[28:29]
	v_lshrrev_b64 v[21:22], 21, v[21:22]
	v_cmp_gt_i32_e32 vcc, 32, v25
	v_cndmask_b32_e32 v22, 0, v22, vcc
	v_cndmask_b32_e32 v21, 3, v21, vcc
	v_cmp_ne_u64_e32 vcc, 0, v[21:22]
	v_cmp_ne_u32_e64 s[28:29], 0, v25
	s_or_b64 s[28:29], s[28:29], vcc
                                        ; implicit-def: $vgpr23
	s_and_saveexec_b64 vcc, s[28:29]
	s_xor_b64 s[28:29], exec, vcc
; %bb.11915:                            ;   in Loop: Header=BB6_11809 Depth=3
	v_min_i32_e32 v22, 31, v25
	v_lshl_or_b32 v7, v22, 2, v7
	v_and_or_b32 v23, v21, 3, v7
                                        ; implicit-def: $vgpr7
; %bb.11916:                            ;   in Loop: Header=BB6_11809 Depth=3
	s_andn2_saveexec_b64 s[28:29], s[28:29]
; %bb.11917:                            ;   in Loop: Header=BB6_11809 Depth=3
	v_mov_b32_e32 v23, v7
; %bb.11918:                            ;   in Loop: Header=BB6_11809 Depth=3
	s_or_b64 exec, exec, s[28:29]
.LBB6_11919:                            ;   in Loop: Header=BB6_11809 Depth=3
	s_or_b64 exec, exec, s[38:39]
                                        ; implicit-def: $vgpr7
.LBB6_11920:                            ;   in Loop: Header=BB6_11809 Depth=3
	s_andn2_saveexec_b64 s[28:29], s[36:37]
; %bb.11921:                            ;   in Loop: Header=BB6_11809 Depth=3
	v_or_b32_e32 v23, 0x7b, v7
; %bb.11922:                            ;   in Loop: Header=BB6_11809 Depth=3
	s_or_b64 exec, exec, s[28:29]
                                        ; implicit-def: $vgpr25
                                        ; implicit-def: $vgpr21_vgpr22
.LBB6_11923:                            ;   in Loop: Header=BB6_11809 Depth=3
	s_andn2_saveexec_b64 s[28:29], s[34:35]
	s_cbranch_execz .LBB6_11929
; %bb.11924:                            ;   in Loop: Header=BB6_11809 Depth=3
	v_cmp_ne_u64_e32 vcc, 0, v[21:22]
                                        ; implicit-def: $vgpr23
	s_and_saveexec_b64 s[34:35], vcc
	s_xor_b64 vcc, exec, s[34:35]
; %bb.11925:                            ;   in Loop: Header=BB6_11809 Depth=3
	v_or_b32_sdwa v23, v25, s83 dst_sel:DWORD dst_unused:UNUSED_PAD src0_sel:BYTE_3 src1_sel:DWORD
                                        ; implicit-def: $vgpr25
; %bb.11926:                            ;   in Loop: Header=BB6_11809 Depth=3
	s_andn2_saveexec_b64 s[34:35], vcc
; %bb.11927:                            ;   in Loop: Header=BB6_11809 Depth=3
	v_cmp_lt_i32_e32 vcc, -1, v25
	v_mov_b32_e32 v7, 0x7c
	v_cndmask_b32_e32 v23, -4, v7, vcc
; %bb.11928:                            ;   in Loop: Header=BB6_11809 Depth=3
	s_or_b64 exec, exec, s[34:35]
.LBB6_11929:                            ;   in Loop: Header=BB6_11809 Depth=3
	s_or_b64 exec, exec, s[28:29]
	v_cmp_ne_u16_e32 vcc, 0, v20
	v_mov_b32_e32 v7, 0
	v_mov_b32_e32 v21, 0
	s_and_saveexec_b64 s[28:29], vcc
	s_cbranch_execz .LBB6_11937
; %bb.11930:                            ;   in Loop: Header=BB6_11809 Depth=3
	v_cmp_ne_u16_e32 vcc, s80, v20
	v_bfrev_b32_e32 v21, 1
	s_and_saveexec_b64 s[34:35], vcc
	s_cbranch_execz .LBB6_11936
; %bb.11931:                            ;   in Loop: Header=BB6_11809 Depth=3
	v_and_b32_e32 v21, 0x7c, v20
	v_and_b32_e32 v22, 3, v20
	v_cmp_ne_u32_e32 vcc, s81, v21
                                        ; implicit-def: $vgpr21
	s_and_saveexec_b64 s[36:37], vcc
	s_xor_b64 s[36:37], exec, s[36:37]
	s_cbranch_execz .LBB6_11933
; %bb.11932:                            ;   in Loop: Header=BB6_11809 Depth=3
	v_ffbh_u32_e32 v28, v22
	v_min_u32_e32 v30, 32, v28
	v_and_b32_e32 v25, 0xff, v20
	v_mov_b32_e32 v21, v34
	v_subrev_u32_e32 v28, 29, v30
	v_bfe_u32 v25, v25, 2, 5
	v_lshlrev_b64 v[28:29], v28, v[20:21]
	v_sub_u32_e32 v21, 30, v30
	v_cmp_eq_u32_e32 vcc, 0, v25
	v_and_b32_e32 v28, 3, v28
	v_cndmask_b32_e32 v21, v25, v21, vcc
	v_and_b32_sdwa v20, sext(v20), s82 dst_sel:DWORD dst_unused:UNUSED_PAD src0_sel:WORD_0 src1_sel:DWORD
	v_cndmask_b32_e32 v22, v22, v28, vcc
	v_lshl_add_u32 v20, v21, 23, v20
	v_lshl_or_b32 v20, v22, 21, v20
	v_add_u32_e32 v21, 0x38000000, v20
                                        ; implicit-def: $vgpr22
                                        ; implicit-def: $vgpr20
.LBB6_11933:                            ;   in Loop: Header=BB6_11809 Depth=3
	s_andn2_saveexec_b64 s[36:37], s[36:37]
; %bb.11934:                            ;   in Loop: Header=BB6_11809 Depth=3
	v_cmp_lt_i16_e32 vcc, -1, v20
	v_mov_b32_e32 v20, 0xff800000
	v_mov_b32_e32 v21, 0x7f800000
	v_cndmask_b32_e32 v20, v20, v21, vcc
	v_cmp_eq_u32_e32 vcc, 0, v22
	v_mov_b32_e32 v21, 0x7f800001
	v_cndmask_b32_e32 v21, v21, v20, vcc
; %bb.11935:                            ;   in Loop: Header=BB6_11809 Depth=3
	s_or_b64 exec, exec, s[36:37]
.LBB6_11936:                            ;   in Loop: Header=BB6_11809 Depth=3
	s_or_b64 exec, exec, s[34:35]
.LBB6_11937:                            ;   in Loop: Header=BB6_11809 Depth=3
	s_or_b64 exec, exec, s[28:29]
	v_cmp_ne_u16_e32 vcc, 0, v19
	s_and_saveexec_b64 s[28:29], vcc
	s_cbranch_execz .LBB6_11945
; %bb.11938:                            ;   in Loop: Header=BB6_11809 Depth=3
	v_cmp_ne_u16_e32 vcc, s80, v19
	v_bfrev_b32_e32 v7, 1
	s_and_saveexec_b64 s[34:35], vcc
	s_cbranch_execz .LBB6_11944
; %bb.11939:                            ;   in Loop: Header=BB6_11809 Depth=3
	v_and_b32_e32 v7, 0x7c, v19
	v_and_b32_e32 v22, 3, v19
	v_cmp_ne_u32_e32 vcc, s81, v7
                                        ; implicit-def: $vgpr7
	s_and_saveexec_b64 s[36:37], vcc
	s_xor_b64 s[36:37], exec, s[36:37]
	s_cbranch_execz .LBB6_11941
; %bb.11940:                            ;   in Loop: Header=BB6_11809 Depth=3
	v_ffbh_u32_e32 v25, v22
	v_min_u32_e32 v25, 32, v25
	v_and_b32_e32 v7, 0xff, v19
	v_mov_b32_e32 v20, v34
	v_subrev_u32_e32 v28, 29, v25
	v_bfe_u32 v7, v7, 2, 5
	v_lshlrev_b64 v[28:29], v28, v[19:20]
	v_sub_u32_e32 v20, 30, v25
	v_cmp_eq_u32_e32 vcc, 0, v7
	v_and_b32_e32 v25, 3, v28
	v_cndmask_b32_e32 v7, v7, v20, vcc
	v_and_b32_sdwa v19, sext(v19), s82 dst_sel:DWORD dst_unused:UNUSED_PAD src0_sel:WORD_0 src1_sel:DWORD
	v_cndmask_b32_e32 v20, v22, v25, vcc
	v_lshl_add_u32 v7, v7, 23, v19
	v_lshl_or_b32 v7, v20, 21, v7
	v_add_u32_e32 v7, 0x38000000, v7
                                        ; implicit-def: $vgpr22
                                        ; implicit-def: $vgpr19
.LBB6_11941:                            ;   in Loop: Header=BB6_11809 Depth=3
	s_andn2_saveexec_b64 s[36:37], s[36:37]
; %bb.11942:                            ;   in Loop: Header=BB6_11809 Depth=3
	v_cmp_lt_i16_e32 vcc, -1, v19
	v_mov_b32_e32 v7, 0xff800000
	v_mov_b32_e32 v19, 0x7f800000
	v_cndmask_b32_e32 v7, v7, v19, vcc
	v_cmp_eq_u32_e32 vcc, 0, v22
	v_mov_b32_e32 v19, 0x7f800001
	v_cndmask_b32_e32 v7, v19, v7, vcc
; %bb.11943:                            ;   in Loop: Header=BB6_11809 Depth=3
	s_or_b64 exec, exec, s[36:37]
.LBB6_11944:                            ;   in Loop: Header=BB6_11809 Depth=3
	s_or_b64 exec, exec, s[34:35]
.LBB6_11945:                            ;   in Loop: Header=BB6_11809 Depth=3
	s_or_b64 exec, exec, s[28:29]
	v_mul_f32_e32 v22, v21, v7
	v_and_b32_e32 v20, 0x7f800000, v22
	v_mov_b32_e32 v21, v34
	v_cmp_ne_u64_e32 vcc, s[76:77], v[20:21]
	v_and_b32_e32 v19, 0x7fffff, v22
	v_mov_b32_e32 v20, v34
                                        ; implicit-def: $vgpr21
	s_and_saveexec_b64 s[28:29], vcc
	s_xor_b64 s[34:35], exec, s[28:29]
	s_cbranch_execz .LBB6_11963
; %bb.11946:                            ;   in Loop: Header=BB6_11809 Depth=3
	v_and_b32_e32 v28, 0x7fffffff, v22
	v_mov_b32_e32 v29, v34
	v_cmp_gt_u64_e32 vcc, s[78:79], v[28:29]
	v_and_b32_sdwa v7, v22, s44 dst_sel:DWORD dst_unused:UNUSED_PAD src0_sel:BYTE_3 src1_sel:DWORD
                                        ; implicit-def: $vgpr21
	s_and_saveexec_b64 s[28:29], vcc
	s_xor_b64 s[36:37], exec, s[28:29]
	s_cbranch_execz .LBB6_11960
; %bb.11947:                            ;   in Loop: Header=BB6_11809 Depth=3
	v_cmp_ne_u32_e32 vcc, 0, v22
	v_mov_b32_e32 v21, 0
	s_and_saveexec_b64 s[38:39], vcc
	s_cbranch_execz .LBB6_11959
; %bb.11948:                            ;   in Loop: Header=BB6_11809 Depth=3
	v_bfe_u32 v22, v22, 23, 8
	v_cmp_gt_u32_e64 s[28:29], s45, v22
	v_sub_u32_e32 v21, 0x71, v22
	v_cmp_eq_u32_e32 vcc, 0, v22
	v_cndmask_b32_e64 v21, 0, v21, s[28:29]
	v_mov_b32_e32 v25, 0x70
	v_cndmask_b32_e32 v25, v21, v25, vcc
	v_or_b32_e32 v28, 0x800000, v19
	v_add_u32_e32 v21, 21, v25
	v_cndmask_b32_e32 v19, v28, v19, vcc
	v_lshlrev_b64 v[28:29], v21, -1
	v_add_u32_e32 v21, 20, v25
	v_bfi_b32 v28, v28, 0, v19
	v_lshlrev_b64 v[30:31], v21, 1
	v_lshrrev_b64 v[19:20], v25, v[19:20]
	v_bfi_b32 v29, v29, 0, 0
	v_cmp_eq_u64_e64 s[28:29], v[28:29], v[30:31]
	v_mov_b32_e32 v21, v20
	v_mov_b32_e32 v20, v19
	s_and_saveexec_b64 s[48:49], s[28:29]
; %bb.11949:                            ;   in Loop: Header=BB6_11809 Depth=3
	v_bfe_u32 v20, v19, 21, 1
	v_add_co_u32_e64 v20, s[28:29], v19, v20
	v_add_co_u32_e64 v20, s[28:29], -1, v20
; %bb.11950:                            ;   in Loop: Header=BB6_11809 Depth=3
	s_or_b64 exec, exec, s[48:49]
	v_add_u32_e32 v21, 0xffffff81, v22
	v_mov_b32_e32 v22, 0xffffff82
	v_cndmask_b32_e32 v21, v21, v22, vcc
	v_lshrrev_b32_e32 v22, 23, v19
	v_add3_u32 v25, v25, v21, v22
	v_add_u32_e32 v21, 14, v25
	v_and_b32_e32 v20, 0x1fffff, v20
	v_add_u32_e32 v19, v20, v19
	v_mov_b32_e32 v20, v34
	v_cmp_ne_u32_e32 vcc, 0, v21
                                        ; implicit-def: $vgpr22
	s_and_saveexec_b64 s[28:29], vcc
	s_xor_b64 s[28:29], exec, s[28:29]
; %bb.11951:                            ;   in Loop: Header=BB6_11809 Depth=3
	v_cmp_lt_u64_e32 vcc, s[88:89], v[19:20]
	v_add_u32_e32 v22, 15, v25
	v_cndmask_b32_e32 v22, v21, v22, vcc
	v_cndmask_b32_e64 v21, 0, 1, vcc
	v_lshrrev_b64 v[19:20], v21, v[19:20]
; %bb.11952:                            ;   in Loop: Header=BB6_11809 Depth=3
	s_andn2_saveexec_b64 s[28:29], s[28:29]
; %bb.11953:                            ;   in Loop: Header=BB6_11809 Depth=3
	v_bfe_u32 v22, v19, 23, 1
; %bb.11954:                            ;   in Loop: Header=BB6_11809 Depth=3
	s_or_b64 exec, exec, s[28:29]
	v_lshrrev_b64 v[19:20], 21, v[19:20]
	v_cmp_gt_i32_e32 vcc, 32, v22
	v_cndmask_b32_e32 v20, 0, v20, vcc
	v_cndmask_b32_e32 v19, 3, v19, vcc
	v_cmp_ne_u64_e32 vcc, 0, v[19:20]
	v_cmp_ne_u32_e64 s[28:29], 0, v22
	s_or_b64 s[28:29], s[28:29], vcc
                                        ; implicit-def: $vgpr21
	s_and_saveexec_b64 vcc, s[28:29]
	s_xor_b64 s[28:29], exec, vcc
; %bb.11955:                            ;   in Loop: Header=BB6_11809 Depth=3
	v_min_i32_e32 v20, 31, v22
	v_lshl_or_b32 v7, v20, 2, v7
	v_and_or_b32 v21, v19, 3, v7
                                        ; implicit-def: $vgpr7
; %bb.11956:                            ;   in Loop: Header=BB6_11809 Depth=3
	s_andn2_saveexec_b64 s[28:29], s[28:29]
; %bb.11957:                            ;   in Loop: Header=BB6_11809 Depth=3
	v_mov_b32_e32 v21, v7
; %bb.11958:                            ;   in Loop: Header=BB6_11809 Depth=3
	s_or_b64 exec, exec, s[28:29]
.LBB6_11959:                            ;   in Loop: Header=BB6_11809 Depth=3
	s_or_b64 exec, exec, s[38:39]
                                        ; implicit-def: $vgpr7
.LBB6_11960:                            ;   in Loop: Header=BB6_11809 Depth=3
	s_andn2_saveexec_b64 s[28:29], s[36:37]
; %bb.11961:                            ;   in Loop: Header=BB6_11809 Depth=3
	v_or_b32_e32 v21, 0x7b, v7
; %bb.11962:                            ;   in Loop: Header=BB6_11809 Depth=3
	s_or_b64 exec, exec, s[28:29]
                                        ; implicit-def: $vgpr22
                                        ; implicit-def: $vgpr19_vgpr20
.LBB6_11963:                            ;   in Loop: Header=BB6_11809 Depth=3
	s_andn2_saveexec_b64 s[28:29], s[34:35]
	s_cbranch_execz .LBB6_11969
; %bb.11964:                            ;   in Loop: Header=BB6_11809 Depth=3
	v_cmp_ne_u64_e32 vcc, 0, v[19:20]
                                        ; implicit-def: $vgpr21
	s_and_saveexec_b64 s[34:35], vcc
	s_xor_b64 vcc, exec, s[34:35]
; %bb.11965:                            ;   in Loop: Header=BB6_11809 Depth=3
	v_or_b32_sdwa v21, v22, s83 dst_sel:DWORD dst_unused:UNUSED_PAD src0_sel:BYTE_3 src1_sel:DWORD
                                        ; implicit-def: $vgpr22
; %bb.11966:                            ;   in Loop: Header=BB6_11809 Depth=3
	s_andn2_saveexec_b64 s[34:35], vcc
; %bb.11967:                            ;   in Loop: Header=BB6_11809 Depth=3
	v_cmp_lt_i32_e32 vcc, -1, v22
	v_mov_b32_e32 v7, 0x7c
	v_cndmask_b32_e32 v21, -4, v7, vcc
; %bb.11968:                            ;   in Loop: Header=BB6_11809 Depth=3
	s_or_b64 exec, exec, s[34:35]
.LBB6_11969:                            ;   in Loop: Header=BB6_11809 Depth=3
	s_or_b64 exec, exec, s[28:29]
	v_cmp_ne_u16_e32 vcc, 0, v18
	v_mov_b32_e32 v7, 0
	v_mov_b32_e32 v19, 0
	s_and_saveexec_b64 s[28:29], vcc
	s_cbranch_execz .LBB6_11977
; %bb.11970:                            ;   in Loop: Header=BB6_11809 Depth=3
	v_cmp_ne_u16_e32 vcc, s80, v18
	v_bfrev_b32_e32 v19, 1
	s_and_saveexec_b64 s[34:35], vcc
	s_cbranch_execz .LBB6_11976
; %bb.11971:                            ;   in Loop: Header=BB6_11809 Depth=3
	v_and_b32_e32 v19, 0x7c, v18
	v_and_b32_e32 v20, 3, v18
	v_cmp_ne_u32_e32 vcc, s81, v19
                                        ; implicit-def: $vgpr19
	s_and_saveexec_b64 s[36:37], vcc
	s_xor_b64 s[36:37], exec, s[36:37]
	s_cbranch_execz .LBB6_11973
; %bb.11972:                            ;   in Loop: Header=BB6_11809 Depth=3
	v_ffbh_u32_e32 v25, v20
	v_min_u32_e32 v25, 32, v25
	v_and_b32_e32 v22, 0xff, v18
	v_mov_b32_e32 v19, v34
	v_subrev_u32_e32 v28, 29, v25
	v_bfe_u32 v22, v22, 2, 5
	v_lshlrev_b64 v[28:29], v28, v[18:19]
	v_sub_u32_e32 v19, 30, v25
	v_cmp_eq_u32_e32 vcc, 0, v22
	v_and_b32_e32 v25, 3, v28
	v_cndmask_b32_e32 v19, v22, v19, vcc
	v_and_b32_sdwa v18, sext(v18), s82 dst_sel:DWORD dst_unused:UNUSED_PAD src0_sel:WORD_0 src1_sel:DWORD
	v_cndmask_b32_e32 v20, v20, v25, vcc
	v_lshl_add_u32 v18, v19, 23, v18
	v_lshl_or_b32 v18, v20, 21, v18
	v_add_u32_e32 v19, 0x38000000, v18
                                        ; implicit-def: $vgpr20
                                        ; implicit-def: $vgpr18
.LBB6_11973:                            ;   in Loop: Header=BB6_11809 Depth=3
	s_andn2_saveexec_b64 s[36:37], s[36:37]
; %bb.11974:                            ;   in Loop: Header=BB6_11809 Depth=3
	v_cmp_lt_i16_e32 vcc, -1, v18
	v_mov_b32_e32 v18, 0xff800000
	v_mov_b32_e32 v19, 0x7f800000
	v_cndmask_b32_e32 v18, v18, v19, vcc
	v_cmp_eq_u32_e32 vcc, 0, v20
	v_mov_b32_e32 v19, 0x7f800001
	v_cndmask_b32_e32 v19, v19, v18, vcc
; %bb.11975:                            ;   in Loop: Header=BB6_11809 Depth=3
	s_or_b64 exec, exec, s[36:37]
.LBB6_11976:                            ;   in Loop: Header=BB6_11809 Depth=3
	s_or_b64 exec, exec, s[34:35]
.LBB6_11977:                            ;   in Loop: Header=BB6_11809 Depth=3
	s_or_b64 exec, exec, s[28:29]
	v_cmp_ne_u16_e32 vcc, 0, v17
	s_and_saveexec_b64 s[28:29], vcc
	s_cbranch_execz .LBB6_11985
; %bb.11978:                            ;   in Loop: Header=BB6_11809 Depth=3
	v_cmp_ne_u16_e32 vcc, s80, v17
	v_bfrev_b32_e32 v7, 1
	s_and_saveexec_b64 s[34:35], vcc
	s_cbranch_execz .LBB6_11984
; %bb.11979:                            ;   in Loop: Header=BB6_11809 Depth=3
	v_and_b32_e32 v7, 0x7c, v17
	v_and_b32_e32 v20, 3, v17
	v_cmp_ne_u32_e32 vcc, s81, v7
                                        ; implicit-def: $vgpr7
	s_and_saveexec_b64 s[36:37], vcc
	s_xor_b64 s[36:37], exec, s[36:37]
	s_cbranch_execz .LBB6_11981
; %bb.11980:                            ;   in Loop: Header=BB6_11809 Depth=3
	v_ffbh_u32_e32 v22, v20
	v_min_u32_e32 v22, 32, v22
	v_and_b32_e32 v7, 0xff, v17
	v_mov_b32_e32 v18, v34
	v_subrev_u32_e32 v25, 29, v22
	v_bfe_u32 v7, v7, 2, 5
	v_lshlrev_b64 v[28:29], v25, v[17:18]
	v_sub_u32_e32 v18, 30, v22
	v_cmp_eq_u32_e32 vcc, 0, v7
	v_and_b32_e32 v22, 3, v28
	v_cndmask_b32_e32 v7, v7, v18, vcc
	v_and_b32_sdwa v17, sext(v17), s82 dst_sel:DWORD dst_unused:UNUSED_PAD src0_sel:WORD_0 src1_sel:DWORD
	v_cndmask_b32_e32 v18, v20, v22, vcc
	v_lshl_add_u32 v7, v7, 23, v17
	v_lshl_or_b32 v7, v18, 21, v7
	v_add_u32_e32 v7, 0x38000000, v7
                                        ; implicit-def: $vgpr20
                                        ; implicit-def: $vgpr17
.LBB6_11981:                            ;   in Loop: Header=BB6_11809 Depth=3
	s_andn2_saveexec_b64 s[36:37], s[36:37]
; %bb.11982:                            ;   in Loop: Header=BB6_11809 Depth=3
	v_cmp_lt_i16_e32 vcc, -1, v17
	v_mov_b32_e32 v7, 0xff800000
	v_mov_b32_e32 v17, 0x7f800000
	v_cndmask_b32_e32 v7, v7, v17, vcc
	v_cmp_eq_u32_e32 vcc, 0, v20
	v_mov_b32_e32 v17, 0x7f800001
	v_cndmask_b32_e32 v7, v17, v7, vcc
; %bb.11983:                            ;   in Loop: Header=BB6_11809 Depth=3
	s_or_b64 exec, exec, s[36:37]
.LBB6_11984:                            ;   in Loop: Header=BB6_11809 Depth=3
	s_or_b64 exec, exec, s[34:35]
.LBB6_11985:                            ;   in Loop: Header=BB6_11809 Depth=3
	s_or_b64 exec, exec, s[28:29]
	v_mul_f32_e32 v20, v19, v7
	v_and_b32_e32 v18, 0x7f800000, v20
	v_mov_b32_e32 v19, v34
	v_cmp_ne_u64_e32 vcc, s[76:77], v[18:19]
	v_and_b32_e32 v17, 0x7fffff, v20
	v_mov_b32_e32 v18, v34
                                        ; implicit-def: $vgpr19
	s_and_saveexec_b64 s[28:29], vcc
	s_xor_b64 s[34:35], exec, s[28:29]
	s_cbranch_execz .LBB6_12003
; %bb.11986:                            ;   in Loop: Header=BB6_11809 Depth=3
	v_and_b32_e32 v28, 0x7fffffff, v20
	v_mov_b32_e32 v29, v34
	v_cmp_gt_u64_e32 vcc, s[78:79], v[28:29]
	v_and_b32_sdwa v7, v20, s44 dst_sel:DWORD dst_unused:UNUSED_PAD src0_sel:BYTE_3 src1_sel:DWORD
                                        ; implicit-def: $vgpr19
	s_and_saveexec_b64 s[28:29], vcc
	s_xor_b64 s[36:37], exec, s[28:29]
	s_cbranch_execz .LBB6_12000
; %bb.11987:                            ;   in Loop: Header=BB6_11809 Depth=3
	v_cmp_ne_u32_e32 vcc, 0, v20
	v_mov_b32_e32 v19, 0
	s_and_saveexec_b64 s[38:39], vcc
	s_cbranch_execz .LBB6_11999
; %bb.11988:                            ;   in Loop: Header=BB6_11809 Depth=3
	v_bfe_u32 v20, v20, 23, 8
	v_cmp_gt_u32_e64 s[28:29], s45, v20
	v_sub_u32_e32 v19, 0x71, v20
	v_cmp_eq_u32_e32 vcc, 0, v20
	v_cndmask_b32_e64 v19, 0, v19, s[28:29]
	v_mov_b32_e32 v22, 0x70
	v_cndmask_b32_e32 v22, v19, v22, vcc
	v_add_u32_e32 v19, 21, v22
	v_or_b32_e32 v25, 0x800000, v17
	v_lshlrev_b64 v[28:29], v19, -1
	v_cndmask_b32_e32 v17, v25, v17, vcc
	v_add_u32_e32 v19, 20, v22
	v_bfi_b32 v28, v28, 0, v17
	v_lshlrev_b64 v[30:31], v19, 1
	v_lshrrev_b64 v[17:18], v22, v[17:18]
	v_bfi_b32 v29, v29, 0, 0
	v_cmp_eq_u64_e64 s[28:29], v[28:29], v[30:31]
	v_mov_b32_e32 v19, v18
	v_mov_b32_e32 v18, v17
	s_and_saveexec_b64 s[48:49], s[28:29]
; %bb.11989:                            ;   in Loop: Header=BB6_11809 Depth=3
	v_bfe_u32 v18, v17, 21, 1
	v_add_co_u32_e64 v18, s[28:29], v17, v18
	v_add_co_u32_e64 v18, s[28:29], -1, v18
; %bb.11990:                            ;   in Loop: Header=BB6_11809 Depth=3
	s_or_b64 exec, exec, s[48:49]
	v_add_u32_e32 v19, 0xffffff81, v20
	v_mov_b32_e32 v20, 0xffffff82
	v_cndmask_b32_e32 v19, v19, v20, vcc
	v_lshrrev_b32_e32 v20, 23, v17
	v_add3_u32 v22, v22, v19, v20
	v_add_u32_e32 v19, 14, v22
	v_and_b32_e32 v18, 0x1fffff, v18
	v_add_u32_e32 v17, v18, v17
	v_mov_b32_e32 v18, v34
	v_cmp_ne_u32_e32 vcc, 0, v19
                                        ; implicit-def: $vgpr20
	s_and_saveexec_b64 s[28:29], vcc
	s_xor_b64 s[28:29], exec, s[28:29]
; %bb.11991:                            ;   in Loop: Header=BB6_11809 Depth=3
	v_cmp_lt_u64_e32 vcc, s[88:89], v[17:18]
	v_add_u32_e32 v20, 15, v22
	v_cndmask_b32_e32 v20, v19, v20, vcc
	v_cndmask_b32_e64 v19, 0, 1, vcc
	v_lshrrev_b64 v[17:18], v19, v[17:18]
; %bb.11992:                            ;   in Loop: Header=BB6_11809 Depth=3
	s_andn2_saveexec_b64 s[28:29], s[28:29]
; %bb.11993:                            ;   in Loop: Header=BB6_11809 Depth=3
	v_bfe_u32 v20, v17, 23, 1
; %bb.11994:                            ;   in Loop: Header=BB6_11809 Depth=3
	s_or_b64 exec, exec, s[28:29]
	v_lshrrev_b64 v[17:18], 21, v[17:18]
	v_cmp_gt_i32_e32 vcc, 32, v20
	v_cndmask_b32_e32 v18, 0, v18, vcc
	v_cndmask_b32_e32 v17, 3, v17, vcc
	v_cmp_ne_u64_e32 vcc, 0, v[17:18]
	v_cmp_ne_u32_e64 s[28:29], 0, v20
	s_or_b64 s[28:29], s[28:29], vcc
                                        ; implicit-def: $vgpr19
	s_and_saveexec_b64 vcc, s[28:29]
	s_xor_b64 s[28:29], exec, vcc
; %bb.11995:                            ;   in Loop: Header=BB6_11809 Depth=3
	v_min_i32_e32 v18, 31, v20
	v_lshl_or_b32 v7, v18, 2, v7
	v_and_or_b32 v19, v17, 3, v7
                                        ; implicit-def: $vgpr7
; %bb.11996:                            ;   in Loop: Header=BB6_11809 Depth=3
	s_andn2_saveexec_b64 s[28:29], s[28:29]
; %bb.11997:                            ;   in Loop: Header=BB6_11809 Depth=3
	v_mov_b32_e32 v19, v7
; %bb.11998:                            ;   in Loop: Header=BB6_11809 Depth=3
	s_or_b64 exec, exec, s[28:29]
.LBB6_11999:                            ;   in Loop: Header=BB6_11809 Depth=3
	s_or_b64 exec, exec, s[38:39]
                                        ; implicit-def: $vgpr7
.LBB6_12000:                            ;   in Loop: Header=BB6_11809 Depth=3
	s_andn2_saveexec_b64 s[28:29], s[36:37]
; %bb.12001:                            ;   in Loop: Header=BB6_11809 Depth=3
	v_or_b32_e32 v19, 0x7b, v7
; %bb.12002:                            ;   in Loop: Header=BB6_11809 Depth=3
	s_or_b64 exec, exec, s[28:29]
                                        ; implicit-def: $vgpr20
                                        ; implicit-def: $vgpr17_vgpr18
.LBB6_12003:                            ;   in Loop: Header=BB6_11809 Depth=3
	s_andn2_saveexec_b64 s[28:29], s[34:35]
	s_cbranch_execz .LBB6_12009
; %bb.12004:                            ;   in Loop: Header=BB6_11809 Depth=3
	v_cmp_ne_u64_e32 vcc, 0, v[17:18]
                                        ; implicit-def: $vgpr19
	s_and_saveexec_b64 s[34:35], vcc
	s_xor_b64 vcc, exec, s[34:35]
; %bb.12005:                            ;   in Loop: Header=BB6_11809 Depth=3
	v_or_b32_sdwa v19, v20, s83 dst_sel:DWORD dst_unused:UNUSED_PAD src0_sel:BYTE_3 src1_sel:DWORD
                                        ; implicit-def: $vgpr20
; %bb.12006:                            ;   in Loop: Header=BB6_11809 Depth=3
	s_andn2_saveexec_b64 s[34:35], vcc
; %bb.12007:                            ;   in Loop: Header=BB6_11809 Depth=3
	v_cmp_lt_i32_e32 vcc, -1, v20
	v_mov_b32_e32 v7, 0x7c
	v_cndmask_b32_e32 v19, -4, v7, vcc
; %bb.12008:                            ;   in Loop: Header=BB6_11809 Depth=3
	s_or_b64 exec, exec, s[34:35]
.LBB6_12009:                            ;   in Loop: Header=BB6_11809 Depth=3
	s_or_b64 exec, exec, s[28:29]
	v_cmp_ne_u16_e32 vcc, 0, v16
	v_mov_b32_e32 v7, 0
	v_mov_b32_e32 v17, 0
	s_and_saveexec_b64 s[28:29], vcc
	s_cbranch_execz .LBB6_12017
; %bb.12010:                            ;   in Loop: Header=BB6_11809 Depth=3
	v_cmp_ne_u16_e32 vcc, s80, v16
	v_bfrev_b32_e32 v17, 1
	s_and_saveexec_b64 s[34:35], vcc
	s_cbranch_execz .LBB6_12016
; %bb.12011:                            ;   in Loop: Header=BB6_11809 Depth=3
	v_and_b32_e32 v17, 0x7c, v16
	v_and_b32_e32 v18, 3, v16
	v_cmp_ne_u32_e32 vcc, s81, v17
                                        ; implicit-def: $vgpr17
	s_and_saveexec_b64 s[36:37], vcc
	s_xor_b64 s[36:37], exec, s[36:37]
	s_cbranch_execz .LBB6_12013
; %bb.12012:                            ;   in Loop: Header=BB6_11809 Depth=3
	v_ffbh_u32_e32 v22, v18
	v_min_u32_e32 v22, 32, v22
	v_and_b32_e32 v20, 0xff, v16
	v_mov_b32_e32 v17, v34
	v_subrev_u32_e32 v25, 29, v22
	v_bfe_u32 v20, v20, 2, 5
	v_lshlrev_b64 v[28:29], v25, v[16:17]
	v_sub_u32_e32 v17, 30, v22
	v_cmp_eq_u32_e32 vcc, 0, v20
	v_and_b32_e32 v22, 3, v28
	v_cndmask_b32_e32 v17, v20, v17, vcc
	v_and_b32_sdwa v16, sext(v16), s82 dst_sel:DWORD dst_unused:UNUSED_PAD src0_sel:WORD_0 src1_sel:DWORD
	v_cndmask_b32_e32 v18, v18, v22, vcc
	v_lshl_add_u32 v16, v17, 23, v16
	v_lshl_or_b32 v16, v18, 21, v16
	v_add_u32_e32 v17, 0x38000000, v16
                                        ; implicit-def: $vgpr18
                                        ; implicit-def: $vgpr16
.LBB6_12013:                            ;   in Loop: Header=BB6_11809 Depth=3
	s_andn2_saveexec_b64 s[36:37], s[36:37]
; %bb.12014:                            ;   in Loop: Header=BB6_11809 Depth=3
	v_cmp_lt_i16_e32 vcc, -1, v16
	v_mov_b32_e32 v16, 0xff800000
	v_mov_b32_e32 v17, 0x7f800000
	v_cndmask_b32_e32 v16, v16, v17, vcc
	v_cmp_eq_u32_e32 vcc, 0, v18
	v_mov_b32_e32 v17, 0x7f800001
	v_cndmask_b32_e32 v17, v17, v16, vcc
; %bb.12015:                            ;   in Loop: Header=BB6_11809 Depth=3
	s_or_b64 exec, exec, s[36:37]
.LBB6_12016:                            ;   in Loop: Header=BB6_11809 Depth=3
	s_or_b64 exec, exec, s[34:35]
.LBB6_12017:                            ;   in Loop: Header=BB6_11809 Depth=3
	s_or_b64 exec, exec, s[28:29]
	v_cmp_ne_u16_e32 vcc, 0, v15
	s_and_saveexec_b64 s[28:29], vcc
	s_cbranch_execz .LBB6_12025
; %bb.12018:                            ;   in Loop: Header=BB6_11809 Depth=3
	v_cmp_ne_u16_e32 vcc, s80, v15
	v_bfrev_b32_e32 v7, 1
	s_and_saveexec_b64 s[34:35], vcc
	s_cbranch_execz .LBB6_12024
; %bb.12019:                            ;   in Loop: Header=BB6_11809 Depth=3
	v_and_b32_e32 v7, 0x7c, v15
	v_and_b32_e32 v18, 3, v15
	v_cmp_ne_u32_e32 vcc, s81, v7
                                        ; implicit-def: $vgpr7
	s_and_saveexec_b64 s[36:37], vcc
	s_xor_b64 s[36:37], exec, s[36:37]
	s_cbranch_execz .LBB6_12021
; %bb.12020:                            ;   in Loop: Header=BB6_11809 Depth=3
	v_ffbh_u32_e32 v20, v18
	v_min_u32_e32 v20, 32, v20
	v_and_b32_e32 v7, 0xff, v15
	v_mov_b32_e32 v16, v34
	v_subrev_u32_e32 v22, 29, v20
	v_bfe_u32 v7, v7, 2, 5
	v_lshlrev_b64 v[28:29], v22, v[15:16]
	v_sub_u32_e32 v16, 30, v20
	v_cmp_eq_u32_e32 vcc, 0, v7
	v_and_b32_e32 v20, 3, v28
	v_cndmask_b32_e32 v7, v7, v16, vcc
	v_and_b32_sdwa v15, sext(v15), s82 dst_sel:DWORD dst_unused:UNUSED_PAD src0_sel:WORD_0 src1_sel:DWORD
	v_cndmask_b32_e32 v16, v18, v20, vcc
	v_lshl_add_u32 v7, v7, 23, v15
	v_lshl_or_b32 v7, v16, 21, v7
	v_add_u32_e32 v7, 0x38000000, v7
                                        ; implicit-def: $vgpr18
                                        ; implicit-def: $vgpr15
.LBB6_12021:                            ;   in Loop: Header=BB6_11809 Depth=3
	s_andn2_saveexec_b64 s[36:37], s[36:37]
; %bb.12022:                            ;   in Loop: Header=BB6_11809 Depth=3
	v_cmp_lt_i16_e32 vcc, -1, v15
	v_mov_b32_e32 v7, 0xff800000
	v_mov_b32_e32 v15, 0x7f800000
	v_cndmask_b32_e32 v7, v7, v15, vcc
	v_cmp_eq_u32_e32 vcc, 0, v18
	v_mov_b32_e32 v15, 0x7f800001
	v_cndmask_b32_e32 v7, v15, v7, vcc
; %bb.12023:                            ;   in Loop: Header=BB6_11809 Depth=3
	s_or_b64 exec, exec, s[36:37]
.LBB6_12024:                            ;   in Loop: Header=BB6_11809 Depth=3
	s_or_b64 exec, exec, s[34:35]
.LBB6_12025:                            ;   in Loop: Header=BB6_11809 Depth=3
	s_or_b64 exec, exec, s[28:29]
	v_mul_f32_e32 v18, v17, v7
	v_and_b32_e32 v16, 0x7f800000, v18
	v_mov_b32_e32 v17, v34
	v_cmp_ne_u64_e32 vcc, s[76:77], v[16:17]
	v_and_b32_e32 v15, 0x7fffff, v18
	v_mov_b32_e32 v16, v34
                                        ; implicit-def: $vgpr17
	s_and_saveexec_b64 s[28:29], vcc
	s_xor_b64 s[34:35], exec, s[28:29]
	s_cbranch_execz .LBB6_12043
; %bb.12026:                            ;   in Loop: Header=BB6_11809 Depth=3
	v_and_b32_e32 v28, 0x7fffffff, v18
	v_mov_b32_e32 v29, v34
	v_cmp_gt_u64_e32 vcc, s[78:79], v[28:29]
	v_and_b32_sdwa v7, v18, s44 dst_sel:DWORD dst_unused:UNUSED_PAD src0_sel:BYTE_3 src1_sel:DWORD
                                        ; implicit-def: $vgpr17
	s_and_saveexec_b64 s[28:29], vcc
	s_xor_b64 s[36:37], exec, s[28:29]
	s_cbranch_execz .LBB6_12040
; %bb.12027:                            ;   in Loop: Header=BB6_11809 Depth=3
	v_cmp_ne_u32_e32 vcc, 0, v18
	v_mov_b32_e32 v17, 0
	s_and_saveexec_b64 s[38:39], vcc
	s_cbranch_execz .LBB6_12039
; %bb.12028:                            ;   in Loop: Header=BB6_11809 Depth=3
	v_bfe_u32 v18, v18, 23, 8
	v_cmp_gt_u32_e64 s[28:29], s45, v18
	v_sub_u32_e32 v17, 0x71, v18
	v_cmp_eq_u32_e32 vcc, 0, v18
	v_cndmask_b32_e64 v17, 0, v17, s[28:29]
	v_mov_b32_e32 v20, 0x70
	v_cndmask_b32_e32 v20, v17, v20, vcc
	v_add_u32_e32 v17, 21, v20
	v_or_b32_e32 v22, 0x800000, v15
	v_lshlrev_b64 v[28:29], v17, -1
	v_cndmask_b32_e32 v15, v22, v15, vcc
	v_add_u32_e32 v17, 20, v20
	v_bfi_b32 v28, v28, 0, v15
	v_lshlrev_b64 v[30:31], v17, 1
	v_lshrrev_b64 v[15:16], v20, v[15:16]
	v_bfi_b32 v29, v29, 0, 0
	v_cmp_eq_u64_e64 s[28:29], v[28:29], v[30:31]
	v_mov_b32_e32 v17, v16
	v_mov_b32_e32 v16, v15
	s_and_saveexec_b64 s[48:49], s[28:29]
; %bb.12029:                            ;   in Loop: Header=BB6_11809 Depth=3
	v_bfe_u32 v16, v15, 21, 1
	v_add_co_u32_e64 v16, s[28:29], v15, v16
	v_add_co_u32_e64 v16, s[28:29], -1, v16
; %bb.12030:                            ;   in Loop: Header=BB6_11809 Depth=3
	s_or_b64 exec, exec, s[48:49]
	v_add_u32_e32 v17, 0xffffff81, v18
	v_mov_b32_e32 v18, 0xffffff82
	v_cndmask_b32_e32 v17, v17, v18, vcc
	v_lshrrev_b32_e32 v18, 23, v15
	v_add3_u32 v20, v20, v17, v18
	v_add_u32_e32 v17, 14, v20
	v_and_b32_e32 v16, 0x1fffff, v16
	v_add_u32_e32 v15, v16, v15
	v_mov_b32_e32 v16, v34
	v_cmp_ne_u32_e32 vcc, 0, v17
                                        ; implicit-def: $vgpr18
	s_and_saveexec_b64 s[28:29], vcc
	s_xor_b64 s[28:29], exec, s[28:29]
; %bb.12031:                            ;   in Loop: Header=BB6_11809 Depth=3
	v_cmp_lt_u64_e32 vcc, s[88:89], v[15:16]
	v_add_u32_e32 v18, 15, v20
	v_cndmask_b32_e32 v18, v17, v18, vcc
	v_cndmask_b32_e64 v17, 0, 1, vcc
	v_lshrrev_b64 v[15:16], v17, v[15:16]
; %bb.12032:                            ;   in Loop: Header=BB6_11809 Depth=3
	s_andn2_saveexec_b64 s[28:29], s[28:29]
; %bb.12033:                            ;   in Loop: Header=BB6_11809 Depth=3
	v_bfe_u32 v18, v15, 23, 1
; %bb.12034:                            ;   in Loop: Header=BB6_11809 Depth=3
	s_or_b64 exec, exec, s[28:29]
	v_lshrrev_b64 v[15:16], 21, v[15:16]
	v_cmp_gt_i32_e32 vcc, 32, v18
	v_cndmask_b32_e32 v16, 0, v16, vcc
	v_cndmask_b32_e32 v15, 3, v15, vcc
	v_cmp_ne_u64_e32 vcc, 0, v[15:16]
	v_cmp_ne_u32_e64 s[28:29], 0, v18
	s_or_b64 s[28:29], s[28:29], vcc
                                        ; implicit-def: $vgpr17
	s_and_saveexec_b64 vcc, s[28:29]
	s_xor_b64 s[28:29], exec, vcc
; %bb.12035:                            ;   in Loop: Header=BB6_11809 Depth=3
	v_min_i32_e32 v16, 31, v18
	v_lshl_or_b32 v7, v16, 2, v7
	v_and_or_b32 v17, v15, 3, v7
                                        ; implicit-def: $vgpr7
; %bb.12036:                            ;   in Loop: Header=BB6_11809 Depth=3
	s_andn2_saveexec_b64 s[28:29], s[28:29]
; %bb.12037:                            ;   in Loop: Header=BB6_11809 Depth=3
	v_mov_b32_e32 v17, v7
; %bb.12038:                            ;   in Loop: Header=BB6_11809 Depth=3
	s_or_b64 exec, exec, s[28:29]
.LBB6_12039:                            ;   in Loop: Header=BB6_11809 Depth=3
	s_or_b64 exec, exec, s[38:39]
                                        ; implicit-def: $vgpr7
.LBB6_12040:                            ;   in Loop: Header=BB6_11809 Depth=3
	s_andn2_saveexec_b64 s[28:29], s[36:37]
; %bb.12041:                            ;   in Loop: Header=BB6_11809 Depth=3
	v_or_b32_e32 v17, 0x7b, v7
; %bb.12042:                            ;   in Loop: Header=BB6_11809 Depth=3
	s_or_b64 exec, exec, s[28:29]
                                        ; implicit-def: $vgpr18
                                        ; implicit-def: $vgpr15_vgpr16
.LBB6_12043:                            ;   in Loop: Header=BB6_11809 Depth=3
	s_andn2_saveexec_b64 s[28:29], s[34:35]
	s_cbranch_execz .LBB6_12049
; %bb.12044:                            ;   in Loop: Header=BB6_11809 Depth=3
	v_cmp_ne_u64_e32 vcc, 0, v[15:16]
                                        ; implicit-def: $vgpr17
	s_and_saveexec_b64 s[34:35], vcc
	s_xor_b64 vcc, exec, s[34:35]
; %bb.12045:                            ;   in Loop: Header=BB6_11809 Depth=3
	v_or_b32_sdwa v17, v18, s83 dst_sel:DWORD dst_unused:UNUSED_PAD src0_sel:BYTE_3 src1_sel:DWORD
                                        ; implicit-def: $vgpr18
; %bb.12046:                            ;   in Loop: Header=BB6_11809 Depth=3
	s_andn2_saveexec_b64 s[34:35], vcc
; %bb.12047:                            ;   in Loop: Header=BB6_11809 Depth=3
	v_cmp_lt_i32_e32 vcc, -1, v18
	v_mov_b32_e32 v7, 0x7c
	v_cndmask_b32_e32 v17, -4, v7, vcc
; %bb.12048:                            ;   in Loop: Header=BB6_11809 Depth=3
	s_or_b64 exec, exec, s[34:35]
.LBB6_12049:                            ;   in Loop: Header=BB6_11809 Depth=3
	s_or_b64 exec, exec, s[28:29]
	v_cmp_ne_u16_e32 vcc, 0, v14
	v_mov_b32_e32 v7, 0
	v_mov_b32_e32 v15, 0
	s_and_saveexec_b64 s[28:29], vcc
	s_cbranch_execz .LBB6_12057
; %bb.12050:                            ;   in Loop: Header=BB6_11809 Depth=3
	v_cmp_ne_u16_e32 vcc, s80, v14
	v_bfrev_b32_e32 v15, 1
	s_and_saveexec_b64 s[34:35], vcc
	s_cbranch_execz .LBB6_12056
; %bb.12051:                            ;   in Loop: Header=BB6_11809 Depth=3
	v_and_b32_e32 v15, 0x7c, v14
	v_and_b32_e32 v16, 3, v14
	v_cmp_ne_u32_e32 vcc, s81, v15
                                        ; implicit-def: $vgpr15
	s_and_saveexec_b64 s[36:37], vcc
	s_xor_b64 s[36:37], exec, s[36:37]
	s_cbranch_execz .LBB6_12053
; %bb.12052:                            ;   in Loop: Header=BB6_11809 Depth=3
	v_ffbh_u32_e32 v20, v16
	v_min_u32_e32 v20, 32, v20
	v_and_b32_e32 v18, 0xff, v14
	v_mov_b32_e32 v15, v34
	v_subrev_u32_e32 v22, 29, v20
	v_bfe_u32 v18, v18, 2, 5
	v_lshlrev_b64 v[28:29], v22, v[14:15]
	v_sub_u32_e32 v15, 30, v20
	v_cmp_eq_u32_e32 vcc, 0, v18
	v_and_b32_e32 v20, 3, v28
	v_cndmask_b32_e32 v15, v18, v15, vcc
	v_and_b32_sdwa v14, sext(v14), s82 dst_sel:DWORD dst_unused:UNUSED_PAD src0_sel:WORD_0 src1_sel:DWORD
	v_cndmask_b32_e32 v16, v16, v20, vcc
	v_lshl_add_u32 v14, v15, 23, v14
	v_lshl_or_b32 v14, v16, 21, v14
	v_add_u32_e32 v15, 0x38000000, v14
                                        ; implicit-def: $vgpr16
                                        ; implicit-def: $vgpr14
.LBB6_12053:                            ;   in Loop: Header=BB6_11809 Depth=3
	s_andn2_saveexec_b64 s[36:37], s[36:37]
; %bb.12054:                            ;   in Loop: Header=BB6_11809 Depth=3
	v_cmp_lt_i16_e32 vcc, -1, v14
	v_mov_b32_e32 v14, 0xff800000
	v_mov_b32_e32 v15, 0x7f800000
	v_cndmask_b32_e32 v14, v14, v15, vcc
	v_cmp_eq_u32_e32 vcc, 0, v16
	v_mov_b32_e32 v15, 0x7f800001
	v_cndmask_b32_e32 v15, v15, v14, vcc
; %bb.12055:                            ;   in Loop: Header=BB6_11809 Depth=3
	s_or_b64 exec, exec, s[36:37]
.LBB6_12056:                            ;   in Loop: Header=BB6_11809 Depth=3
	s_or_b64 exec, exec, s[34:35]
.LBB6_12057:                            ;   in Loop: Header=BB6_11809 Depth=3
	s_or_b64 exec, exec, s[28:29]
	v_cmp_ne_u16_e32 vcc, 0, v13
	s_and_saveexec_b64 s[28:29], vcc
	s_cbranch_execz .LBB6_12065
; %bb.12058:                            ;   in Loop: Header=BB6_11809 Depth=3
	v_cmp_ne_u16_e32 vcc, s80, v13
	v_bfrev_b32_e32 v7, 1
	s_and_saveexec_b64 s[34:35], vcc
	s_cbranch_execz .LBB6_12064
; %bb.12059:                            ;   in Loop: Header=BB6_11809 Depth=3
	v_and_b32_e32 v7, 0x7c, v13
	v_and_b32_e32 v16, 3, v13
	v_cmp_ne_u32_e32 vcc, s81, v7
                                        ; implicit-def: $vgpr7
	s_and_saveexec_b64 s[36:37], vcc
	s_xor_b64 s[36:37], exec, s[36:37]
	s_cbranch_execz .LBB6_12061
; %bb.12060:                            ;   in Loop: Header=BB6_11809 Depth=3
	v_ffbh_u32_e32 v18, v16
	v_min_u32_e32 v18, 32, v18
	v_and_b32_e32 v7, 0xff, v13
	v_mov_b32_e32 v14, v34
	v_subrev_u32_e32 v20, 29, v18
	v_bfe_u32 v7, v7, 2, 5
	v_lshlrev_b64 v[28:29], v20, v[13:14]
	v_sub_u32_e32 v14, 30, v18
	v_cmp_eq_u32_e32 vcc, 0, v7
	v_and_b32_e32 v18, 3, v28
	v_cndmask_b32_e32 v7, v7, v14, vcc
	v_and_b32_sdwa v13, sext(v13), s82 dst_sel:DWORD dst_unused:UNUSED_PAD src0_sel:WORD_0 src1_sel:DWORD
	v_cndmask_b32_e32 v14, v16, v18, vcc
	v_lshl_add_u32 v7, v7, 23, v13
	v_lshl_or_b32 v7, v14, 21, v7
	v_add_u32_e32 v7, 0x38000000, v7
                                        ; implicit-def: $vgpr16
                                        ; implicit-def: $vgpr13
.LBB6_12061:                            ;   in Loop: Header=BB6_11809 Depth=3
	s_andn2_saveexec_b64 s[36:37], s[36:37]
; %bb.12062:                            ;   in Loop: Header=BB6_11809 Depth=3
	v_cmp_lt_i16_e32 vcc, -1, v13
	v_mov_b32_e32 v7, 0xff800000
	v_mov_b32_e32 v13, 0x7f800000
	v_cndmask_b32_e32 v7, v7, v13, vcc
	v_cmp_eq_u32_e32 vcc, 0, v16
	v_mov_b32_e32 v13, 0x7f800001
	v_cndmask_b32_e32 v7, v13, v7, vcc
; %bb.12063:                            ;   in Loop: Header=BB6_11809 Depth=3
	s_or_b64 exec, exec, s[36:37]
.LBB6_12064:                            ;   in Loop: Header=BB6_11809 Depth=3
	s_or_b64 exec, exec, s[34:35]
.LBB6_12065:                            ;   in Loop: Header=BB6_11809 Depth=3
	s_or_b64 exec, exec, s[28:29]
	v_mul_f32_e32 v16, v15, v7
	v_and_b32_e32 v14, 0x7f800000, v16
	v_mov_b32_e32 v15, v34
	v_cmp_ne_u64_e32 vcc, s[76:77], v[14:15]
	v_and_b32_e32 v13, 0x7fffff, v16
	v_mov_b32_e32 v14, v34
                                        ; implicit-def: $vgpr15
	s_and_saveexec_b64 s[28:29], vcc
	s_xor_b64 s[34:35], exec, s[28:29]
	s_cbranch_execz .LBB6_12083
; %bb.12066:                            ;   in Loop: Header=BB6_11809 Depth=3
	v_and_b32_e32 v28, 0x7fffffff, v16
	v_mov_b32_e32 v29, v34
	v_cmp_gt_u64_e32 vcc, s[78:79], v[28:29]
	v_and_b32_sdwa v7, v16, s44 dst_sel:DWORD dst_unused:UNUSED_PAD src0_sel:BYTE_3 src1_sel:DWORD
                                        ; implicit-def: $vgpr15
	s_and_saveexec_b64 s[28:29], vcc
	s_xor_b64 s[36:37], exec, s[28:29]
	s_cbranch_execz .LBB6_12080
; %bb.12067:                            ;   in Loop: Header=BB6_11809 Depth=3
	v_cmp_ne_u32_e32 vcc, 0, v16
	v_mov_b32_e32 v15, 0
	s_and_saveexec_b64 s[38:39], vcc
	s_cbranch_execz .LBB6_12079
; %bb.12068:                            ;   in Loop: Header=BB6_11809 Depth=3
	v_bfe_u32 v16, v16, 23, 8
	v_cmp_gt_u32_e64 s[28:29], s45, v16
	v_sub_u32_e32 v15, 0x71, v16
	v_cmp_eq_u32_e32 vcc, 0, v16
	v_cndmask_b32_e64 v15, 0, v15, s[28:29]
	v_mov_b32_e32 v18, 0x70
	v_cndmask_b32_e32 v18, v15, v18, vcc
	v_add_u32_e32 v15, 21, v18
	v_or_b32_e32 v20, 0x800000, v13
	v_lshlrev_b64 v[28:29], v15, -1
	v_cndmask_b32_e32 v13, v20, v13, vcc
	v_add_u32_e32 v15, 20, v18
	v_bfi_b32 v28, v28, 0, v13
	v_lshlrev_b64 v[30:31], v15, 1
	v_lshrrev_b64 v[13:14], v18, v[13:14]
	v_bfi_b32 v29, v29, 0, 0
	v_cmp_eq_u64_e64 s[28:29], v[28:29], v[30:31]
	v_mov_b32_e32 v15, v14
	v_mov_b32_e32 v14, v13
	s_and_saveexec_b64 s[48:49], s[28:29]
; %bb.12069:                            ;   in Loop: Header=BB6_11809 Depth=3
	v_bfe_u32 v14, v13, 21, 1
	v_add_co_u32_e64 v14, s[28:29], v13, v14
	v_add_co_u32_e64 v14, s[28:29], -1, v14
; %bb.12070:                            ;   in Loop: Header=BB6_11809 Depth=3
	s_or_b64 exec, exec, s[48:49]
	v_add_u32_e32 v15, 0xffffff81, v16
	v_mov_b32_e32 v16, 0xffffff82
	v_cndmask_b32_e32 v15, v15, v16, vcc
	v_lshrrev_b32_e32 v16, 23, v13
	v_add3_u32 v18, v18, v15, v16
	v_add_u32_e32 v15, 14, v18
	v_and_b32_e32 v14, 0x1fffff, v14
	v_add_u32_e32 v13, v14, v13
	v_mov_b32_e32 v14, v34
	v_cmp_ne_u32_e32 vcc, 0, v15
                                        ; implicit-def: $vgpr16
	s_and_saveexec_b64 s[28:29], vcc
	s_xor_b64 s[28:29], exec, s[28:29]
; %bb.12071:                            ;   in Loop: Header=BB6_11809 Depth=3
	v_cmp_lt_u64_e32 vcc, s[88:89], v[13:14]
	v_add_u32_e32 v16, 15, v18
	v_cndmask_b32_e32 v16, v15, v16, vcc
	v_cndmask_b32_e64 v15, 0, 1, vcc
	v_lshrrev_b64 v[13:14], v15, v[13:14]
; %bb.12072:                            ;   in Loop: Header=BB6_11809 Depth=3
	s_andn2_saveexec_b64 s[28:29], s[28:29]
; %bb.12073:                            ;   in Loop: Header=BB6_11809 Depth=3
	v_bfe_u32 v16, v13, 23, 1
; %bb.12074:                            ;   in Loop: Header=BB6_11809 Depth=3
	s_or_b64 exec, exec, s[28:29]
	v_lshrrev_b64 v[13:14], 21, v[13:14]
	v_cmp_gt_i32_e32 vcc, 32, v16
	v_cndmask_b32_e32 v14, 0, v14, vcc
	v_cndmask_b32_e32 v13, 3, v13, vcc
	v_cmp_ne_u64_e32 vcc, 0, v[13:14]
	v_cmp_ne_u32_e64 s[28:29], 0, v16
	s_or_b64 s[28:29], s[28:29], vcc
                                        ; implicit-def: $vgpr15
	s_and_saveexec_b64 vcc, s[28:29]
	s_xor_b64 s[28:29], exec, vcc
; %bb.12075:                            ;   in Loop: Header=BB6_11809 Depth=3
	v_min_i32_e32 v14, 31, v16
	v_lshl_or_b32 v7, v14, 2, v7
	v_and_or_b32 v15, v13, 3, v7
                                        ; implicit-def: $vgpr7
; %bb.12076:                            ;   in Loop: Header=BB6_11809 Depth=3
	s_andn2_saveexec_b64 s[28:29], s[28:29]
; %bb.12077:                            ;   in Loop: Header=BB6_11809 Depth=3
	v_mov_b32_e32 v15, v7
; %bb.12078:                            ;   in Loop: Header=BB6_11809 Depth=3
	s_or_b64 exec, exec, s[28:29]
.LBB6_12079:                            ;   in Loop: Header=BB6_11809 Depth=3
	s_or_b64 exec, exec, s[38:39]
                                        ; implicit-def: $vgpr7
.LBB6_12080:                            ;   in Loop: Header=BB6_11809 Depth=3
	s_andn2_saveexec_b64 s[28:29], s[36:37]
; %bb.12081:                            ;   in Loop: Header=BB6_11809 Depth=3
	v_or_b32_e32 v15, 0x7b, v7
; %bb.12082:                            ;   in Loop: Header=BB6_11809 Depth=3
	s_or_b64 exec, exec, s[28:29]
                                        ; implicit-def: $vgpr16
                                        ; implicit-def: $vgpr13_vgpr14
.LBB6_12083:                            ;   in Loop: Header=BB6_11809 Depth=3
	s_andn2_saveexec_b64 s[28:29], s[34:35]
	s_cbranch_execz .LBB6_12089
; %bb.12084:                            ;   in Loop: Header=BB6_11809 Depth=3
	v_cmp_ne_u64_e32 vcc, 0, v[13:14]
                                        ; implicit-def: $vgpr15
	s_and_saveexec_b64 s[34:35], vcc
	s_xor_b64 vcc, exec, s[34:35]
; %bb.12085:                            ;   in Loop: Header=BB6_11809 Depth=3
	v_or_b32_sdwa v15, v16, s83 dst_sel:DWORD dst_unused:UNUSED_PAD src0_sel:BYTE_3 src1_sel:DWORD
                                        ; implicit-def: $vgpr16
; %bb.12086:                            ;   in Loop: Header=BB6_11809 Depth=3
	s_andn2_saveexec_b64 s[34:35], vcc
; %bb.12087:                            ;   in Loop: Header=BB6_11809 Depth=3
	v_cmp_lt_i32_e32 vcc, -1, v16
	v_mov_b32_e32 v7, 0x7c
	v_cndmask_b32_e32 v15, -4, v7, vcc
; %bb.12088:                            ;   in Loop: Header=BB6_11809 Depth=3
	s_or_b64 exec, exec, s[34:35]
.LBB6_12089:                            ;   in Loop: Header=BB6_11809 Depth=3
	s_or_b64 exec, exec, s[28:29]
	v_cmp_ne_u16_e32 vcc, 0, v12
	v_mov_b32_e32 v7, 0
	v_mov_b32_e32 v13, 0
	s_and_saveexec_b64 s[28:29], vcc
	s_cbranch_execz .LBB6_12097
; %bb.12090:                            ;   in Loop: Header=BB6_11809 Depth=3
	v_cmp_ne_u16_e32 vcc, s80, v12
	v_bfrev_b32_e32 v13, 1
	s_and_saveexec_b64 s[34:35], vcc
	s_cbranch_execz .LBB6_12096
; %bb.12091:                            ;   in Loop: Header=BB6_11809 Depth=3
	v_and_b32_e32 v13, 0x7c, v12
	v_and_b32_e32 v14, 3, v12
	v_cmp_ne_u32_e32 vcc, s81, v13
                                        ; implicit-def: $vgpr13
	s_and_saveexec_b64 s[36:37], vcc
	s_xor_b64 s[36:37], exec, s[36:37]
	s_cbranch_execz .LBB6_12093
; %bb.12092:                            ;   in Loop: Header=BB6_11809 Depth=3
	v_ffbh_u32_e32 v18, v14
	v_min_u32_e32 v18, 32, v18
	v_and_b32_e32 v16, 0xff, v12
	v_mov_b32_e32 v13, v34
	v_subrev_u32_e32 v20, 29, v18
	v_bfe_u32 v16, v16, 2, 5
	v_lshlrev_b64 v[28:29], v20, v[12:13]
	v_sub_u32_e32 v13, 30, v18
	v_cmp_eq_u32_e32 vcc, 0, v16
	v_and_b32_e32 v18, 3, v28
	v_cndmask_b32_e32 v13, v16, v13, vcc
	v_and_b32_sdwa v12, sext(v12), s82 dst_sel:DWORD dst_unused:UNUSED_PAD src0_sel:WORD_0 src1_sel:DWORD
	v_cndmask_b32_e32 v14, v14, v18, vcc
	v_lshl_add_u32 v12, v13, 23, v12
	v_lshl_or_b32 v12, v14, 21, v12
	v_add_u32_e32 v13, 0x38000000, v12
                                        ; implicit-def: $vgpr14
                                        ; implicit-def: $vgpr12
.LBB6_12093:                            ;   in Loop: Header=BB6_11809 Depth=3
	s_andn2_saveexec_b64 s[36:37], s[36:37]
; %bb.12094:                            ;   in Loop: Header=BB6_11809 Depth=3
	v_cmp_lt_i16_e32 vcc, -1, v12
	v_mov_b32_e32 v12, 0xff800000
	v_mov_b32_e32 v13, 0x7f800000
	v_cndmask_b32_e32 v12, v12, v13, vcc
	v_cmp_eq_u32_e32 vcc, 0, v14
	v_mov_b32_e32 v13, 0x7f800001
	v_cndmask_b32_e32 v13, v13, v12, vcc
; %bb.12095:                            ;   in Loop: Header=BB6_11809 Depth=3
	s_or_b64 exec, exec, s[36:37]
.LBB6_12096:                            ;   in Loop: Header=BB6_11809 Depth=3
	s_or_b64 exec, exec, s[34:35]
.LBB6_12097:                            ;   in Loop: Header=BB6_11809 Depth=3
	s_or_b64 exec, exec, s[28:29]
	v_cmp_ne_u16_e32 vcc, 0, v11
	s_and_saveexec_b64 s[28:29], vcc
	s_cbranch_execz .LBB6_12105
; %bb.12098:                            ;   in Loop: Header=BB6_11809 Depth=3
	v_cmp_ne_u16_e32 vcc, s80, v11
	v_bfrev_b32_e32 v7, 1
	s_and_saveexec_b64 s[34:35], vcc
	s_cbranch_execz .LBB6_12104
; %bb.12099:                            ;   in Loop: Header=BB6_11809 Depth=3
	v_and_b32_e32 v7, 0x7c, v11
	v_and_b32_e32 v14, 3, v11
	v_cmp_ne_u32_e32 vcc, s81, v7
                                        ; implicit-def: $vgpr7
	s_and_saveexec_b64 s[36:37], vcc
	s_xor_b64 s[36:37], exec, s[36:37]
	s_cbranch_execz .LBB6_12101
; %bb.12100:                            ;   in Loop: Header=BB6_11809 Depth=3
	v_ffbh_u32_e32 v16, v14
	v_min_u32_e32 v16, 32, v16
	v_and_b32_e32 v7, 0xff, v11
	v_mov_b32_e32 v12, v34
	v_subrev_u32_e32 v18, 29, v16
	v_bfe_u32 v7, v7, 2, 5
	v_lshlrev_b64 v[28:29], v18, v[11:12]
	v_sub_u32_e32 v12, 30, v16
	v_cmp_eq_u32_e32 vcc, 0, v7
	v_and_b32_e32 v16, 3, v28
	v_cndmask_b32_e32 v7, v7, v12, vcc
	v_and_b32_sdwa v11, sext(v11), s82 dst_sel:DWORD dst_unused:UNUSED_PAD src0_sel:WORD_0 src1_sel:DWORD
	v_cndmask_b32_e32 v12, v14, v16, vcc
	v_lshl_add_u32 v7, v7, 23, v11
	v_lshl_or_b32 v7, v12, 21, v7
	v_add_u32_e32 v7, 0x38000000, v7
                                        ; implicit-def: $vgpr14
                                        ; implicit-def: $vgpr11
.LBB6_12101:                            ;   in Loop: Header=BB6_11809 Depth=3
	s_andn2_saveexec_b64 s[36:37], s[36:37]
; %bb.12102:                            ;   in Loop: Header=BB6_11809 Depth=3
	v_cmp_lt_i16_e32 vcc, -1, v11
	v_mov_b32_e32 v7, 0xff800000
	v_mov_b32_e32 v11, 0x7f800000
	v_cndmask_b32_e32 v7, v7, v11, vcc
	v_cmp_eq_u32_e32 vcc, 0, v14
	v_mov_b32_e32 v11, 0x7f800001
	v_cndmask_b32_e32 v7, v11, v7, vcc
; %bb.12103:                            ;   in Loop: Header=BB6_11809 Depth=3
	s_or_b64 exec, exec, s[36:37]
.LBB6_12104:                            ;   in Loop: Header=BB6_11809 Depth=3
	s_or_b64 exec, exec, s[34:35]
.LBB6_12105:                            ;   in Loop: Header=BB6_11809 Depth=3
	s_or_b64 exec, exec, s[28:29]
	v_mul_f32_e32 v14, v13, v7
	v_and_b32_e32 v12, 0x7f800000, v14
	v_mov_b32_e32 v13, v34
	v_cmp_ne_u64_e32 vcc, s[76:77], v[12:13]
	v_and_b32_e32 v11, 0x7fffff, v14
	v_mov_b32_e32 v12, v34
                                        ; implicit-def: $vgpr13
	s_and_saveexec_b64 s[28:29], vcc
	s_xor_b64 s[34:35], exec, s[28:29]
	s_cbranch_execz .LBB6_12123
; %bb.12106:                            ;   in Loop: Header=BB6_11809 Depth=3
	v_and_b32_e32 v28, 0x7fffffff, v14
	v_mov_b32_e32 v29, v34
	v_cmp_gt_u64_e32 vcc, s[78:79], v[28:29]
	v_and_b32_sdwa v7, v14, s44 dst_sel:DWORD dst_unused:UNUSED_PAD src0_sel:BYTE_3 src1_sel:DWORD
                                        ; implicit-def: $vgpr13
	s_and_saveexec_b64 s[28:29], vcc
	s_xor_b64 s[36:37], exec, s[28:29]
	s_cbranch_execz .LBB6_12120
; %bb.12107:                            ;   in Loop: Header=BB6_11809 Depth=3
	v_cmp_ne_u32_e32 vcc, 0, v14
	v_mov_b32_e32 v13, 0
	s_and_saveexec_b64 s[38:39], vcc
	s_cbranch_execz .LBB6_12119
; %bb.12108:                            ;   in Loop: Header=BB6_11809 Depth=3
	v_bfe_u32 v14, v14, 23, 8
	v_cmp_gt_u32_e64 s[28:29], s45, v14
	v_sub_u32_e32 v13, 0x71, v14
	v_cmp_eq_u32_e32 vcc, 0, v14
	v_cndmask_b32_e64 v13, 0, v13, s[28:29]
	v_mov_b32_e32 v16, 0x70
	v_cndmask_b32_e32 v16, v13, v16, vcc
	v_add_u32_e32 v13, 21, v16
	v_or_b32_e32 v18, 0x800000, v11
	v_lshlrev_b64 v[28:29], v13, -1
	v_cndmask_b32_e32 v11, v18, v11, vcc
	v_add_u32_e32 v13, 20, v16
	v_bfi_b32 v28, v28, 0, v11
	v_lshlrev_b64 v[30:31], v13, 1
	v_lshrrev_b64 v[11:12], v16, v[11:12]
	v_bfi_b32 v29, v29, 0, 0
	v_cmp_eq_u64_e64 s[28:29], v[28:29], v[30:31]
	v_mov_b32_e32 v13, v12
	v_mov_b32_e32 v12, v11
	s_and_saveexec_b64 s[48:49], s[28:29]
; %bb.12109:                            ;   in Loop: Header=BB6_11809 Depth=3
	v_bfe_u32 v12, v11, 21, 1
	v_add_co_u32_e64 v12, s[28:29], v11, v12
	v_add_co_u32_e64 v12, s[28:29], -1, v12
; %bb.12110:                            ;   in Loop: Header=BB6_11809 Depth=3
	s_or_b64 exec, exec, s[48:49]
	v_add_u32_e32 v13, 0xffffff81, v14
	v_mov_b32_e32 v14, 0xffffff82
	v_cndmask_b32_e32 v13, v13, v14, vcc
	v_lshrrev_b32_e32 v14, 23, v11
	v_add3_u32 v16, v16, v13, v14
	v_add_u32_e32 v13, 14, v16
	v_and_b32_e32 v12, 0x1fffff, v12
	v_add_u32_e32 v11, v12, v11
	v_mov_b32_e32 v12, v34
	v_cmp_ne_u32_e32 vcc, 0, v13
                                        ; implicit-def: $vgpr14
	s_and_saveexec_b64 s[28:29], vcc
	s_xor_b64 s[28:29], exec, s[28:29]
; %bb.12111:                            ;   in Loop: Header=BB6_11809 Depth=3
	v_cmp_lt_u64_e32 vcc, s[88:89], v[11:12]
	v_add_u32_e32 v14, 15, v16
	v_cndmask_b32_e32 v14, v13, v14, vcc
	v_cndmask_b32_e64 v13, 0, 1, vcc
	v_lshrrev_b64 v[11:12], v13, v[11:12]
; %bb.12112:                            ;   in Loop: Header=BB6_11809 Depth=3
	s_andn2_saveexec_b64 s[28:29], s[28:29]
; %bb.12113:                            ;   in Loop: Header=BB6_11809 Depth=3
	v_bfe_u32 v14, v11, 23, 1
; %bb.12114:                            ;   in Loop: Header=BB6_11809 Depth=3
	s_or_b64 exec, exec, s[28:29]
	v_lshrrev_b64 v[11:12], 21, v[11:12]
	v_cmp_gt_i32_e32 vcc, 32, v14
	v_cndmask_b32_e32 v12, 0, v12, vcc
	v_cndmask_b32_e32 v11, 3, v11, vcc
	v_cmp_ne_u64_e32 vcc, 0, v[11:12]
	v_cmp_ne_u32_e64 s[28:29], 0, v14
	s_or_b64 s[28:29], s[28:29], vcc
                                        ; implicit-def: $vgpr13
	s_and_saveexec_b64 vcc, s[28:29]
	s_xor_b64 s[28:29], exec, vcc
; %bb.12115:                            ;   in Loop: Header=BB6_11809 Depth=3
	v_min_i32_e32 v12, 31, v14
	v_lshl_or_b32 v7, v12, 2, v7
	v_and_or_b32 v13, v11, 3, v7
                                        ; implicit-def: $vgpr7
; %bb.12116:                            ;   in Loop: Header=BB6_11809 Depth=3
	s_andn2_saveexec_b64 s[28:29], s[28:29]
; %bb.12117:                            ;   in Loop: Header=BB6_11809 Depth=3
	v_mov_b32_e32 v13, v7
; %bb.12118:                            ;   in Loop: Header=BB6_11809 Depth=3
	s_or_b64 exec, exec, s[28:29]
.LBB6_12119:                            ;   in Loop: Header=BB6_11809 Depth=3
	s_or_b64 exec, exec, s[38:39]
                                        ; implicit-def: $vgpr7
.LBB6_12120:                            ;   in Loop: Header=BB6_11809 Depth=3
	s_andn2_saveexec_b64 s[28:29], s[36:37]
; %bb.12121:                            ;   in Loop: Header=BB6_11809 Depth=3
	v_or_b32_e32 v13, 0x7b, v7
; %bb.12122:                            ;   in Loop: Header=BB6_11809 Depth=3
	s_or_b64 exec, exec, s[28:29]
                                        ; implicit-def: $vgpr14
                                        ; implicit-def: $vgpr11_vgpr12
.LBB6_12123:                            ;   in Loop: Header=BB6_11809 Depth=3
	s_andn2_saveexec_b64 s[28:29], s[34:35]
	s_cbranch_execz .LBB6_12129
; %bb.12124:                            ;   in Loop: Header=BB6_11809 Depth=3
	v_cmp_ne_u64_e32 vcc, 0, v[11:12]
                                        ; implicit-def: $vgpr13
	s_and_saveexec_b64 s[34:35], vcc
	s_xor_b64 vcc, exec, s[34:35]
; %bb.12125:                            ;   in Loop: Header=BB6_11809 Depth=3
	v_or_b32_sdwa v13, v14, s83 dst_sel:DWORD dst_unused:UNUSED_PAD src0_sel:BYTE_3 src1_sel:DWORD
                                        ; implicit-def: $vgpr14
; %bb.12126:                            ;   in Loop: Header=BB6_11809 Depth=3
	s_andn2_saveexec_b64 s[34:35], vcc
; %bb.12127:                            ;   in Loop: Header=BB6_11809 Depth=3
	v_cmp_lt_i32_e32 vcc, -1, v14
	v_mov_b32_e32 v7, 0x7c
	v_cndmask_b32_e32 v13, -4, v7, vcc
; %bb.12128:                            ;   in Loop: Header=BB6_11809 Depth=3
	s_or_b64 exec, exec, s[34:35]
.LBB6_12129:                            ;   in Loop: Header=BB6_11809 Depth=3
	s_or_b64 exec, exec, s[28:29]
	v_cmp_ne_u16_e32 vcc, 0, v10
	v_mov_b32_e32 v7, 0
	v_mov_b32_e32 v11, 0
	s_and_saveexec_b64 s[28:29], vcc
	s_cbranch_execz .LBB6_12137
; %bb.12130:                            ;   in Loop: Header=BB6_11809 Depth=3
	v_cmp_ne_u16_e32 vcc, s80, v10
	v_bfrev_b32_e32 v11, 1
	s_and_saveexec_b64 s[34:35], vcc
	s_cbranch_execz .LBB6_12136
; %bb.12131:                            ;   in Loop: Header=BB6_11809 Depth=3
	v_and_b32_e32 v11, 0x7c, v10
	v_and_b32_e32 v12, 3, v10
	v_cmp_ne_u32_e32 vcc, s81, v11
                                        ; implicit-def: $vgpr11
	s_and_saveexec_b64 s[36:37], vcc
	s_xor_b64 s[36:37], exec, s[36:37]
	s_cbranch_execz .LBB6_12133
; %bb.12132:                            ;   in Loop: Header=BB6_11809 Depth=3
	v_ffbh_u32_e32 v16, v12
	v_min_u32_e32 v16, 32, v16
	v_and_b32_e32 v14, 0xff, v10
	v_mov_b32_e32 v11, v34
	v_subrev_u32_e32 v18, 29, v16
	v_bfe_u32 v14, v14, 2, 5
	v_lshlrev_b64 v[28:29], v18, v[10:11]
	v_sub_u32_e32 v11, 30, v16
	v_cmp_eq_u32_e32 vcc, 0, v14
	v_and_b32_e32 v16, 3, v28
	v_cndmask_b32_e32 v11, v14, v11, vcc
	v_and_b32_sdwa v10, sext(v10), s82 dst_sel:DWORD dst_unused:UNUSED_PAD src0_sel:WORD_0 src1_sel:DWORD
	v_cndmask_b32_e32 v12, v12, v16, vcc
	v_lshl_add_u32 v10, v11, 23, v10
	v_lshl_or_b32 v10, v12, 21, v10
	v_add_u32_e32 v11, 0x38000000, v10
                                        ; implicit-def: $vgpr12
                                        ; implicit-def: $vgpr10
.LBB6_12133:                            ;   in Loop: Header=BB6_11809 Depth=3
	s_andn2_saveexec_b64 s[36:37], s[36:37]
; %bb.12134:                            ;   in Loop: Header=BB6_11809 Depth=3
	v_cmp_lt_i16_e32 vcc, -1, v10
	v_mov_b32_e32 v10, 0xff800000
	v_mov_b32_e32 v11, 0x7f800000
	v_cndmask_b32_e32 v10, v10, v11, vcc
	v_cmp_eq_u32_e32 vcc, 0, v12
	v_mov_b32_e32 v11, 0x7f800001
	v_cndmask_b32_e32 v11, v11, v10, vcc
; %bb.12135:                            ;   in Loop: Header=BB6_11809 Depth=3
	s_or_b64 exec, exec, s[36:37]
.LBB6_12136:                            ;   in Loop: Header=BB6_11809 Depth=3
	s_or_b64 exec, exec, s[34:35]
.LBB6_12137:                            ;   in Loop: Header=BB6_11809 Depth=3
	s_or_b64 exec, exec, s[28:29]
	v_cmp_ne_u16_e32 vcc, 0, v60
	s_and_saveexec_b64 s[28:29], vcc
	s_cbranch_execz .LBB6_12145
; %bb.12138:                            ;   in Loop: Header=BB6_11809 Depth=3
	v_cmp_ne_u16_e32 vcc, s80, v60
	v_bfrev_b32_e32 v7, 1
	s_and_saveexec_b64 s[34:35], vcc
	s_cbranch_execz .LBB6_12144
; %bb.12139:                            ;   in Loop: Header=BB6_11809 Depth=3
	v_and_b32_e32 v7, 0x7c, v60
	v_and_b32_e32 v10, 3, v60
	v_cmp_ne_u32_e32 vcc, s81, v7
                                        ; implicit-def: $vgpr7
	s_and_saveexec_b64 s[36:37], vcc
	s_xor_b64 s[36:37], exec, s[36:37]
	s_cbranch_execz .LBB6_12141
; %bb.12140:                            ;   in Loop: Header=BB6_11809 Depth=3
	v_ffbh_u32_e32 v12, v10
	v_min_u32_e32 v12, 32, v12
	v_and_b32_e32 v7, 0xff, v60
	v_mov_b32_e32 v61, v34
	v_subrev_u32_e32 v14, 29, v12
	v_bfe_u32 v7, v7, 2, 5
	v_lshlrev_b64 v[28:29], v14, v[60:61]
	v_sub_u32_e32 v12, 30, v12
	v_cmp_eq_u32_e32 vcc, 0, v7
	v_and_b32_e32 v14, 3, v28
	v_cndmask_b32_e32 v7, v7, v12, vcc
	v_and_b32_sdwa v12, sext(v60), s82 dst_sel:DWORD dst_unused:UNUSED_PAD src0_sel:WORD_0 src1_sel:DWORD
	v_cndmask_b32_e32 v10, v10, v14, vcc
	v_lshl_add_u32 v7, v7, 23, v12
	v_lshl_or_b32 v7, v10, 21, v7
	v_add_u32_e32 v7, 0x38000000, v7
                                        ; implicit-def: $vgpr10
                                        ; implicit-def: $vgpr60
.LBB6_12141:                            ;   in Loop: Header=BB6_11809 Depth=3
	s_andn2_saveexec_b64 s[36:37], s[36:37]
; %bb.12142:                            ;   in Loop: Header=BB6_11809 Depth=3
	v_cmp_lt_i16_e32 vcc, -1, v60
	v_mov_b32_e32 v7, 0xff800000
	v_mov_b32_e32 v12, 0x7f800000
	v_cndmask_b32_e32 v7, v7, v12, vcc
	v_cmp_eq_u32_e32 vcc, 0, v10
	v_mov_b32_e32 v10, 0x7f800001
	v_cndmask_b32_e32 v7, v10, v7, vcc
; %bb.12143:                            ;   in Loop: Header=BB6_11809 Depth=3
	s_or_b64 exec, exec, s[36:37]
.LBB6_12144:                            ;   in Loop: Header=BB6_11809 Depth=3
	s_or_b64 exec, exec, s[34:35]
.LBB6_12145:                            ;   in Loop: Header=BB6_11809 Depth=3
	s_or_b64 exec, exec, s[28:29]
	v_mul_f32_e32 v12, v11, v7
	v_and_b32_e32 v28, 0x7f800000, v12
	v_mov_b32_e32 v29, v34
	v_cmp_ne_u64_e32 vcc, s[76:77], v[28:29]
	v_and_b32_e32 v10, 0x7fffff, v12
	v_mov_b32_e32 v11, v34
                                        ; implicit-def: $vgpr14
	s_and_saveexec_b64 s[28:29], vcc
	s_xor_b64 s[34:35], exec, s[28:29]
	s_cbranch_execz .LBB6_12163
; %bb.12146:                            ;   in Loop: Header=BB6_11809 Depth=3
	v_and_b32_e32 v28, 0x7fffffff, v12
	v_mov_b32_e32 v29, v34
	v_cmp_gt_u64_e32 vcc, s[78:79], v[28:29]
	v_and_b32_sdwa v7, v12, s44 dst_sel:DWORD dst_unused:UNUSED_PAD src0_sel:BYTE_3 src1_sel:DWORD
                                        ; implicit-def: $vgpr14
	s_and_saveexec_b64 s[28:29], vcc
	s_xor_b64 s[36:37], exec, s[28:29]
	s_cbranch_execz .LBB6_12160
; %bb.12147:                            ;   in Loop: Header=BB6_11809 Depth=3
	v_cmp_ne_u32_e32 vcc, 0, v12
	v_mov_b32_e32 v14, 0
	s_and_saveexec_b64 s[38:39], vcc
	s_cbranch_execz .LBB6_12159
; %bb.12148:                            ;   in Loop: Header=BB6_11809 Depth=3
	v_bfe_u32 v14, v12, 23, 8
	v_cmp_gt_u32_e64 s[28:29], s45, v14
	v_sub_u32_e32 v12, 0x71, v14
	v_cmp_eq_u32_e32 vcc, 0, v14
	v_cndmask_b32_e64 v12, 0, v12, s[28:29]
	v_mov_b32_e32 v16, 0x70
	v_cndmask_b32_e32 v16, v12, v16, vcc
	v_add_u32_e32 v12, 21, v16
	v_or_b32_e32 v18, 0x800000, v10
	v_lshlrev_b64 v[28:29], v12, -1
	v_cndmask_b32_e32 v10, v18, v10, vcc
	v_add_u32_e32 v12, 20, v16
	v_bfi_b32 v28, v28, 0, v10
	v_lshlrev_b64 v[30:31], v12, 1
	v_lshrrev_b64 v[10:11], v16, v[10:11]
	v_bfi_b32 v29, v29, 0, 0
	v_cmp_eq_u64_e64 s[28:29], v[28:29], v[30:31]
	v_mov_b32_e32 v12, v11
	v_mov_b32_e32 v11, v10
	s_and_saveexec_b64 s[48:49], s[28:29]
; %bb.12149:                            ;   in Loop: Header=BB6_11809 Depth=3
	v_bfe_u32 v11, v10, 21, 1
	v_add_co_u32_e64 v11, s[28:29], v10, v11
	v_add_co_u32_e64 v11, s[28:29], -1, v11
; %bb.12150:                            ;   in Loop: Header=BB6_11809 Depth=3
	s_or_b64 exec, exec, s[48:49]
	v_add_u32_e32 v12, 0xffffff81, v14
	v_mov_b32_e32 v14, 0xffffff82
	v_cndmask_b32_e32 v12, v12, v14, vcc
	v_lshrrev_b32_e32 v14, 23, v10
	v_add3_u32 v16, v16, v12, v14
	v_add_u32_e32 v14, 14, v16
	v_and_b32_e32 v11, 0x1fffff, v11
	v_add_u32_e32 v10, v11, v10
	v_mov_b32_e32 v11, v34
	v_cmp_ne_u32_e32 vcc, 0, v14
                                        ; implicit-def: $vgpr12
	s_and_saveexec_b64 s[28:29], vcc
	s_xor_b64 s[28:29], exec, s[28:29]
; %bb.12151:                            ;   in Loop: Header=BB6_11809 Depth=3
	v_cmp_lt_u64_e32 vcc, s[88:89], v[10:11]
	v_add_u32_e32 v12, 15, v16
	v_cndmask_b32_e32 v12, v14, v12, vcc
	v_cndmask_b32_e64 v14, 0, 1, vcc
	v_lshrrev_b64 v[10:11], v14, v[10:11]
; %bb.12152:                            ;   in Loop: Header=BB6_11809 Depth=3
	s_andn2_saveexec_b64 s[28:29], s[28:29]
; %bb.12153:                            ;   in Loop: Header=BB6_11809 Depth=3
	v_bfe_u32 v12, v10, 23, 1
; %bb.12154:                            ;   in Loop: Header=BB6_11809 Depth=3
	s_or_b64 exec, exec, s[28:29]
	v_lshrrev_b64 v[10:11], 21, v[10:11]
	v_cmp_gt_i32_e32 vcc, 32, v12
	v_cndmask_b32_e32 v11, 0, v11, vcc
	v_cndmask_b32_e32 v10, 3, v10, vcc
	v_cmp_ne_u64_e32 vcc, 0, v[10:11]
	v_cmp_ne_u32_e64 s[28:29], 0, v12
	s_or_b64 s[28:29], s[28:29], vcc
                                        ; implicit-def: $vgpr14
	s_and_saveexec_b64 vcc, s[28:29]
	s_xor_b64 s[28:29], exec, vcc
; %bb.12155:                            ;   in Loop: Header=BB6_11809 Depth=3
	v_min_i32_e32 v11, 31, v12
	v_lshl_or_b32 v7, v11, 2, v7
	v_and_or_b32 v14, v10, 3, v7
                                        ; implicit-def: $vgpr7
; %bb.12156:                            ;   in Loop: Header=BB6_11809 Depth=3
	s_andn2_saveexec_b64 s[28:29], s[28:29]
; %bb.12157:                            ;   in Loop: Header=BB6_11809 Depth=3
	v_mov_b32_e32 v14, v7
; %bb.12158:                            ;   in Loop: Header=BB6_11809 Depth=3
	s_or_b64 exec, exec, s[28:29]
.LBB6_12159:                            ;   in Loop: Header=BB6_11809 Depth=3
	s_or_b64 exec, exec, s[38:39]
                                        ; implicit-def: $vgpr7
.LBB6_12160:                            ;   in Loop: Header=BB6_11809 Depth=3
	s_andn2_saveexec_b64 s[28:29], s[36:37]
; %bb.12161:                            ;   in Loop: Header=BB6_11809 Depth=3
	v_or_b32_e32 v14, 0x7b, v7
; %bb.12162:                            ;   in Loop: Header=BB6_11809 Depth=3
	s_or_b64 exec, exec, s[28:29]
                                        ; implicit-def: $vgpr12
                                        ; implicit-def: $vgpr10_vgpr11
.LBB6_12163:                            ;   in Loop: Header=BB6_11809 Depth=3
	s_andn2_saveexec_b64 s[28:29], s[34:35]
	s_cbranch_execz .LBB6_12169
; %bb.12164:                            ;   in Loop: Header=BB6_11809 Depth=3
	v_cmp_ne_u64_e32 vcc, 0, v[10:11]
                                        ; implicit-def: $vgpr14
	s_and_saveexec_b64 s[34:35], vcc
	s_xor_b64 vcc, exec, s[34:35]
; %bb.12165:                            ;   in Loop: Header=BB6_11809 Depth=3
	v_or_b32_sdwa v14, v12, s83 dst_sel:DWORD dst_unused:UNUSED_PAD src0_sel:BYTE_3 src1_sel:DWORD
                                        ; implicit-def: $vgpr12
; %bb.12166:                            ;   in Loop: Header=BB6_11809 Depth=3
	s_andn2_saveexec_b64 s[34:35], vcc
; %bb.12167:                            ;   in Loop: Header=BB6_11809 Depth=3
	v_cmp_lt_i32_e32 vcc, -1, v12
	v_mov_b32_e32 v7, 0x7c
	v_cndmask_b32_e32 v14, -4, v7, vcc
; %bb.12168:                            ;   in Loop: Header=BB6_11809 Depth=3
	s_or_b64 exec, exec, s[34:35]
.LBB6_12169:                            ;   in Loop: Header=BB6_11809 Depth=3
	s_or_b64 exec, exec, s[28:29]
	v_cmp_ne_u16_e32 vcc, 0, v59
	v_mov_b32_e32 v7, 0
	v_mov_b32_e32 v10, 0
	s_and_saveexec_b64 s[28:29], vcc
	s_cbranch_execz .LBB6_12177
; %bb.12170:                            ;   in Loop: Header=BB6_11809 Depth=3
	v_cmp_ne_u16_e32 vcc, s80, v59
	v_bfrev_b32_e32 v10, 1
	s_and_saveexec_b64 s[34:35], vcc
	s_cbranch_execz .LBB6_12176
; %bb.12171:                            ;   in Loop: Header=BB6_11809 Depth=3
	v_and_b32_e32 v10, 0x7c, v59
	v_and_b32_e32 v11, 3, v59
	v_cmp_ne_u32_e32 vcc, s81, v10
                                        ; implicit-def: $vgpr10
	s_and_saveexec_b64 s[36:37], vcc
	s_xor_b64 s[36:37], exec, s[36:37]
	s_cbranch_execz .LBB6_12173
; %bb.12172:                            ;   in Loop: Header=BB6_11809 Depth=3
	v_ffbh_u32_e32 v12, v11
	v_min_u32_e32 v12, 32, v12
	v_and_b32_e32 v10, 0xff, v59
	v_mov_b32_e32 v60, v34
	v_subrev_u32_e32 v16, 29, v12
	v_bfe_u32 v10, v10, 2, 5
	v_lshlrev_b64 v[28:29], v16, v[59:60]
	v_sub_u32_e32 v12, 30, v12
	v_cmp_eq_u32_e32 vcc, 0, v10
	v_and_b32_e32 v16, 3, v28
	v_cndmask_b32_e32 v10, v10, v12, vcc
	v_and_b32_sdwa v12, sext(v59), s82 dst_sel:DWORD dst_unused:UNUSED_PAD src0_sel:WORD_0 src1_sel:DWORD
	v_cndmask_b32_e32 v11, v11, v16, vcc
	v_lshl_add_u32 v10, v10, 23, v12
	v_lshl_or_b32 v10, v11, 21, v10
	v_add_u32_e32 v10, 0x38000000, v10
                                        ; implicit-def: $vgpr11
                                        ; implicit-def: $vgpr59
.LBB6_12173:                            ;   in Loop: Header=BB6_11809 Depth=3
	s_andn2_saveexec_b64 s[36:37], s[36:37]
; %bb.12174:                            ;   in Loop: Header=BB6_11809 Depth=3
	v_cmp_lt_i16_e32 vcc, -1, v59
	v_mov_b32_e32 v10, 0xff800000
	v_mov_b32_e32 v12, 0x7f800000
	v_cndmask_b32_e32 v10, v10, v12, vcc
	v_cmp_eq_u32_e32 vcc, 0, v11
	v_mov_b32_e32 v11, 0x7f800001
	v_cndmask_b32_e32 v10, v11, v10, vcc
; %bb.12175:                            ;   in Loop: Header=BB6_11809 Depth=3
	s_or_b64 exec, exec, s[36:37]
.LBB6_12176:                            ;   in Loop: Header=BB6_11809 Depth=3
	s_or_b64 exec, exec, s[34:35]
.LBB6_12177:                            ;   in Loop: Header=BB6_11809 Depth=3
	s_or_b64 exec, exec, s[28:29]
	v_cmp_ne_u16_e32 vcc, 0, v46
	s_and_saveexec_b64 s[28:29], vcc
	s_cbranch_execz .LBB6_12185
; %bb.12178:                            ;   in Loop: Header=BB6_11809 Depth=3
	v_cmp_ne_u16_e32 vcc, s80, v46
	v_bfrev_b32_e32 v7, 1
	s_and_saveexec_b64 s[34:35], vcc
	s_cbranch_execz .LBB6_12184
; %bb.12179:                            ;   in Loop: Header=BB6_11809 Depth=3
	v_and_b32_e32 v7, 0x7c, v46
	v_and_b32_e32 v11, 3, v46
	v_cmp_ne_u32_e32 vcc, s81, v7
                                        ; implicit-def: $vgpr7
	s_and_saveexec_b64 s[36:37], vcc
	s_xor_b64 s[36:37], exec, s[36:37]
	s_cbranch_execz .LBB6_12181
; %bb.12180:                            ;   in Loop: Header=BB6_11809 Depth=3
	v_ffbh_u32_e32 v12, v11
	v_min_u32_e32 v12, 32, v12
	v_and_b32_e32 v7, 0xff, v46
	v_mov_b32_e32 v47, v34
	v_subrev_u32_e32 v16, 29, v12
	v_bfe_u32 v7, v7, 2, 5
	v_lshlrev_b64 v[28:29], v16, v[46:47]
	v_sub_u32_e32 v12, 30, v12
	v_cmp_eq_u32_e32 vcc, 0, v7
	v_and_b32_e32 v16, 3, v28
	v_cndmask_b32_e32 v7, v7, v12, vcc
	v_and_b32_sdwa v12, sext(v46), s82 dst_sel:DWORD dst_unused:UNUSED_PAD src0_sel:WORD_0 src1_sel:DWORD
	v_cndmask_b32_e32 v11, v11, v16, vcc
	v_lshl_add_u32 v7, v7, 23, v12
	v_lshl_or_b32 v7, v11, 21, v7
	v_add_u32_e32 v7, 0x38000000, v7
                                        ; implicit-def: $vgpr11
                                        ; implicit-def: $vgpr46
.LBB6_12181:                            ;   in Loop: Header=BB6_11809 Depth=3
	s_andn2_saveexec_b64 s[36:37], s[36:37]
; %bb.12182:                            ;   in Loop: Header=BB6_11809 Depth=3
	v_cmp_lt_i16_e32 vcc, -1, v46
	v_mov_b32_e32 v7, 0xff800000
	v_mov_b32_e32 v12, 0x7f800000
	v_cndmask_b32_e32 v7, v7, v12, vcc
	v_cmp_eq_u32_e32 vcc, 0, v11
	v_mov_b32_e32 v11, 0x7f800001
	v_cndmask_b32_e32 v7, v11, v7, vcc
; %bb.12183:                            ;   in Loop: Header=BB6_11809 Depth=3
	s_or_b64 exec, exec, s[36:37]
.LBB6_12184:                            ;   in Loop: Header=BB6_11809 Depth=3
	s_or_b64 exec, exec, s[34:35]
.LBB6_12185:                            ;   in Loop: Header=BB6_11809 Depth=3
	s_or_b64 exec, exec, s[28:29]
	v_mul_f32_e32 v12, v10, v7
	v_and_b32_e32 v28, 0x7f800000, v12
	v_mov_b32_e32 v29, v34
	v_cmp_ne_u64_e32 vcc, s[76:77], v[28:29]
	v_and_b32_e32 v10, 0x7fffff, v12
	v_mov_b32_e32 v11, v34
                                        ; implicit-def: $vgpr16
	s_and_saveexec_b64 s[28:29], vcc
	s_xor_b64 s[34:35], exec, s[28:29]
	s_cbranch_execz .LBB6_12203
; %bb.12186:                            ;   in Loop: Header=BB6_11809 Depth=3
	v_and_b32_e32 v28, 0x7fffffff, v12
	v_mov_b32_e32 v29, v34
	v_cmp_gt_u64_e32 vcc, s[78:79], v[28:29]
	v_and_b32_sdwa v7, v12, s44 dst_sel:DWORD dst_unused:UNUSED_PAD src0_sel:BYTE_3 src1_sel:DWORD
                                        ; implicit-def: $vgpr16
	s_and_saveexec_b64 s[28:29], vcc
	s_xor_b64 s[36:37], exec, s[28:29]
	s_cbranch_execz .LBB6_12200
; %bb.12187:                            ;   in Loop: Header=BB6_11809 Depth=3
	v_cmp_ne_u32_e32 vcc, 0, v12
	v_mov_b32_e32 v16, 0
	s_and_saveexec_b64 s[38:39], vcc
	s_cbranch_execz .LBB6_12199
; %bb.12188:                            ;   in Loop: Header=BB6_11809 Depth=3
	v_bfe_u32 v16, v12, 23, 8
	v_cmp_gt_u32_e64 s[28:29], s45, v16
	v_sub_u32_e32 v12, 0x71, v16
	v_cmp_eq_u32_e32 vcc, 0, v16
	v_cndmask_b32_e64 v12, 0, v12, s[28:29]
	v_mov_b32_e32 v18, 0x70
	v_cndmask_b32_e32 v18, v12, v18, vcc
	v_add_u32_e32 v12, 21, v18
	v_or_b32_e32 v20, 0x800000, v10
	v_lshlrev_b64 v[28:29], v12, -1
	v_cndmask_b32_e32 v10, v20, v10, vcc
	v_add_u32_e32 v12, 20, v18
	v_bfi_b32 v28, v28, 0, v10
	v_lshlrev_b64 v[30:31], v12, 1
	v_lshrrev_b64 v[10:11], v18, v[10:11]
	v_bfi_b32 v29, v29, 0, 0
	v_cmp_eq_u64_e64 s[28:29], v[28:29], v[30:31]
	v_mov_b32_e32 v12, v11
	v_mov_b32_e32 v11, v10
	s_and_saveexec_b64 s[48:49], s[28:29]
; %bb.12189:                            ;   in Loop: Header=BB6_11809 Depth=3
	v_bfe_u32 v11, v10, 21, 1
	v_add_co_u32_e64 v11, s[28:29], v10, v11
	v_add_co_u32_e64 v11, s[28:29], -1, v11
; %bb.12190:                            ;   in Loop: Header=BB6_11809 Depth=3
	s_or_b64 exec, exec, s[48:49]
	v_add_u32_e32 v12, 0xffffff81, v16
	v_mov_b32_e32 v16, 0xffffff82
	v_cndmask_b32_e32 v12, v12, v16, vcc
	v_lshrrev_b32_e32 v16, 23, v10
	v_add3_u32 v18, v18, v12, v16
	v_add_u32_e32 v16, 14, v18
	v_and_b32_e32 v11, 0x1fffff, v11
	v_add_u32_e32 v10, v11, v10
	v_mov_b32_e32 v11, v34
	v_cmp_ne_u32_e32 vcc, 0, v16
                                        ; implicit-def: $vgpr12
	s_and_saveexec_b64 s[28:29], vcc
	s_xor_b64 s[28:29], exec, s[28:29]
; %bb.12191:                            ;   in Loop: Header=BB6_11809 Depth=3
	v_cmp_lt_u64_e32 vcc, s[88:89], v[10:11]
	v_add_u32_e32 v12, 15, v18
	v_cndmask_b32_e32 v12, v16, v12, vcc
	v_cndmask_b32_e64 v16, 0, 1, vcc
	v_lshrrev_b64 v[10:11], v16, v[10:11]
; %bb.12192:                            ;   in Loop: Header=BB6_11809 Depth=3
	s_andn2_saveexec_b64 s[28:29], s[28:29]
; %bb.12193:                            ;   in Loop: Header=BB6_11809 Depth=3
	v_bfe_u32 v12, v10, 23, 1
; %bb.12194:                            ;   in Loop: Header=BB6_11809 Depth=3
	s_or_b64 exec, exec, s[28:29]
	v_lshrrev_b64 v[10:11], 21, v[10:11]
	v_cmp_gt_i32_e32 vcc, 32, v12
	v_cndmask_b32_e32 v11, 0, v11, vcc
	v_cndmask_b32_e32 v10, 3, v10, vcc
	v_cmp_ne_u64_e32 vcc, 0, v[10:11]
	v_cmp_ne_u32_e64 s[28:29], 0, v12
	s_or_b64 s[28:29], s[28:29], vcc
                                        ; implicit-def: $vgpr16
	s_and_saveexec_b64 vcc, s[28:29]
	s_xor_b64 s[28:29], exec, vcc
; %bb.12195:                            ;   in Loop: Header=BB6_11809 Depth=3
	v_min_i32_e32 v11, 31, v12
	v_lshl_or_b32 v7, v11, 2, v7
	v_and_or_b32 v16, v10, 3, v7
                                        ; implicit-def: $vgpr7
; %bb.12196:                            ;   in Loop: Header=BB6_11809 Depth=3
	s_andn2_saveexec_b64 s[28:29], s[28:29]
; %bb.12197:                            ;   in Loop: Header=BB6_11809 Depth=3
	v_mov_b32_e32 v16, v7
; %bb.12198:                            ;   in Loop: Header=BB6_11809 Depth=3
	s_or_b64 exec, exec, s[28:29]
.LBB6_12199:                            ;   in Loop: Header=BB6_11809 Depth=3
	s_or_b64 exec, exec, s[38:39]
                                        ; implicit-def: $vgpr7
.LBB6_12200:                            ;   in Loop: Header=BB6_11809 Depth=3
	s_andn2_saveexec_b64 s[28:29], s[36:37]
; %bb.12201:                            ;   in Loop: Header=BB6_11809 Depth=3
	v_or_b32_e32 v16, 0x7b, v7
; %bb.12202:                            ;   in Loop: Header=BB6_11809 Depth=3
	s_or_b64 exec, exec, s[28:29]
                                        ; implicit-def: $vgpr12
                                        ; implicit-def: $vgpr10_vgpr11
.LBB6_12203:                            ;   in Loop: Header=BB6_11809 Depth=3
	s_andn2_saveexec_b64 s[28:29], s[34:35]
	s_cbranch_execz .LBB6_12209
; %bb.12204:                            ;   in Loop: Header=BB6_11809 Depth=3
	v_cmp_ne_u64_e32 vcc, 0, v[10:11]
                                        ; implicit-def: $vgpr16
	s_and_saveexec_b64 s[34:35], vcc
	s_xor_b64 vcc, exec, s[34:35]
; %bb.12205:                            ;   in Loop: Header=BB6_11809 Depth=3
	v_or_b32_sdwa v16, v12, s83 dst_sel:DWORD dst_unused:UNUSED_PAD src0_sel:BYTE_3 src1_sel:DWORD
                                        ; implicit-def: $vgpr12
; %bb.12206:                            ;   in Loop: Header=BB6_11809 Depth=3
	s_andn2_saveexec_b64 s[34:35], vcc
; %bb.12207:                            ;   in Loop: Header=BB6_11809 Depth=3
	v_cmp_lt_i32_e32 vcc, -1, v12
	v_mov_b32_e32 v7, 0x7c
	v_cndmask_b32_e32 v16, -4, v7, vcc
; %bb.12208:                            ;   in Loop: Header=BB6_11809 Depth=3
	s_or_b64 exec, exec, s[34:35]
.LBB6_12209:                            ;   in Loop: Header=BB6_11809 Depth=3
	s_or_b64 exec, exec, s[28:29]
	v_cmp_ne_u16_e32 vcc, 0, v45
	v_mov_b32_e32 v7, 0
	v_mov_b32_e32 v10, 0
	s_and_saveexec_b64 s[28:29], vcc
	s_cbranch_execz .LBB6_12217
; %bb.12210:                            ;   in Loop: Header=BB6_11809 Depth=3
	v_cmp_ne_u16_e32 vcc, s80, v45
	v_bfrev_b32_e32 v10, 1
	s_and_saveexec_b64 s[34:35], vcc
	s_cbranch_execz .LBB6_12216
; %bb.12211:                            ;   in Loop: Header=BB6_11809 Depth=3
	v_and_b32_e32 v10, 0x7c, v45
	v_and_b32_e32 v11, 3, v45
	v_cmp_ne_u32_e32 vcc, s81, v10
                                        ; implicit-def: $vgpr10
	s_and_saveexec_b64 s[36:37], vcc
	s_xor_b64 s[36:37], exec, s[36:37]
	s_cbranch_execz .LBB6_12213
; %bb.12212:                            ;   in Loop: Header=BB6_11809 Depth=3
	v_ffbh_u32_e32 v12, v11
	v_min_u32_e32 v12, 32, v12
	v_and_b32_e32 v10, 0xff, v45
	v_mov_b32_e32 v46, v34
	v_subrev_u32_e32 v18, 29, v12
	v_bfe_u32 v10, v10, 2, 5
	v_lshlrev_b64 v[28:29], v18, v[45:46]
	v_sub_u32_e32 v12, 30, v12
	v_cmp_eq_u32_e32 vcc, 0, v10
	v_and_b32_e32 v18, 3, v28
	v_cndmask_b32_e32 v10, v10, v12, vcc
	v_and_b32_sdwa v12, sext(v45), s82 dst_sel:DWORD dst_unused:UNUSED_PAD src0_sel:WORD_0 src1_sel:DWORD
	v_cndmask_b32_e32 v11, v11, v18, vcc
	v_lshl_add_u32 v10, v10, 23, v12
	v_lshl_or_b32 v10, v11, 21, v10
	v_add_u32_e32 v10, 0x38000000, v10
                                        ; implicit-def: $vgpr11
                                        ; implicit-def: $vgpr45
.LBB6_12213:                            ;   in Loop: Header=BB6_11809 Depth=3
	s_andn2_saveexec_b64 s[36:37], s[36:37]
; %bb.12214:                            ;   in Loop: Header=BB6_11809 Depth=3
	v_cmp_lt_i16_e32 vcc, -1, v45
	v_mov_b32_e32 v10, 0xff800000
	v_mov_b32_e32 v12, 0x7f800000
	v_cndmask_b32_e32 v10, v10, v12, vcc
	v_cmp_eq_u32_e32 vcc, 0, v11
	v_mov_b32_e32 v11, 0x7f800001
	v_cndmask_b32_e32 v10, v11, v10, vcc
; %bb.12215:                            ;   in Loop: Header=BB6_11809 Depth=3
	s_or_b64 exec, exec, s[36:37]
.LBB6_12216:                            ;   in Loop: Header=BB6_11809 Depth=3
	s_or_b64 exec, exec, s[34:35]
.LBB6_12217:                            ;   in Loop: Header=BB6_11809 Depth=3
	s_or_b64 exec, exec, s[28:29]
	v_cmp_ne_u16_e32 vcc, 0, v40
	s_and_saveexec_b64 s[28:29], vcc
	s_cbranch_execz .LBB6_12225
; %bb.12218:                            ;   in Loop: Header=BB6_11809 Depth=3
	v_cmp_ne_u16_e32 vcc, s80, v40
	v_bfrev_b32_e32 v7, 1
	s_and_saveexec_b64 s[34:35], vcc
	s_cbranch_execz .LBB6_12224
; %bb.12219:                            ;   in Loop: Header=BB6_11809 Depth=3
	v_and_b32_e32 v7, 0x7c, v40
	v_and_b32_e32 v11, 3, v40
	v_cmp_ne_u32_e32 vcc, s81, v7
                                        ; implicit-def: $vgpr7
	s_and_saveexec_b64 s[36:37], vcc
	s_xor_b64 s[36:37], exec, s[36:37]
	s_cbranch_execz .LBB6_12221
; %bb.12220:                            ;   in Loop: Header=BB6_11809 Depth=3
	v_ffbh_u32_e32 v12, v11
	v_min_u32_e32 v12, 32, v12
	v_and_b32_e32 v7, 0xff, v40
	v_mov_b32_e32 v41, v34
	v_subrev_u32_e32 v18, 29, v12
	v_bfe_u32 v7, v7, 2, 5
	v_lshlrev_b64 v[28:29], v18, v[40:41]
	v_sub_u32_e32 v12, 30, v12
	v_cmp_eq_u32_e32 vcc, 0, v7
	v_and_b32_e32 v18, 3, v28
	v_cndmask_b32_e32 v7, v7, v12, vcc
	v_and_b32_sdwa v12, sext(v40), s82 dst_sel:DWORD dst_unused:UNUSED_PAD src0_sel:WORD_0 src1_sel:DWORD
	v_cndmask_b32_e32 v11, v11, v18, vcc
	v_lshl_add_u32 v7, v7, 23, v12
	v_lshl_or_b32 v7, v11, 21, v7
	v_add_u32_e32 v7, 0x38000000, v7
                                        ; implicit-def: $vgpr11
                                        ; implicit-def: $vgpr40
.LBB6_12221:                            ;   in Loop: Header=BB6_11809 Depth=3
	s_andn2_saveexec_b64 s[36:37], s[36:37]
; %bb.12222:                            ;   in Loop: Header=BB6_11809 Depth=3
	v_cmp_lt_i16_e32 vcc, -1, v40
	v_mov_b32_e32 v7, 0xff800000
	v_mov_b32_e32 v12, 0x7f800000
	v_cndmask_b32_e32 v7, v7, v12, vcc
	v_cmp_eq_u32_e32 vcc, 0, v11
	v_mov_b32_e32 v11, 0x7f800001
	v_cndmask_b32_e32 v7, v11, v7, vcc
; %bb.12223:                            ;   in Loop: Header=BB6_11809 Depth=3
	s_or_b64 exec, exec, s[36:37]
.LBB6_12224:                            ;   in Loop: Header=BB6_11809 Depth=3
	s_or_b64 exec, exec, s[34:35]
.LBB6_12225:                            ;   in Loop: Header=BB6_11809 Depth=3
	s_or_b64 exec, exec, s[28:29]
	v_mul_f32_e32 v12, v10, v7
	v_and_b32_e32 v28, 0x7f800000, v12
	v_mov_b32_e32 v29, v34
	v_cmp_ne_u64_e32 vcc, s[76:77], v[28:29]
	v_and_b32_e32 v10, 0x7fffff, v12
	v_mov_b32_e32 v11, v34
                                        ; implicit-def: $vgpr18
	s_and_saveexec_b64 s[28:29], vcc
	s_xor_b64 s[34:35], exec, s[28:29]
	s_cbranch_execz .LBB6_12243
; %bb.12226:                            ;   in Loop: Header=BB6_11809 Depth=3
	v_and_b32_e32 v28, 0x7fffffff, v12
	v_mov_b32_e32 v29, v34
	v_cmp_gt_u64_e32 vcc, s[78:79], v[28:29]
	v_and_b32_sdwa v7, v12, s44 dst_sel:DWORD dst_unused:UNUSED_PAD src0_sel:BYTE_3 src1_sel:DWORD
                                        ; implicit-def: $vgpr18
	s_and_saveexec_b64 s[28:29], vcc
	s_xor_b64 s[36:37], exec, s[28:29]
	s_cbranch_execz .LBB6_12240
; %bb.12227:                            ;   in Loop: Header=BB6_11809 Depth=3
	v_cmp_ne_u32_e32 vcc, 0, v12
	v_mov_b32_e32 v18, 0
	s_and_saveexec_b64 s[38:39], vcc
	s_cbranch_execz .LBB6_12239
; %bb.12228:                            ;   in Loop: Header=BB6_11809 Depth=3
	v_bfe_u32 v18, v12, 23, 8
	v_cmp_gt_u32_e64 s[28:29], s45, v18
	v_sub_u32_e32 v12, 0x71, v18
	v_cmp_eq_u32_e32 vcc, 0, v18
	v_cndmask_b32_e64 v12, 0, v12, s[28:29]
	v_mov_b32_e32 v20, 0x70
	v_cndmask_b32_e32 v20, v12, v20, vcc
	v_add_u32_e32 v12, 21, v20
	v_or_b32_e32 v22, 0x800000, v10
	v_lshlrev_b64 v[28:29], v12, -1
	v_cndmask_b32_e32 v10, v22, v10, vcc
	v_add_u32_e32 v12, 20, v20
	v_bfi_b32 v28, v28, 0, v10
	v_lshlrev_b64 v[30:31], v12, 1
	v_lshrrev_b64 v[10:11], v20, v[10:11]
	v_bfi_b32 v29, v29, 0, 0
	v_cmp_eq_u64_e64 s[28:29], v[28:29], v[30:31]
	v_mov_b32_e32 v12, v11
	v_mov_b32_e32 v11, v10
	s_and_saveexec_b64 s[48:49], s[28:29]
; %bb.12229:                            ;   in Loop: Header=BB6_11809 Depth=3
	v_bfe_u32 v11, v10, 21, 1
	v_add_co_u32_e64 v11, s[28:29], v10, v11
	v_add_co_u32_e64 v11, s[28:29], -1, v11
; %bb.12230:                            ;   in Loop: Header=BB6_11809 Depth=3
	s_or_b64 exec, exec, s[48:49]
	v_add_u32_e32 v12, 0xffffff81, v18
	v_mov_b32_e32 v18, 0xffffff82
	v_cndmask_b32_e32 v12, v12, v18, vcc
	v_lshrrev_b32_e32 v18, 23, v10
	v_add3_u32 v20, v20, v12, v18
	v_add_u32_e32 v18, 14, v20
	v_and_b32_e32 v11, 0x1fffff, v11
	v_add_u32_e32 v10, v11, v10
	v_mov_b32_e32 v11, v34
	v_cmp_ne_u32_e32 vcc, 0, v18
                                        ; implicit-def: $vgpr12
	s_and_saveexec_b64 s[28:29], vcc
	s_xor_b64 s[28:29], exec, s[28:29]
; %bb.12231:                            ;   in Loop: Header=BB6_11809 Depth=3
	v_cmp_lt_u64_e32 vcc, s[88:89], v[10:11]
	v_add_u32_e32 v12, 15, v20
	v_cndmask_b32_e32 v12, v18, v12, vcc
	v_cndmask_b32_e64 v18, 0, 1, vcc
	v_lshrrev_b64 v[10:11], v18, v[10:11]
; %bb.12232:                            ;   in Loop: Header=BB6_11809 Depth=3
	s_andn2_saveexec_b64 s[28:29], s[28:29]
; %bb.12233:                            ;   in Loop: Header=BB6_11809 Depth=3
	v_bfe_u32 v12, v10, 23, 1
; %bb.12234:                            ;   in Loop: Header=BB6_11809 Depth=3
	s_or_b64 exec, exec, s[28:29]
	v_lshrrev_b64 v[10:11], 21, v[10:11]
	v_cmp_gt_i32_e32 vcc, 32, v12
	v_cndmask_b32_e32 v11, 0, v11, vcc
	v_cndmask_b32_e32 v10, 3, v10, vcc
	v_cmp_ne_u64_e32 vcc, 0, v[10:11]
	v_cmp_ne_u32_e64 s[28:29], 0, v12
	s_or_b64 s[28:29], s[28:29], vcc
                                        ; implicit-def: $vgpr18
	s_and_saveexec_b64 vcc, s[28:29]
	s_xor_b64 s[28:29], exec, vcc
; %bb.12235:                            ;   in Loop: Header=BB6_11809 Depth=3
	v_min_i32_e32 v11, 31, v12
	v_lshl_or_b32 v7, v11, 2, v7
	v_and_or_b32 v18, v10, 3, v7
                                        ; implicit-def: $vgpr7
; %bb.12236:                            ;   in Loop: Header=BB6_11809 Depth=3
	s_andn2_saveexec_b64 s[28:29], s[28:29]
; %bb.12237:                            ;   in Loop: Header=BB6_11809 Depth=3
	v_mov_b32_e32 v18, v7
; %bb.12238:                            ;   in Loop: Header=BB6_11809 Depth=3
	s_or_b64 exec, exec, s[28:29]
.LBB6_12239:                            ;   in Loop: Header=BB6_11809 Depth=3
	s_or_b64 exec, exec, s[38:39]
                                        ; implicit-def: $vgpr7
.LBB6_12240:                            ;   in Loop: Header=BB6_11809 Depth=3
	s_andn2_saveexec_b64 s[28:29], s[36:37]
; %bb.12241:                            ;   in Loop: Header=BB6_11809 Depth=3
	v_or_b32_e32 v18, 0x7b, v7
; %bb.12242:                            ;   in Loop: Header=BB6_11809 Depth=3
	s_or_b64 exec, exec, s[28:29]
                                        ; implicit-def: $vgpr12
                                        ; implicit-def: $vgpr10_vgpr11
.LBB6_12243:                            ;   in Loop: Header=BB6_11809 Depth=3
	s_andn2_saveexec_b64 s[28:29], s[34:35]
	s_cbranch_execz .LBB6_12249
; %bb.12244:                            ;   in Loop: Header=BB6_11809 Depth=3
	v_cmp_ne_u64_e32 vcc, 0, v[10:11]
                                        ; implicit-def: $vgpr18
	s_and_saveexec_b64 s[34:35], vcc
	s_xor_b64 vcc, exec, s[34:35]
; %bb.12245:                            ;   in Loop: Header=BB6_11809 Depth=3
	v_or_b32_sdwa v18, v12, s83 dst_sel:DWORD dst_unused:UNUSED_PAD src0_sel:BYTE_3 src1_sel:DWORD
                                        ; implicit-def: $vgpr12
; %bb.12246:                            ;   in Loop: Header=BB6_11809 Depth=3
	s_andn2_saveexec_b64 s[34:35], vcc
; %bb.12247:                            ;   in Loop: Header=BB6_11809 Depth=3
	v_cmp_lt_i32_e32 vcc, -1, v12
	v_mov_b32_e32 v7, 0x7c
	v_cndmask_b32_e32 v18, -4, v7, vcc
; %bb.12248:                            ;   in Loop: Header=BB6_11809 Depth=3
	s_or_b64 exec, exec, s[34:35]
.LBB6_12249:                            ;   in Loop: Header=BB6_11809 Depth=3
	s_or_b64 exec, exec, s[28:29]
	v_cmp_ne_u16_e32 vcc, 0, v39
	v_mov_b32_e32 v7, 0
	v_mov_b32_e32 v10, 0
	s_and_saveexec_b64 s[28:29], vcc
	s_cbranch_execz .LBB6_12257
; %bb.12250:                            ;   in Loop: Header=BB6_11809 Depth=3
	v_cmp_ne_u16_e32 vcc, s80, v39
	v_bfrev_b32_e32 v10, 1
	s_and_saveexec_b64 s[34:35], vcc
	s_cbranch_execz .LBB6_12256
; %bb.12251:                            ;   in Loop: Header=BB6_11809 Depth=3
	v_and_b32_e32 v10, 0x7c, v39
	v_and_b32_e32 v11, 3, v39
	v_cmp_ne_u32_e32 vcc, s81, v10
                                        ; implicit-def: $vgpr10
	s_and_saveexec_b64 s[36:37], vcc
	s_xor_b64 s[36:37], exec, s[36:37]
	s_cbranch_execz .LBB6_12253
; %bb.12252:                            ;   in Loop: Header=BB6_11809 Depth=3
	v_ffbh_u32_e32 v12, v11
	v_min_u32_e32 v12, 32, v12
	v_and_b32_e32 v10, 0xff, v39
	v_mov_b32_e32 v40, v34
	v_subrev_u32_e32 v20, 29, v12
	v_bfe_u32 v10, v10, 2, 5
	v_lshlrev_b64 v[28:29], v20, v[39:40]
	v_sub_u32_e32 v12, 30, v12
	v_cmp_eq_u32_e32 vcc, 0, v10
	v_and_b32_e32 v20, 3, v28
	v_cndmask_b32_e32 v10, v10, v12, vcc
	v_and_b32_sdwa v12, sext(v39), s82 dst_sel:DWORD dst_unused:UNUSED_PAD src0_sel:WORD_0 src1_sel:DWORD
	v_cndmask_b32_e32 v11, v11, v20, vcc
	v_lshl_add_u32 v10, v10, 23, v12
	v_lshl_or_b32 v10, v11, 21, v10
	v_add_u32_e32 v10, 0x38000000, v10
                                        ; implicit-def: $vgpr11
                                        ; implicit-def: $vgpr39
.LBB6_12253:                            ;   in Loop: Header=BB6_11809 Depth=3
	s_andn2_saveexec_b64 s[36:37], s[36:37]
; %bb.12254:                            ;   in Loop: Header=BB6_11809 Depth=3
	v_cmp_lt_i16_e32 vcc, -1, v39
	v_mov_b32_e32 v10, 0xff800000
	v_mov_b32_e32 v12, 0x7f800000
	v_cndmask_b32_e32 v10, v10, v12, vcc
	v_cmp_eq_u32_e32 vcc, 0, v11
	v_mov_b32_e32 v11, 0x7f800001
	v_cndmask_b32_e32 v10, v11, v10, vcc
; %bb.12255:                            ;   in Loop: Header=BB6_11809 Depth=3
	s_or_b64 exec, exec, s[36:37]
.LBB6_12256:                            ;   in Loop: Header=BB6_11809 Depth=3
	s_or_b64 exec, exec, s[34:35]
.LBB6_12257:                            ;   in Loop: Header=BB6_11809 Depth=3
	s_or_b64 exec, exec, s[28:29]
	v_cmp_ne_u16_e32 vcc, 0, v56
	s_and_saveexec_b64 s[28:29], vcc
	s_cbranch_execz .LBB6_12265
; %bb.12258:                            ;   in Loop: Header=BB6_11809 Depth=3
	v_cmp_ne_u16_e32 vcc, s80, v56
	v_bfrev_b32_e32 v7, 1
	s_and_saveexec_b64 s[34:35], vcc
	s_cbranch_execz .LBB6_12264
; %bb.12259:                            ;   in Loop: Header=BB6_11809 Depth=3
	v_and_b32_e32 v7, 0x7c, v56
	v_and_b32_e32 v11, 3, v56
	v_cmp_ne_u32_e32 vcc, s81, v7
                                        ; implicit-def: $vgpr7
	s_and_saveexec_b64 s[36:37], vcc
	s_xor_b64 s[36:37], exec, s[36:37]
	s_cbranch_execz .LBB6_12261
; %bb.12260:                            ;   in Loop: Header=BB6_11809 Depth=3
	v_ffbh_u32_e32 v12, v11
	v_min_u32_e32 v12, 32, v12
	v_and_b32_e32 v7, 0xff, v56
	v_mov_b32_e32 v57, v34
	v_subrev_u32_e32 v20, 29, v12
	v_bfe_u32 v7, v7, 2, 5
	v_lshlrev_b64 v[28:29], v20, v[56:57]
	v_sub_u32_e32 v12, 30, v12
	v_cmp_eq_u32_e32 vcc, 0, v7
	v_and_b32_e32 v20, 3, v28
	v_cndmask_b32_e32 v7, v7, v12, vcc
	v_and_b32_sdwa v12, sext(v56), s82 dst_sel:DWORD dst_unused:UNUSED_PAD src0_sel:WORD_0 src1_sel:DWORD
	v_cndmask_b32_e32 v11, v11, v20, vcc
	v_lshl_add_u32 v7, v7, 23, v12
	v_lshl_or_b32 v7, v11, 21, v7
	v_add_u32_e32 v7, 0x38000000, v7
                                        ; implicit-def: $vgpr11
                                        ; implicit-def: $vgpr56
.LBB6_12261:                            ;   in Loop: Header=BB6_11809 Depth=3
	s_andn2_saveexec_b64 s[36:37], s[36:37]
; %bb.12262:                            ;   in Loop: Header=BB6_11809 Depth=3
	v_cmp_lt_i16_e32 vcc, -1, v56
	v_mov_b32_e32 v7, 0xff800000
	v_mov_b32_e32 v12, 0x7f800000
	v_cndmask_b32_e32 v7, v7, v12, vcc
	v_cmp_eq_u32_e32 vcc, 0, v11
	v_mov_b32_e32 v11, 0x7f800001
	v_cndmask_b32_e32 v7, v11, v7, vcc
; %bb.12263:                            ;   in Loop: Header=BB6_11809 Depth=3
	s_or_b64 exec, exec, s[36:37]
.LBB6_12264:                            ;   in Loop: Header=BB6_11809 Depth=3
	s_or_b64 exec, exec, s[34:35]
.LBB6_12265:                            ;   in Loop: Header=BB6_11809 Depth=3
	s_or_b64 exec, exec, s[28:29]
	v_mul_f32_e32 v12, v10, v7
	v_and_b32_e32 v28, 0x7f800000, v12
	v_mov_b32_e32 v29, v34
	v_cmp_ne_u64_e32 vcc, s[76:77], v[28:29]
	v_and_b32_e32 v10, 0x7fffff, v12
	v_mov_b32_e32 v11, v34
                                        ; implicit-def: $vgpr20
	s_and_saveexec_b64 s[28:29], vcc
	s_xor_b64 s[34:35], exec, s[28:29]
	s_cbranch_execz .LBB6_12283
; %bb.12266:                            ;   in Loop: Header=BB6_11809 Depth=3
	v_and_b32_e32 v28, 0x7fffffff, v12
	v_mov_b32_e32 v29, v34
	v_cmp_gt_u64_e32 vcc, s[78:79], v[28:29]
	v_and_b32_sdwa v7, v12, s44 dst_sel:DWORD dst_unused:UNUSED_PAD src0_sel:BYTE_3 src1_sel:DWORD
                                        ; implicit-def: $vgpr20
	s_and_saveexec_b64 s[28:29], vcc
	s_xor_b64 s[36:37], exec, s[28:29]
	s_cbranch_execz .LBB6_12280
; %bb.12267:                            ;   in Loop: Header=BB6_11809 Depth=3
	v_cmp_ne_u32_e32 vcc, 0, v12
	v_mov_b32_e32 v20, 0
	s_and_saveexec_b64 s[38:39], vcc
	s_cbranch_execz .LBB6_12279
; %bb.12268:                            ;   in Loop: Header=BB6_11809 Depth=3
	v_bfe_u32 v20, v12, 23, 8
	v_cmp_gt_u32_e64 s[28:29], s45, v20
	v_sub_u32_e32 v12, 0x71, v20
	v_cmp_eq_u32_e32 vcc, 0, v20
	v_cndmask_b32_e64 v12, 0, v12, s[28:29]
	v_mov_b32_e32 v22, 0x70
	v_cndmask_b32_e32 v22, v12, v22, vcc
	v_add_u32_e32 v12, 21, v22
	v_or_b32_e32 v25, 0x800000, v10
	v_lshlrev_b64 v[28:29], v12, -1
	v_cndmask_b32_e32 v10, v25, v10, vcc
	v_add_u32_e32 v12, 20, v22
	v_bfi_b32 v28, v28, 0, v10
	v_lshlrev_b64 v[30:31], v12, 1
	v_lshrrev_b64 v[10:11], v22, v[10:11]
	v_bfi_b32 v29, v29, 0, 0
	v_cmp_eq_u64_e64 s[28:29], v[28:29], v[30:31]
	v_mov_b32_e32 v12, v11
	v_mov_b32_e32 v11, v10
	s_and_saveexec_b64 s[48:49], s[28:29]
; %bb.12269:                            ;   in Loop: Header=BB6_11809 Depth=3
	v_bfe_u32 v11, v10, 21, 1
	v_add_co_u32_e64 v11, s[28:29], v10, v11
	v_add_co_u32_e64 v11, s[28:29], -1, v11
; %bb.12270:                            ;   in Loop: Header=BB6_11809 Depth=3
	s_or_b64 exec, exec, s[48:49]
	v_add_u32_e32 v12, 0xffffff81, v20
	v_mov_b32_e32 v20, 0xffffff82
	v_cndmask_b32_e32 v12, v12, v20, vcc
	v_lshrrev_b32_e32 v20, 23, v10
	v_add3_u32 v22, v22, v12, v20
	v_add_u32_e32 v20, 14, v22
	v_and_b32_e32 v11, 0x1fffff, v11
	v_add_u32_e32 v10, v11, v10
	v_mov_b32_e32 v11, v34
	v_cmp_ne_u32_e32 vcc, 0, v20
                                        ; implicit-def: $vgpr12
	s_and_saveexec_b64 s[28:29], vcc
	s_xor_b64 s[28:29], exec, s[28:29]
; %bb.12271:                            ;   in Loop: Header=BB6_11809 Depth=3
	v_cmp_lt_u64_e32 vcc, s[88:89], v[10:11]
	v_add_u32_e32 v12, 15, v22
	v_cndmask_b32_e32 v12, v20, v12, vcc
	v_cndmask_b32_e64 v20, 0, 1, vcc
	v_lshrrev_b64 v[10:11], v20, v[10:11]
; %bb.12272:                            ;   in Loop: Header=BB6_11809 Depth=3
	s_andn2_saveexec_b64 s[28:29], s[28:29]
; %bb.12273:                            ;   in Loop: Header=BB6_11809 Depth=3
	v_bfe_u32 v12, v10, 23, 1
; %bb.12274:                            ;   in Loop: Header=BB6_11809 Depth=3
	s_or_b64 exec, exec, s[28:29]
	v_lshrrev_b64 v[10:11], 21, v[10:11]
	v_cmp_gt_i32_e32 vcc, 32, v12
	v_cndmask_b32_e32 v11, 0, v11, vcc
	v_cndmask_b32_e32 v10, 3, v10, vcc
	v_cmp_ne_u64_e32 vcc, 0, v[10:11]
	v_cmp_ne_u32_e64 s[28:29], 0, v12
	s_or_b64 s[28:29], s[28:29], vcc
                                        ; implicit-def: $vgpr20
	s_and_saveexec_b64 vcc, s[28:29]
	s_xor_b64 s[28:29], exec, vcc
; %bb.12275:                            ;   in Loop: Header=BB6_11809 Depth=3
	v_min_i32_e32 v11, 31, v12
	v_lshl_or_b32 v7, v11, 2, v7
	v_and_or_b32 v20, v10, 3, v7
                                        ; implicit-def: $vgpr7
; %bb.12276:                            ;   in Loop: Header=BB6_11809 Depth=3
	s_andn2_saveexec_b64 s[28:29], s[28:29]
; %bb.12277:                            ;   in Loop: Header=BB6_11809 Depth=3
	v_mov_b32_e32 v20, v7
; %bb.12278:                            ;   in Loop: Header=BB6_11809 Depth=3
	s_or_b64 exec, exec, s[28:29]
.LBB6_12279:                            ;   in Loop: Header=BB6_11809 Depth=3
	s_or_b64 exec, exec, s[38:39]
                                        ; implicit-def: $vgpr7
.LBB6_12280:                            ;   in Loop: Header=BB6_11809 Depth=3
	s_andn2_saveexec_b64 s[28:29], s[36:37]
; %bb.12281:                            ;   in Loop: Header=BB6_11809 Depth=3
	v_or_b32_e32 v20, 0x7b, v7
; %bb.12282:                            ;   in Loop: Header=BB6_11809 Depth=3
	s_or_b64 exec, exec, s[28:29]
                                        ; implicit-def: $vgpr12
                                        ; implicit-def: $vgpr10_vgpr11
.LBB6_12283:                            ;   in Loop: Header=BB6_11809 Depth=3
	s_andn2_saveexec_b64 s[28:29], s[34:35]
	s_cbranch_execz .LBB6_12289
; %bb.12284:                            ;   in Loop: Header=BB6_11809 Depth=3
	v_cmp_ne_u64_e32 vcc, 0, v[10:11]
                                        ; implicit-def: $vgpr20
	s_and_saveexec_b64 s[34:35], vcc
	s_xor_b64 vcc, exec, s[34:35]
; %bb.12285:                            ;   in Loop: Header=BB6_11809 Depth=3
	v_or_b32_sdwa v20, v12, s83 dst_sel:DWORD dst_unused:UNUSED_PAD src0_sel:BYTE_3 src1_sel:DWORD
                                        ; implicit-def: $vgpr12
; %bb.12286:                            ;   in Loop: Header=BB6_11809 Depth=3
	s_andn2_saveexec_b64 s[34:35], vcc
; %bb.12287:                            ;   in Loop: Header=BB6_11809 Depth=3
	v_cmp_lt_i32_e32 vcc, -1, v12
	v_mov_b32_e32 v7, 0x7c
	v_cndmask_b32_e32 v20, -4, v7, vcc
; %bb.12288:                            ;   in Loop: Header=BB6_11809 Depth=3
	s_or_b64 exec, exec, s[34:35]
.LBB6_12289:                            ;   in Loop: Header=BB6_11809 Depth=3
	s_or_b64 exec, exec, s[28:29]
	v_cmp_ne_u16_e32 vcc, 0, v55
	v_mov_b32_e32 v7, 0
	v_mov_b32_e32 v10, 0
	s_and_saveexec_b64 s[28:29], vcc
	s_cbranch_execz .LBB6_12297
; %bb.12290:                            ;   in Loop: Header=BB6_11809 Depth=3
	v_cmp_ne_u16_e32 vcc, s80, v55
	v_bfrev_b32_e32 v10, 1
	s_and_saveexec_b64 s[34:35], vcc
	s_cbranch_execz .LBB6_12296
; %bb.12291:                            ;   in Loop: Header=BB6_11809 Depth=3
	v_and_b32_e32 v10, 0x7c, v55
	v_and_b32_e32 v11, 3, v55
	v_cmp_ne_u32_e32 vcc, s81, v10
                                        ; implicit-def: $vgpr10
	s_and_saveexec_b64 s[36:37], vcc
	s_xor_b64 s[36:37], exec, s[36:37]
	s_cbranch_execz .LBB6_12293
; %bb.12292:                            ;   in Loop: Header=BB6_11809 Depth=3
	v_ffbh_u32_e32 v12, v11
	v_min_u32_e32 v12, 32, v12
	v_and_b32_e32 v10, 0xff, v55
	v_mov_b32_e32 v56, v34
	v_subrev_u32_e32 v22, 29, v12
	v_bfe_u32 v10, v10, 2, 5
	v_lshlrev_b64 v[28:29], v22, v[55:56]
	v_sub_u32_e32 v12, 30, v12
	v_cmp_eq_u32_e32 vcc, 0, v10
	v_and_b32_e32 v22, 3, v28
	v_cndmask_b32_e32 v10, v10, v12, vcc
	v_and_b32_sdwa v12, sext(v55), s82 dst_sel:DWORD dst_unused:UNUSED_PAD src0_sel:WORD_0 src1_sel:DWORD
	v_cndmask_b32_e32 v11, v11, v22, vcc
	v_lshl_add_u32 v10, v10, 23, v12
	v_lshl_or_b32 v10, v11, 21, v10
	v_add_u32_e32 v10, 0x38000000, v10
                                        ; implicit-def: $vgpr11
                                        ; implicit-def: $vgpr55
.LBB6_12293:                            ;   in Loop: Header=BB6_11809 Depth=3
	s_andn2_saveexec_b64 s[36:37], s[36:37]
; %bb.12294:                            ;   in Loop: Header=BB6_11809 Depth=3
	v_cmp_lt_i16_e32 vcc, -1, v55
	v_mov_b32_e32 v10, 0xff800000
	v_mov_b32_e32 v12, 0x7f800000
	v_cndmask_b32_e32 v10, v10, v12, vcc
	v_cmp_eq_u32_e32 vcc, 0, v11
	v_mov_b32_e32 v11, 0x7f800001
	v_cndmask_b32_e32 v10, v11, v10, vcc
; %bb.12295:                            ;   in Loop: Header=BB6_11809 Depth=3
	s_or_b64 exec, exec, s[36:37]
.LBB6_12296:                            ;   in Loop: Header=BB6_11809 Depth=3
	s_or_b64 exec, exec, s[34:35]
.LBB6_12297:                            ;   in Loop: Header=BB6_11809 Depth=3
	s_or_b64 exec, exec, s[28:29]
	v_cmp_ne_u16_e32 vcc, 0, v54
	s_and_saveexec_b64 s[28:29], vcc
	s_cbranch_execz .LBB6_12305
; %bb.12298:                            ;   in Loop: Header=BB6_11809 Depth=3
	v_cmp_ne_u16_e32 vcc, s80, v54
	v_bfrev_b32_e32 v7, 1
	s_and_saveexec_b64 s[34:35], vcc
	s_cbranch_execz .LBB6_12304
; %bb.12299:                            ;   in Loop: Header=BB6_11809 Depth=3
	v_and_b32_e32 v7, 0x7c, v54
	v_and_b32_e32 v11, 3, v54
	v_cmp_ne_u32_e32 vcc, s81, v7
                                        ; implicit-def: $vgpr7
	s_and_saveexec_b64 s[36:37], vcc
	s_xor_b64 s[36:37], exec, s[36:37]
	s_cbranch_execz .LBB6_12301
; %bb.12300:                            ;   in Loop: Header=BB6_11809 Depth=3
	v_ffbh_u32_e32 v12, v11
	v_min_u32_e32 v12, 32, v12
	v_and_b32_e32 v7, 0xff, v54
	v_mov_b32_e32 v55, v34
	v_subrev_u32_e32 v22, 29, v12
	v_bfe_u32 v7, v7, 2, 5
	v_lshlrev_b64 v[28:29], v22, v[54:55]
	v_sub_u32_e32 v12, 30, v12
	v_cmp_eq_u32_e32 vcc, 0, v7
	v_and_b32_e32 v22, 3, v28
	v_cndmask_b32_e32 v7, v7, v12, vcc
	v_and_b32_sdwa v12, sext(v54), s82 dst_sel:DWORD dst_unused:UNUSED_PAD src0_sel:WORD_0 src1_sel:DWORD
	v_cndmask_b32_e32 v11, v11, v22, vcc
	v_lshl_add_u32 v7, v7, 23, v12
	v_lshl_or_b32 v7, v11, 21, v7
	v_add_u32_e32 v7, 0x38000000, v7
                                        ; implicit-def: $vgpr11
                                        ; implicit-def: $vgpr54
.LBB6_12301:                            ;   in Loop: Header=BB6_11809 Depth=3
	s_andn2_saveexec_b64 s[36:37], s[36:37]
; %bb.12302:                            ;   in Loop: Header=BB6_11809 Depth=3
	v_cmp_lt_i16_e32 vcc, -1, v54
	v_mov_b32_e32 v7, 0xff800000
	v_mov_b32_e32 v12, 0x7f800000
	v_cndmask_b32_e32 v7, v7, v12, vcc
	v_cmp_eq_u32_e32 vcc, 0, v11
	v_mov_b32_e32 v11, 0x7f800001
	v_cndmask_b32_e32 v7, v11, v7, vcc
; %bb.12303:                            ;   in Loop: Header=BB6_11809 Depth=3
	s_or_b64 exec, exec, s[36:37]
.LBB6_12304:                            ;   in Loop: Header=BB6_11809 Depth=3
	s_or_b64 exec, exec, s[34:35]
.LBB6_12305:                            ;   in Loop: Header=BB6_11809 Depth=3
	s_or_b64 exec, exec, s[28:29]
	v_mul_f32_e32 v12, v10, v7
	v_and_b32_e32 v28, 0x7f800000, v12
	v_mov_b32_e32 v29, v34
	v_cmp_ne_u64_e32 vcc, s[76:77], v[28:29]
	v_and_b32_e32 v10, 0x7fffff, v12
	v_mov_b32_e32 v11, v34
                                        ; implicit-def: $vgpr22
	s_and_saveexec_b64 s[28:29], vcc
	s_xor_b64 s[34:35], exec, s[28:29]
	s_cbranch_execz .LBB6_12323
; %bb.12306:                            ;   in Loop: Header=BB6_11809 Depth=3
	v_and_b32_e32 v28, 0x7fffffff, v12
	v_mov_b32_e32 v29, v34
	v_cmp_gt_u64_e32 vcc, s[78:79], v[28:29]
	v_and_b32_sdwa v7, v12, s44 dst_sel:DWORD dst_unused:UNUSED_PAD src0_sel:BYTE_3 src1_sel:DWORD
                                        ; implicit-def: $vgpr22
	s_and_saveexec_b64 s[28:29], vcc
	s_xor_b64 s[36:37], exec, s[28:29]
	s_cbranch_execz .LBB6_12320
; %bb.12307:                            ;   in Loop: Header=BB6_11809 Depth=3
	v_cmp_ne_u32_e32 vcc, 0, v12
	v_mov_b32_e32 v22, 0
	s_and_saveexec_b64 s[38:39], vcc
	s_cbranch_execz .LBB6_12319
; %bb.12308:                            ;   in Loop: Header=BB6_11809 Depth=3
	v_bfe_u32 v22, v12, 23, 8
	v_cmp_gt_u32_e64 s[28:29], s45, v22
	v_sub_u32_e32 v12, 0x71, v22
	v_cmp_eq_u32_e32 vcc, 0, v22
	v_cndmask_b32_e64 v12, 0, v12, s[28:29]
	v_mov_b32_e32 v25, 0x70
	v_cndmask_b32_e32 v25, v12, v25, vcc
	v_or_b32_e32 v28, 0x800000, v10
	v_add_u32_e32 v12, 21, v25
	v_cndmask_b32_e32 v10, v28, v10, vcc
	v_lshlrev_b64 v[28:29], v12, -1
	v_add_u32_e32 v12, 20, v25
	v_bfi_b32 v28, v28, 0, v10
	v_lshlrev_b64 v[30:31], v12, 1
	v_lshrrev_b64 v[10:11], v25, v[10:11]
	v_bfi_b32 v29, v29, 0, 0
	v_cmp_eq_u64_e64 s[28:29], v[28:29], v[30:31]
	v_mov_b32_e32 v12, v11
	v_mov_b32_e32 v11, v10
	s_and_saveexec_b64 s[48:49], s[28:29]
; %bb.12309:                            ;   in Loop: Header=BB6_11809 Depth=3
	v_bfe_u32 v11, v10, 21, 1
	v_add_co_u32_e64 v11, s[28:29], v10, v11
	v_add_co_u32_e64 v11, s[28:29], -1, v11
; %bb.12310:                            ;   in Loop: Header=BB6_11809 Depth=3
	s_or_b64 exec, exec, s[48:49]
	v_add_u32_e32 v12, 0xffffff81, v22
	v_mov_b32_e32 v22, 0xffffff82
	v_cndmask_b32_e32 v12, v12, v22, vcc
	v_lshrrev_b32_e32 v22, 23, v10
	v_add3_u32 v25, v25, v12, v22
	v_add_u32_e32 v22, 14, v25
	v_and_b32_e32 v11, 0x1fffff, v11
	v_add_u32_e32 v10, v11, v10
	v_mov_b32_e32 v11, v34
	v_cmp_ne_u32_e32 vcc, 0, v22
                                        ; implicit-def: $vgpr12
	s_and_saveexec_b64 s[28:29], vcc
	s_xor_b64 s[28:29], exec, s[28:29]
; %bb.12311:                            ;   in Loop: Header=BB6_11809 Depth=3
	v_cmp_lt_u64_e32 vcc, s[88:89], v[10:11]
	v_add_u32_e32 v12, 15, v25
	v_cndmask_b32_e32 v12, v22, v12, vcc
	v_cndmask_b32_e64 v22, 0, 1, vcc
	v_lshrrev_b64 v[10:11], v22, v[10:11]
; %bb.12312:                            ;   in Loop: Header=BB6_11809 Depth=3
	s_andn2_saveexec_b64 s[28:29], s[28:29]
; %bb.12313:                            ;   in Loop: Header=BB6_11809 Depth=3
	v_bfe_u32 v12, v10, 23, 1
; %bb.12314:                            ;   in Loop: Header=BB6_11809 Depth=3
	s_or_b64 exec, exec, s[28:29]
	v_lshrrev_b64 v[10:11], 21, v[10:11]
	v_cmp_gt_i32_e32 vcc, 32, v12
	v_cndmask_b32_e32 v11, 0, v11, vcc
	v_cndmask_b32_e32 v10, 3, v10, vcc
	v_cmp_ne_u64_e32 vcc, 0, v[10:11]
	v_cmp_ne_u32_e64 s[28:29], 0, v12
	s_or_b64 s[28:29], s[28:29], vcc
                                        ; implicit-def: $vgpr22
	s_and_saveexec_b64 vcc, s[28:29]
	s_xor_b64 s[28:29], exec, vcc
; %bb.12315:                            ;   in Loop: Header=BB6_11809 Depth=3
	v_min_i32_e32 v11, 31, v12
	v_lshl_or_b32 v7, v11, 2, v7
	v_and_or_b32 v22, v10, 3, v7
                                        ; implicit-def: $vgpr7
; %bb.12316:                            ;   in Loop: Header=BB6_11809 Depth=3
	s_andn2_saveexec_b64 s[28:29], s[28:29]
; %bb.12317:                            ;   in Loop: Header=BB6_11809 Depth=3
	v_mov_b32_e32 v22, v7
; %bb.12318:                            ;   in Loop: Header=BB6_11809 Depth=3
	s_or_b64 exec, exec, s[28:29]
.LBB6_12319:                            ;   in Loop: Header=BB6_11809 Depth=3
	s_or_b64 exec, exec, s[38:39]
                                        ; implicit-def: $vgpr7
.LBB6_12320:                            ;   in Loop: Header=BB6_11809 Depth=3
	s_andn2_saveexec_b64 s[28:29], s[36:37]
; %bb.12321:                            ;   in Loop: Header=BB6_11809 Depth=3
	v_or_b32_e32 v22, 0x7b, v7
; %bb.12322:                            ;   in Loop: Header=BB6_11809 Depth=3
	s_or_b64 exec, exec, s[28:29]
                                        ; implicit-def: $vgpr12
                                        ; implicit-def: $vgpr10_vgpr11
.LBB6_12323:                            ;   in Loop: Header=BB6_11809 Depth=3
	s_andn2_saveexec_b64 s[28:29], s[34:35]
	s_cbranch_execz .LBB6_12329
; %bb.12324:                            ;   in Loop: Header=BB6_11809 Depth=3
	v_cmp_ne_u64_e32 vcc, 0, v[10:11]
                                        ; implicit-def: $vgpr22
	s_and_saveexec_b64 s[34:35], vcc
	s_xor_b64 vcc, exec, s[34:35]
; %bb.12325:                            ;   in Loop: Header=BB6_11809 Depth=3
	v_or_b32_sdwa v22, v12, s83 dst_sel:DWORD dst_unused:UNUSED_PAD src0_sel:BYTE_3 src1_sel:DWORD
                                        ; implicit-def: $vgpr12
; %bb.12326:                            ;   in Loop: Header=BB6_11809 Depth=3
	s_andn2_saveexec_b64 s[34:35], vcc
; %bb.12327:                            ;   in Loop: Header=BB6_11809 Depth=3
	v_cmp_lt_i32_e32 vcc, -1, v12
	v_mov_b32_e32 v7, 0x7c
	v_cndmask_b32_e32 v22, -4, v7, vcc
; %bb.12328:                            ;   in Loop: Header=BB6_11809 Depth=3
	s_or_b64 exec, exec, s[34:35]
.LBB6_12329:                            ;   in Loop: Header=BB6_11809 Depth=3
	s_or_b64 exec, exec, s[28:29]
	v_cmp_ne_u16_e32 vcc, 0, v53
	v_mov_b32_e32 v7, 0
	v_mov_b32_e32 v10, 0
	s_and_saveexec_b64 s[28:29], vcc
	s_cbranch_execz .LBB6_12337
; %bb.12330:                            ;   in Loop: Header=BB6_11809 Depth=3
	v_cmp_ne_u16_e32 vcc, s80, v53
	v_bfrev_b32_e32 v10, 1
	s_and_saveexec_b64 s[34:35], vcc
	s_cbranch_execz .LBB6_12336
; %bb.12331:                            ;   in Loop: Header=BB6_11809 Depth=3
	v_and_b32_e32 v10, 0x7c, v53
	v_and_b32_e32 v11, 3, v53
	v_cmp_ne_u32_e32 vcc, s81, v10
                                        ; implicit-def: $vgpr10
	s_and_saveexec_b64 s[36:37], vcc
	s_xor_b64 s[36:37], exec, s[36:37]
	s_cbranch_execz .LBB6_12333
; %bb.12332:                            ;   in Loop: Header=BB6_11809 Depth=3
	v_ffbh_u32_e32 v12, v11
	v_min_u32_e32 v12, 32, v12
	v_and_b32_e32 v10, 0xff, v53
	v_mov_b32_e32 v54, v34
	v_subrev_u32_e32 v25, 29, v12
	v_bfe_u32 v10, v10, 2, 5
	v_lshlrev_b64 v[28:29], v25, v[53:54]
	v_sub_u32_e32 v12, 30, v12
	v_cmp_eq_u32_e32 vcc, 0, v10
	v_and_b32_e32 v25, 3, v28
	v_cndmask_b32_e32 v10, v10, v12, vcc
	v_and_b32_sdwa v12, sext(v53), s82 dst_sel:DWORD dst_unused:UNUSED_PAD src0_sel:WORD_0 src1_sel:DWORD
	v_cndmask_b32_e32 v11, v11, v25, vcc
	v_lshl_add_u32 v10, v10, 23, v12
	v_lshl_or_b32 v10, v11, 21, v10
	v_add_u32_e32 v10, 0x38000000, v10
                                        ; implicit-def: $vgpr11
                                        ; implicit-def: $vgpr53
.LBB6_12333:                            ;   in Loop: Header=BB6_11809 Depth=3
	s_andn2_saveexec_b64 s[36:37], s[36:37]
; %bb.12334:                            ;   in Loop: Header=BB6_11809 Depth=3
	v_cmp_lt_i16_e32 vcc, -1, v53
	v_mov_b32_e32 v10, 0xff800000
	v_mov_b32_e32 v12, 0x7f800000
	v_cndmask_b32_e32 v10, v10, v12, vcc
	v_cmp_eq_u32_e32 vcc, 0, v11
	v_mov_b32_e32 v11, 0x7f800001
	v_cndmask_b32_e32 v10, v11, v10, vcc
; %bb.12335:                            ;   in Loop: Header=BB6_11809 Depth=3
	s_or_b64 exec, exec, s[36:37]
.LBB6_12336:                            ;   in Loop: Header=BB6_11809 Depth=3
	s_or_b64 exec, exec, s[34:35]
.LBB6_12337:                            ;   in Loop: Header=BB6_11809 Depth=3
	s_or_b64 exec, exec, s[28:29]
	v_cmp_ne_u16_e32 vcc, 0, v42
	s_and_saveexec_b64 s[28:29], vcc
	s_cbranch_execz .LBB6_12345
; %bb.12338:                            ;   in Loop: Header=BB6_11809 Depth=3
	v_cmp_ne_u16_e32 vcc, s80, v42
	v_bfrev_b32_e32 v7, 1
	s_and_saveexec_b64 s[34:35], vcc
	s_cbranch_execz .LBB6_12344
; %bb.12339:                            ;   in Loop: Header=BB6_11809 Depth=3
	v_and_b32_e32 v7, 0x7c, v42
	v_and_b32_e32 v11, 3, v42
	v_cmp_ne_u32_e32 vcc, s81, v7
                                        ; implicit-def: $vgpr7
	s_and_saveexec_b64 s[36:37], vcc
	s_xor_b64 s[36:37], exec, s[36:37]
	s_cbranch_execz .LBB6_12341
; %bb.12340:                            ;   in Loop: Header=BB6_11809 Depth=3
	v_ffbh_u32_e32 v12, v11
	v_min_u32_e32 v12, 32, v12
	v_and_b32_e32 v7, 0xff, v42
	v_mov_b32_e32 v43, v34
	v_subrev_u32_e32 v25, 29, v12
	v_bfe_u32 v7, v7, 2, 5
	v_lshlrev_b64 v[28:29], v25, v[42:43]
	v_sub_u32_e32 v12, 30, v12
	v_cmp_eq_u32_e32 vcc, 0, v7
	v_and_b32_e32 v25, 3, v28
	v_cndmask_b32_e32 v7, v7, v12, vcc
	v_and_b32_sdwa v12, sext(v42), s82 dst_sel:DWORD dst_unused:UNUSED_PAD src0_sel:WORD_0 src1_sel:DWORD
	v_cndmask_b32_e32 v11, v11, v25, vcc
	v_lshl_add_u32 v7, v7, 23, v12
	v_lshl_or_b32 v7, v11, 21, v7
	v_add_u32_e32 v7, 0x38000000, v7
                                        ; implicit-def: $vgpr11
                                        ; implicit-def: $vgpr42
.LBB6_12341:                            ;   in Loop: Header=BB6_11809 Depth=3
	s_andn2_saveexec_b64 s[36:37], s[36:37]
; %bb.12342:                            ;   in Loop: Header=BB6_11809 Depth=3
	v_cmp_lt_i16_e32 vcc, -1, v42
	v_mov_b32_e32 v7, 0xff800000
	v_mov_b32_e32 v12, 0x7f800000
	v_cndmask_b32_e32 v7, v7, v12, vcc
	v_cmp_eq_u32_e32 vcc, 0, v11
	v_mov_b32_e32 v11, 0x7f800001
	v_cndmask_b32_e32 v7, v11, v7, vcc
; %bb.12343:                            ;   in Loop: Header=BB6_11809 Depth=3
	s_or_b64 exec, exec, s[36:37]
.LBB6_12344:                            ;   in Loop: Header=BB6_11809 Depth=3
	s_or_b64 exec, exec, s[34:35]
.LBB6_12345:                            ;   in Loop: Header=BB6_11809 Depth=3
	s_or_b64 exec, exec, s[28:29]
	v_mul_f32_e32 v12, v10, v7
	v_and_b32_e32 v28, 0x7f800000, v12
	v_mov_b32_e32 v29, v34
	v_cmp_ne_u64_e32 vcc, s[76:77], v[28:29]
	v_and_b32_e32 v10, 0x7fffff, v12
	v_mov_b32_e32 v11, v34
                                        ; implicit-def: $vgpr25
	s_and_saveexec_b64 s[28:29], vcc
	s_xor_b64 s[34:35], exec, s[28:29]
	s_cbranch_execz .LBB6_12363
; %bb.12346:                            ;   in Loop: Header=BB6_11809 Depth=3
	v_and_b32_e32 v28, 0x7fffffff, v12
	v_mov_b32_e32 v29, v34
	v_cmp_gt_u64_e32 vcc, s[78:79], v[28:29]
	v_and_b32_sdwa v7, v12, s44 dst_sel:DWORD dst_unused:UNUSED_PAD src0_sel:BYTE_3 src1_sel:DWORD
                                        ; implicit-def: $vgpr25
	s_and_saveexec_b64 s[28:29], vcc
	s_xor_b64 s[36:37], exec, s[28:29]
	s_cbranch_execz .LBB6_12360
; %bb.12347:                            ;   in Loop: Header=BB6_11809 Depth=3
	v_cmp_ne_u32_e32 vcc, 0, v12
	v_mov_b32_e32 v25, 0
	s_and_saveexec_b64 s[38:39], vcc
	s_cbranch_execz .LBB6_12359
; %bb.12348:                            ;   in Loop: Header=BB6_11809 Depth=3
	v_bfe_u32 v25, v12, 23, 8
	v_cmp_gt_u32_e64 s[28:29], s45, v25
	v_sub_u32_e32 v12, 0x71, v25
	v_cmp_eq_u32_e32 vcc, 0, v25
	v_cndmask_b32_e64 v12, 0, v12, s[28:29]
	v_mov_b32_e32 v28, 0x70
	v_cndmask_b32_e32 v28, v12, v28, vcc
	v_or_b32_e32 v29, 0x800000, v10
	v_add_u32_e32 v12, 21, v28
	v_cndmask_b32_e32 v10, v29, v10, vcc
	v_lshlrev_b64 v[29:30], v12, -1
	v_add_u32_e32 v12, 20, v28
	v_mov_b32_e32 v31, v35
	v_bfi_b32 v29, v29, 0, v10
	v_lshlrev_b64 v[35:36], v12, 1
	v_lshrrev_b64 v[10:11], v28, v[10:11]
	v_bfi_b32 v30, v30, 0, 0
	v_cmp_eq_u64_e64 s[28:29], v[29:30], v[35:36]
	v_mov_b32_e32 v12, v11
	v_mov_b32_e32 v11, v10
	s_and_saveexec_b64 s[48:49], s[28:29]
; %bb.12349:                            ;   in Loop: Header=BB6_11809 Depth=3
	v_bfe_u32 v11, v10, 21, 1
	v_add_co_u32_e64 v11, s[28:29], v10, v11
	v_add_co_u32_e64 v11, s[28:29], -1, v11
; %bb.12350:                            ;   in Loop: Header=BB6_11809 Depth=3
	s_or_b64 exec, exec, s[48:49]
	v_add_u32_e32 v12, 0xffffff81, v25
	v_mov_b32_e32 v25, 0xffffff82
	v_cndmask_b32_e32 v12, v12, v25, vcc
	v_lshrrev_b32_e32 v25, 23, v10
	v_add3_u32 v28, v28, v12, v25
	v_add_u32_e32 v25, 14, v28
	v_and_b32_e32 v11, 0x1fffff, v11
	v_add_u32_e32 v10, v11, v10
	v_mov_b32_e32 v11, v34
	v_cmp_ne_u32_e32 vcc, 0, v25
                                        ; implicit-def: $vgpr12
	s_and_saveexec_b64 s[28:29], vcc
	s_xor_b64 s[28:29], exec, s[28:29]
; %bb.12351:                            ;   in Loop: Header=BB6_11809 Depth=3
	v_cmp_lt_u64_e32 vcc, s[88:89], v[10:11]
	v_add_u32_e32 v12, 15, v28
	v_cndmask_b32_e32 v12, v25, v12, vcc
	v_cndmask_b32_e64 v25, 0, 1, vcc
	v_lshrrev_b64 v[10:11], v25, v[10:11]
; %bb.12352:                            ;   in Loop: Header=BB6_11809 Depth=3
	s_or_saveexec_b64 s[28:29], s[28:29]
	v_mov_b32_e32 v35, v31
	s_xor_b64 exec, exec, s[28:29]
; %bb.12353:                            ;   in Loop: Header=BB6_11809 Depth=3
	v_bfe_u32 v12, v10, 23, 1
; %bb.12354:                            ;   in Loop: Header=BB6_11809 Depth=3
	s_or_b64 exec, exec, s[28:29]
	v_lshrrev_b64 v[10:11], 21, v[10:11]
	v_cmp_gt_i32_e32 vcc, 32, v12
	v_cndmask_b32_e32 v11, 0, v11, vcc
	v_cndmask_b32_e32 v10, 3, v10, vcc
	v_cmp_ne_u64_e32 vcc, 0, v[10:11]
	v_cmp_ne_u32_e64 s[28:29], 0, v12
	s_or_b64 s[28:29], s[28:29], vcc
                                        ; implicit-def: $vgpr25
	s_and_saveexec_b64 vcc, s[28:29]
	s_xor_b64 s[28:29], exec, vcc
; %bb.12355:                            ;   in Loop: Header=BB6_11809 Depth=3
	v_min_i32_e32 v11, 31, v12
	v_lshl_or_b32 v7, v11, 2, v7
	v_and_or_b32 v25, v10, 3, v7
                                        ; implicit-def: $vgpr7
; %bb.12356:                            ;   in Loop: Header=BB6_11809 Depth=3
	s_andn2_saveexec_b64 s[28:29], s[28:29]
; %bb.12357:                            ;   in Loop: Header=BB6_11809 Depth=3
	v_mov_b32_e32 v25, v7
; %bb.12358:                            ;   in Loop: Header=BB6_11809 Depth=3
	s_or_b64 exec, exec, s[28:29]
.LBB6_12359:                            ;   in Loop: Header=BB6_11809 Depth=3
	s_or_b64 exec, exec, s[38:39]
                                        ; implicit-def: $vgpr7
.LBB6_12360:                            ;   in Loop: Header=BB6_11809 Depth=3
	s_andn2_saveexec_b64 s[28:29], s[36:37]
; %bb.12361:                            ;   in Loop: Header=BB6_11809 Depth=3
	v_or_b32_e32 v25, 0x7b, v7
; %bb.12362:                            ;   in Loop: Header=BB6_11809 Depth=3
	s_or_b64 exec, exec, s[28:29]
                                        ; implicit-def: $vgpr12
                                        ; implicit-def: $vgpr10_vgpr11
.LBB6_12363:                            ;   in Loop: Header=BB6_11809 Depth=3
	s_andn2_saveexec_b64 s[28:29], s[34:35]
	s_cbranch_execz .LBB6_12369
; %bb.12364:                            ;   in Loop: Header=BB6_11809 Depth=3
	v_cmp_ne_u64_e32 vcc, 0, v[10:11]
                                        ; implicit-def: $vgpr25
	s_and_saveexec_b64 s[34:35], vcc
	s_xor_b64 vcc, exec, s[34:35]
; %bb.12365:                            ;   in Loop: Header=BB6_11809 Depth=3
	v_or_b32_sdwa v25, v12, s83 dst_sel:DWORD dst_unused:UNUSED_PAD src0_sel:BYTE_3 src1_sel:DWORD
                                        ; implicit-def: $vgpr12
; %bb.12366:                            ;   in Loop: Header=BB6_11809 Depth=3
	s_andn2_saveexec_b64 s[34:35], vcc
; %bb.12367:                            ;   in Loop: Header=BB6_11809 Depth=3
	v_cmp_lt_i32_e32 vcc, -1, v12
	v_mov_b32_e32 v7, 0x7c
	v_cndmask_b32_e32 v25, -4, v7, vcc
; %bb.12368:                            ;   in Loop: Header=BB6_11809 Depth=3
	s_or_b64 exec, exec, s[34:35]
.LBB6_12369:                            ;   in Loop: Header=BB6_11809 Depth=3
	s_or_b64 exec, exec, s[28:29]
	v_cmp_ne_u16_e32 vcc, 0, v58
	v_mov_b32_e32 v7, 0
	v_mov_b32_e32 v10, 0
	s_and_saveexec_b64 s[28:29], vcc
	s_cbranch_execz .LBB6_12377
; %bb.12370:                            ;   in Loop: Header=BB6_11809 Depth=3
	v_cmp_ne_u16_e32 vcc, s80, v58
	v_bfrev_b32_e32 v10, 1
	s_and_saveexec_b64 s[34:35], vcc
	s_cbranch_execz .LBB6_12376
; %bb.12371:                            ;   in Loop: Header=BB6_11809 Depth=3
	v_and_b32_e32 v10, 0x7c, v58
	v_and_b32_e32 v11, 3, v58
	v_cmp_ne_u32_e32 vcc, s81, v10
                                        ; implicit-def: $vgpr10
	s_and_saveexec_b64 s[36:37], vcc
	s_xor_b64 s[36:37], exec, s[36:37]
	s_cbranch_execz .LBB6_12373
; %bb.12372:                            ;   in Loop: Header=BB6_11809 Depth=3
	v_ffbh_u32_e32 v12, v11
	v_min_u32_e32 v12, 32, v12
	v_and_b32_e32 v10, 0xff, v58
	v_mov_b32_e32 v59, v34
	v_subrev_u32_e32 v28, 29, v12
	v_bfe_u32 v10, v10, 2, 5
	v_lshlrev_b64 v[28:29], v28, v[58:59]
	v_sub_u32_e32 v12, 30, v12
	v_cmp_eq_u32_e32 vcc, 0, v10
	v_and_b32_e32 v28, 3, v28
	v_cndmask_b32_e32 v10, v10, v12, vcc
	v_and_b32_sdwa v12, sext(v58), s82 dst_sel:DWORD dst_unused:UNUSED_PAD src0_sel:WORD_0 src1_sel:DWORD
	v_cndmask_b32_e32 v11, v11, v28, vcc
	v_lshl_add_u32 v10, v10, 23, v12
	v_lshl_or_b32 v10, v11, 21, v10
	v_add_u32_e32 v10, 0x38000000, v10
                                        ; implicit-def: $vgpr11
                                        ; implicit-def: $vgpr58
.LBB6_12373:                            ;   in Loop: Header=BB6_11809 Depth=3
	s_andn2_saveexec_b64 s[36:37], s[36:37]
; %bb.12374:                            ;   in Loop: Header=BB6_11809 Depth=3
	v_cmp_lt_i16_e32 vcc, -1, v58
	v_mov_b32_e32 v10, 0xff800000
	v_mov_b32_e32 v12, 0x7f800000
	v_cndmask_b32_e32 v10, v10, v12, vcc
	v_cmp_eq_u32_e32 vcc, 0, v11
	v_mov_b32_e32 v11, 0x7f800001
	v_cndmask_b32_e32 v10, v11, v10, vcc
; %bb.12375:                            ;   in Loop: Header=BB6_11809 Depth=3
	s_or_b64 exec, exec, s[36:37]
.LBB6_12376:                            ;   in Loop: Header=BB6_11809 Depth=3
	s_or_b64 exec, exec, s[34:35]
.LBB6_12377:                            ;   in Loop: Header=BB6_11809 Depth=3
	s_or_b64 exec, exec, s[28:29]
	v_cmp_ne_u16_e32 vcc, 0, v27
	s_and_saveexec_b64 s[28:29], vcc
	s_cbranch_execz .LBB6_12385
; %bb.12378:                            ;   in Loop: Header=BB6_11809 Depth=3
	v_cmp_ne_u16_e32 vcc, s80, v27
	v_bfrev_b32_e32 v7, 1
	s_and_saveexec_b64 s[34:35], vcc
	s_cbranch_execz .LBB6_12384
; %bb.12379:                            ;   in Loop: Header=BB6_11809 Depth=3
	v_and_b32_e32 v7, 0x7c, v27
	v_and_b32_e32 v11, 3, v27
	v_cmp_ne_u32_e32 vcc, s81, v7
                                        ; implicit-def: $vgpr7
	s_and_saveexec_b64 s[36:37], vcc
	s_xor_b64 s[36:37], exec, s[36:37]
	s_cbranch_execz .LBB6_12381
; %bb.12380:                            ;   in Loop: Header=BB6_11809 Depth=3
	v_ffbh_u32_e32 v12, v11
	v_min_u32_e32 v12, 32, v12
	v_and_b32_e32 v7, 0xff, v27
	v_mov_b32_e32 v28, v34
	v_subrev_u32_e32 v29, 29, v12
	v_bfe_u32 v7, v7, 2, 5
	v_lshlrev_b64 v[28:29], v29, v[27:28]
	v_sub_u32_e32 v12, 30, v12
	v_cmp_eq_u32_e32 vcc, 0, v7
	v_and_b32_e32 v28, 3, v28
	v_cndmask_b32_e32 v7, v7, v12, vcc
	v_and_b32_sdwa v12, sext(v27), s82 dst_sel:DWORD dst_unused:UNUSED_PAD src0_sel:WORD_0 src1_sel:DWORD
	v_cndmask_b32_e32 v11, v11, v28, vcc
	v_lshl_add_u32 v7, v7, 23, v12
	v_lshl_or_b32 v7, v11, 21, v7
	v_add_u32_e32 v7, 0x38000000, v7
                                        ; implicit-def: $vgpr11
                                        ; implicit-def: $vgpr27
.LBB6_12381:                            ;   in Loop: Header=BB6_11809 Depth=3
	s_andn2_saveexec_b64 s[36:37], s[36:37]
; %bb.12382:                            ;   in Loop: Header=BB6_11809 Depth=3
	v_cmp_lt_i16_e32 vcc, -1, v27
	v_mov_b32_e32 v7, 0xff800000
	v_mov_b32_e32 v12, 0x7f800000
	v_cndmask_b32_e32 v7, v7, v12, vcc
	v_cmp_eq_u32_e32 vcc, 0, v11
	v_mov_b32_e32 v11, 0x7f800001
	v_cndmask_b32_e32 v7, v11, v7, vcc
; %bb.12383:                            ;   in Loop: Header=BB6_11809 Depth=3
	s_or_b64 exec, exec, s[36:37]
.LBB6_12384:                            ;   in Loop: Header=BB6_11809 Depth=3
	s_or_b64 exec, exec, s[34:35]
.LBB6_12385:                            ;   in Loop: Header=BB6_11809 Depth=3
	s_or_b64 exec, exec, s[28:29]
	v_mul_f32_e32 v27, v10, v7
	v_and_b32_e32 v11, 0x7f800000, v27
	v_mov_b32_e32 v12, v34
	v_cmp_ne_u64_e32 vcc, s[76:77], v[11:12]
	v_and_b32_e32 v10, 0x7fffff, v27
	v_mov_b32_e32 v11, v34
                                        ; implicit-def: $vgpr12
	s_and_saveexec_b64 s[28:29], vcc
	s_xor_b64 s[34:35], exec, s[28:29]
	s_cbranch_execz .LBB6_12403
; %bb.12386:                            ;   in Loop: Header=BB6_11809 Depth=3
	v_and_b32_e32 v28, 0x7fffffff, v27
	v_mov_b32_e32 v29, v34
	v_cmp_gt_u64_e32 vcc, s[78:79], v[28:29]
	v_and_b32_sdwa v7, v27, s44 dst_sel:DWORD dst_unused:UNUSED_PAD src0_sel:BYTE_3 src1_sel:DWORD
                                        ; implicit-def: $vgpr12
	s_and_saveexec_b64 s[28:29], vcc
	s_xor_b64 s[36:37], exec, s[28:29]
	s_cbranch_execz .LBB6_12400
; %bb.12387:                            ;   in Loop: Header=BB6_11809 Depth=3
	v_cmp_ne_u32_e32 vcc, 0, v27
	v_mov_b32_e32 v12, 0
	s_and_saveexec_b64 s[38:39], vcc
	s_cbranch_execz .LBB6_12399
; %bb.12388:                            ;   in Loop: Header=BB6_11809 Depth=3
	v_bfe_u32 v27, v27, 23, 8
	v_cmp_gt_u32_e64 s[28:29], s45, v27
	v_sub_u32_e32 v12, 0x71, v27
	v_cmp_eq_u32_e32 vcc, 0, v27
	v_cndmask_b32_e64 v12, 0, v12, s[28:29]
	v_mov_b32_e32 v28, 0x70
	v_cndmask_b32_e32 v28, v12, v28, vcc
	v_or_b32_e32 v29, 0x800000, v10
	v_add_u32_e32 v12, 21, v28
	v_cndmask_b32_e32 v10, v29, v10, vcc
	v_lshlrev_b64 v[29:30], v12, -1
	v_add_u32_e32 v12, 20, v28
	v_mov_b32_e32 v31, v35
	v_bfi_b32 v29, v29, 0, v10
	v_lshlrev_b64 v[35:36], v12, 1
	v_lshrrev_b64 v[10:11], v28, v[10:11]
	v_bfi_b32 v30, v30, 0, 0
	v_cmp_eq_u64_e64 s[28:29], v[29:30], v[35:36]
	v_mov_b32_e32 v12, v11
	v_mov_b32_e32 v11, v10
	s_and_saveexec_b64 s[48:49], s[28:29]
; %bb.12389:                            ;   in Loop: Header=BB6_11809 Depth=3
	v_bfe_u32 v11, v10, 21, 1
	v_add_co_u32_e64 v11, s[28:29], v10, v11
	v_add_co_u32_e64 v11, s[28:29], -1, v11
; %bb.12390:                            ;   in Loop: Header=BB6_11809 Depth=3
	s_or_b64 exec, exec, s[48:49]
	v_add_u32_e32 v12, 0xffffff81, v27
	v_mov_b32_e32 v27, 0xffffff82
	v_cndmask_b32_e32 v12, v12, v27, vcc
	v_lshrrev_b32_e32 v27, 23, v10
	v_add3_u32 v28, v28, v12, v27
	v_add_u32_e32 v12, 14, v28
	v_and_b32_e32 v11, 0x1fffff, v11
	v_add_u32_e32 v10, v11, v10
	v_mov_b32_e32 v11, v34
	v_cmp_ne_u32_e32 vcc, 0, v12
                                        ; implicit-def: $vgpr27
	s_and_saveexec_b64 s[28:29], vcc
	s_xor_b64 s[28:29], exec, s[28:29]
; %bb.12391:                            ;   in Loop: Header=BB6_11809 Depth=3
	v_cmp_lt_u64_e32 vcc, s[88:89], v[10:11]
	v_add_u32_e32 v27, 15, v28
	v_cndmask_b32_e32 v27, v12, v27, vcc
	v_cndmask_b32_e64 v12, 0, 1, vcc
	v_lshrrev_b64 v[10:11], v12, v[10:11]
; %bb.12392:                            ;   in Loop: Header=BB6_11809 Depth=3
	s_or_saveexec_b64 s[28:29], s[28:29]
	v_mov_b32_e32 v35, v31
	s_xor_b64 exec, exec, s[28:29]
; %bb.12393:                            ;   in Loop: Header=BB6_11809 Depth=3
	v_bfe_u32 v27, v10, 23, 1
; %bb.12394:                            ;   in Loop: Header=BB6_11809 Depth=3
	s_or_b64 exec, exec, s[28:29]
	v_lshrrev_b64 v[10:11], 21, v[10:11]
	v_cmp_gt_i32_e32 vcc, 32, v27
	v_cndmask_b32_e32 v11, 0, v11, vcc
	v_cndmask_b32_e32 v10, 3, v10, vcc
	v_cmp_ne_u64_e32 vcc, 0, v[10:11]
	v_cmp_ne_u32_e64 s[28:29], 0, v27
	s_or_b64 s[28:29], s[28:29], vcc
                                        ; implicit-def: $vgpr12
	s_and_saveexec_b64 vcc, s[28:29]
	s_xor_b64 s[28:29], exec, vcc
; %bb.12395:                            ;   in Loop: Header=BB6_11809 Depth=3
	v_min_i32_e32 v11, 31, v27
	v_lshl_or_b32 v7, v11, 2, v7
	v_and_or_b32 v12, v10, 3, v7
                                        ; implicit-def: $vgpr7
; %bb.12396:                            ;   in Loop: Header=BB6_11809 Depth=3
	s_andn2_saveexec_b64 s[28:29], s[28:29]
; %bb.12397:                            ;   in Loop: Header=BB6_11809 Depth=3
	v_mov_b32_e32 v12, v7
; %bb.12398:                            ;   in Loop: Header=BB6_11809 Depth=3
	s_or_b64 exec, exec, s[28:29]
.LBB6_12399:                            ;   in Loop: Header=BB6_11809 Depth=3
	s_or_b64 exec, exec, s[38:39]
                                        ; implicit-def: $vgpr7
.LBB6_12400:                            ;   in Loop: Header=BB6_11809 Depth=3
	s_andn2_saveexec_b64 s[28:29], s[36:37]
; %bb.12401:                            ;   in Loop: Header=BB6_11809 Depth=3
	v_or_b32_e32 v12, 0x7b, v7
; %bb.12402:                            ;   in Loop: Header=BB6_11809 Depth=3
	s_or_b64 exec, exec, s[28:29]
                                        ; implicit-def: $vgpr27
                                        ; implicit-def: $vgpr10_vgpr11
.LBB6_12403:                            ;   in Loop: Header=BB6_11809 Depth=3
	s_andn2_saveexec_b64 s[28:29], s[34:35]
	s_cbranch_execz .LBB6_12409
; %bb.12404:                            ;   in Loop: Header=BB6_11809 Depth=3
	v_cmp_ne_u64_e32 vcc, 0, v[10:11]
                                        ; implicit-def: $vgpr12
	s_and_saveexec_b64 s[34:35], vcc
	s_xor_b64 vcc, exec, s[34:35]
; %bb.12405:                            ;   in Loop: Header=BB6_11809 Depth=3
	v_or_b32_sdwa v12, v27, s83 dst_sel:DWORD dst_unused:UNUSED_PAD src0_sel:BYTE_3 src1_sel:DWORD
                                        ; implicit-def: $vgpr27
; %bb.12406:                            ;   in Loop: Header=BB6_11809 Depth=3
	s_andn2_saveexec_b64 s[34:35], vcc
; %bb.12407:                            ;   in Loop: Header=BB6_11809 Depth=3
	v_cmp_lt_i32_e32 vcc, -1, v27
	v_mov_b32_e32 v7, 0x7c
	v_cndmask_b32_e32 v12, -4, v7, vcc
; %bb.12408:                            ;   in Loop: Header=BB6_11809 Depth=3
	s_or_b64 exec, exec, s[34:35]
.LBB6_12409:                            ;   in Loop: Header=BB6_11809 Depth=3
	s_or_b64 exec, exec, s[28:29]
	v_cmp_ne_u16_e32 vcc, 0, v44
	v_mov_b32_e32 v7, 0
	v_mov_b32_e32 v10, 0
	s_and_saveexec_b64 s[28:29], vcc
	s_cbranch_execz .LBB6_12417
; %bb.12410:                            ;   in Loop: Header=BB6_11809 Depth=3
	v_cmp_ne_u16_e32 vcc, s80, v44
	v_bfrev_b32_e32 v10, 1
	s_and_saveexec_b64 s[34:35], vcc
	s_cbranch_execz .LBB6_12416
; %bb.12411:                            ;   in Loop: Header=BB6_11809 Depth=3
	v_and_b32_e32 v10, 0x7c, v44
	v_and_b32_e32 v11, 3, v44
	v_cmp_ne_u32_e32 vcc, s81, v10
                                        ; implicit-def: $vgpr10
	s_and_saveexec_b64 s[36:37], vcc
	s_xor_b64 s[36:37], exec, s[36:37]
	s_cbranch_execz .LBB6_12413
; %bb.12412:                            ;   in Loop: Header=BB6_11809 Depth=3
	v_ffbh_u32_e32 v27, v11
	v_min_u32_e32 v29, 32, v27
	v_mov_b32_e32 v45, v34
	v_subrev_u32_e32 v27, 29, v29
	v_and_b32_e32 v10, 0xff, v44
	v_lshlrev_b64 v[27:28], v27, v[44:45]
	v_bfe_u32 v10, v10, 2, 5
	v_sub_u32_e32 v28, 30, v29
	v_and_b32_e32 v27, 3, v27
	v_cmp_eq_u32_e32 vcc, 0, v10
	v_cndmask_b32_e32 v10, v10, v28, vcc
	v_cndmask_b32_e32 v11, v11, v27, vcc
	v_and_b32_sdwa v27, sext(v44), s82 dst_sel:DWORD dst_unused:UNUSED_PAD src0_sel:WORD_0 src1_sel:DWORD
	v_lshl_add_u32 v10, v10, 23, v27
	v_lshl_or_b32 v10, v11, 21, v10
	v_add_u32_e32 v10, 0x38000000, v10
                                        ; implicit-def: $vgpr11
                                        ; implicit-def: $vgpr44
.LBB6_12413:                            ;   in Loop: Header=BB6_11809 Depth=3
	s_andn2_saveexec_b64 s[36:37], s[36:37]
; %bb.12414:                            ;   in Loop: Header=BB6_11809 Depth=3
	v_cmp_lt_i16_e32 vcc, -1, v44
	v_mov_b32_e32 v10, 0xff800000
	v_mov_b32_e32 v27, 0x7f800000
	v_cndmask_b32_e32 v10, v10, v27, vcc
	v_cmp_eq_u32_e32 vcc, 0, v11
	v_mov_b32_e32 v11, 0x7f800001
	v_cndmask_b32_e32 v10, v11, v10, vcc
; %bb.12415:                            ;   in Loop: Header=BB6_11809 Depth=3
	s_or_b64 exec, exec, s[36:37]
.LBB6_12416:                            ;   in Loop: Header=BB6_11809 Depth=3
	s_or_b64 exec, exec, s[34:35]
.LBB6_12417:                            ;   in Loop: Header=BB6_11809 Depth=3
	s_or_b64 exec, exec, s[28:29]
	v_cmp_ne_u16_e32 vcc, 0, v6
	s_and_saveexec_b64 s[28:29], vcc
	s_cbranch_execz .LBB6_12425
; %bb.12418:                            ;   in Loop: Header=BB6_11809 Depth=3
	v_cmp_ne_u16_e32 vcc, s80, v6
	v_bfrev_b32_e32 v7, 1
	s_and_saveexec_b64 s[34:35], vcc
	s_cbranch_execz .LBB6_12424
; %bb.12419:                            ;   in Loop: Header=BB6_11809 Depth=3
	v_and_b32_e32 v7, 0x7c, v6
	v_and_b32_e32 v11, 3, v6
	v_cmp_ne_u32_e32 vcc, s81, v7
                                        ; implicit-def: $vgpr7
	s_and_saveexec_b64 s[36:37], vcc
	s_xor_b64 s[36:37], exec, s[36:37]
	s_cbranch_execz .LBB6_12421
; %bb.12420:                            ;   in Loop: Header=BB6_11809 Depth=3
	v_and_b32_e32 v27, 0xff, v6
	v_bfe_u32 v29, v27, 2, 5
	v_ffbh_u32_e32 v27, v11
	v_min_u32_e32 v30, 32, v27
	v_mov_b32_e32 v7, v34
	v_subrev_u32_e32 v27, 29, v30
	v_lshlrev_b64 v[27:28], v27, v[6:7]
	v_sub_u32_e32 v7, 30, v30
	v_cmp_eq_u32_e32 vcc, 0, v29
	v_and_b32_e32 v27, 3, v27
	v_cndmask_b32_e32 v7, v29, v7, vcc
	v_and_b32_sdwa v6, sext(v6), s82 dst_sel:DWORD dst_unused:UNUSED_PAD src0_sel:WORD_0 src1_sel:DWORD
	v_cndmask_b32_e32 v11, v11, v27, vcc
	v_lshl_add_u32 v6, v7, 23, v6
	v_lshl_or_b32 v6, v11, 21, v6
	v_add_u32_e32 v7, 0x38000000, v6
                                        ; implicit-def: $vgpr11
                                        ; implicit-def: $vgpr6
.LBB6_12421:                            ;   in Loop: Header=BB6_11809 Depth=3
	s_andn2_saveexec_b64 s[36:37], s[36:37]
; %bb.12422:                            ;   in Loop: Header=BB6_11809 Depth=3
	v_cmp_lt_i16_e32 vcc, -1, v6
	v_mov_b32_e32 v6, 0xff800000
	v_mov_b32_e32 v7, 0x7f800000
	v_cndmask_b32_e32 v6, v6, v7, vcc
	v_cmp_eq_u32_e32 vcc, 0, v11
	v_mov_b32_e32 v7, 0x7f800001
	v_cndmask_b32_e32 v7, v7, v6, vcc
; %bb.12423:                            ;   in Loop: Header=BB6_11809 Depth=3
	s_or_b64 exec, exec, s[36:37]
.LBB6_12424:                            ;   in Loop: Header=BB6_11809 Depth=3
	s_or_b64 exec, exec, s[34:35]
.LBB6_12425:                            ;   in Loop: Header=BB6_11809 Depth=3
	s_or_b64 exec, exec, s[28:29]
	v_mul_f32_e32 v10, v10, v7
	v_and_b32_e32 v27, 0x7f800000, v10
	v_mov_b32_e32 v28, v34
	v_cmp_ne_u64_e32 vcc, s[76:77], v[27:28]
	v_and_b32_e32 v6, 0x7fffff, v10
	v_mov_b32_e32 v7, v34
                                        ; implicit-def: $vgpr27
	s_and_saveexec_b64 s[28:29], vcc
	s_xor_b64 s[34:35], exec, s[28:29]
	s_cbranch_execz .LBB6_12443
; %bb.12426:                            ;   in Loop: Header=BB6_11809 Depth=3
	v_and_b32_e32 v27, 0x7fffffff, v10
	v_mov_b32_e32 v28, v34
	v_cmp_gt_u64_e32 vcc, s[78:79], v[27:28]
	v_and_b32_sdwa v28, v10, s44 dst_sel:DWORD dst_unused:UNUSED_PAD src0_sel:BYTE_3 src1_sel:DWORD
                                        ; implicit-def: $vgpr27
	s_and_saveexec_b64 s[28:29], vcc
	s_xor_b64 s[36:37], exec, s[28:29]
	s_cbranch_execz .LBB6_12440
; %bb.12427:                            ;   in Loop: Header=BB6_11809 Depth=3
	v_cmp_ne_u32_e32 vcc, 0, v10
	v_mov_b32_e32 v27, 0
	s_and_saveexec_b64 s[38:39], vcc
	s_cbranch_execz .LBB6_12439
; %bb.12428:                            ;   in Loop: Header=BB6_11809 Depth=3
	v_bfe_u32 v27, v10, 23, 8
	v_cmp_gt_u32_e64 s[28:29], s45, v27
	v_sub_u32_e32 v10, 0x71, v27
	v_cmp_eq_u32_e32 vcc, 0, v27
	v_cndmask_b32_e64 v10, 0, v10, s[28:29]
	v_mov_b32_e32 v29, 0x70
	v_cndmask_b32_e32 v29, v10, v29, vcc
	v_or_b32_e32 v11, 0x800000, v6
	v_add_u32_e32 v10, 21, v29
	v_cndmask_b32_e32 v6, v11, v6, vcc
	v_lshlrev_b64 v[10:11], v10, -1
	v_add_u32_e32 v30, 20, v29
	v_bfi_b32 v10, v10, 0, v6
	v_lshlrev_b64 v[30:31], v30, 1
	v_lshrrev_b64 v[6:7], v29, v[6:7]
	v_bfi_b32 v11, v11, 0, 0
	v_cmp_eq_u64_e64 s[28:29], v[10:11], v[30:31]
	v_mov_b32_e32 v11, v7
	v_mov_b32_e32 v10, v6
	s_and_saveexec_b64 s[48:49], s[28:29]
; %bb.12429:                            ;   in Loop: Header=BB6_11809 Depth=3
	v_bfe_u32 v7, v6, 21, 1
	v_add_co_u32_e64 v7, s[28:29], v6, v7
	v_add_co_u32_e64 v10, s[28:29], -1, v7
; %bb.12430:                            ;   in Loop: Header=BB6_11809 Depth=3
	s_or_b64 exec, exec, s[48:49]
	v_add_u32_e32 v7, 0xffffff81, v27
	v_mov_b32_e32 v11, 0xffffff82
	v_cndmask_b32_e32 v7, v7, v11, vcc
	v_lshrrev_b32_e32 v11, 23, v6
	v_add3_u32 v27, v29, v7, v11
	v_add_u32_e32 v11, 14, v27
	v_and_b32_e32 v7, 0x1fffff, v10
	v_add_u32_e32 v6, v7, v6
	v_mov_b32_e32 v7, v34
	v_cmp_ne_u32_e32 vcc, 0, v11
                                        ; implicit-def: $vgpr10
	s_and_saveexec_b64 s[28:29], vcc
	s_xor_b64 s[28:29], exec, s[28:29]
; %bb.12431:                            ;   in Loop: Header=BB6_11809 Depth=3
	v_cmp_lt_u64_e32 vcc, s[88:89], v[6:7]
	v_add_u32_e32 v10, 15, v27
	v_cndmask_b32_e32 v10, v11, v10, vcc
	v_cndmask_b32_e64 v11, 0, 1, vcc
	v_lshrrev_b64 v[6:7], v11, v[6:7]
; %bb.12432:                            ;   in Loop: Header=BB6_11809 Depth=3
	s_andn2_saveexec_b64 s[28:29], s[28:29]
; %bb.12433:                            ;   in Loop: Header=BB6_11809 Depth=3
	v_bfe_u32 v10, v6, 23, 1
; %bb.12434:                            ;   in Loop: Header=BB6_11809 Depth=3
	s_or_b64 exec, exec, s[28:29]
	v_lshrrev_b64 v[6:7], 21, v[6:7]
	v_cmp_gt_i32_e32 vcc, 32, v10
	v_cndmask_b32_e32 v7, 0, v7, vcc
	v_cndmask_b32_e32 v6, 3, v6, vcc
	v_cmp_ne_u64_e32 vcc, 0, v[6:7]
	v_cmp_ne_u32_e64 s[28:29], 0, v10
	s_or_b64 s[28:29], s[28:29], vcc
                                        ; implicit-def: $vgpr27
	s_and_saveexec_b64 vcc, s[28:29]
	s_xor_b64 s[28:29], exec, vcc
; %bb.12435:                            ;   in Loop: Header=BB6_11809 Depth=3
	v_min_i32_e32 v7, 31, v10
	v_lshl_or_b32 v7, v7, 2, v28
	v_and_or_b32 v27, v6, 3, v7
                                        ; implicit-def: $vgpr28
; %bb.12436:                            ;   in Loop: Header=BB6_11809 Depth=3
	s_andn2_saveexec_b64 s[28:29], s[28:29]
; %bb.12437:                            ;   in Loop: Header=BB6_11809 Depth=3
	v_mov_b32_e32 v27, v28
; %bb.12438:                            ;   in Loop: Header=BB6_11809 Depth=3
	s_or_b64 exec, exec, s[28:29]
.LBB6_12439:                            ;   in Loop: Header=BB6_11809 Depth=3
	s_or_b64 exec, exec, s[38:39]
                                        ; implicit-def: $vgpr28
.LBB6_12440:                            ;   in Loop: Header=BB6_11809 Depth=3
	s_andn2_saveexec_b64 s[28:29], s[36:37]
; %bb.12441:                            ;   in Loop: Header=BB6_11809 Depth=3
	v_or_b32_e32 v27, 0x7b, v28
; %bb.12442:                            ;   in Loop: Header=BB6_11809 Depth=3
	s_or_b64 exec, exec, s[28:29]
                                        ; implicit-def: $vgpr10
                                        ; implicit-def: $vgpr6_vgpr7
.LBB6_12443:                            ;   in Loop: Header=BB6_11809 Depth=3
	s_andn2_saveexec_b64 s[28:29], s[34:35]
	s_cbranch_execz .LBB6_12449
; %bb.12444:                            ;   in Loop: Header=BB6_11809 Depth=3
	v_cmp_ne_u64_e32 vcc, 0, v[6:7]
                                        ; implicit-def: $vgpr27
	s_and_saveexec_b64 s[34:35], vcc
	s_xor_b64 vcc, exec, s[34:35]
; %bb.12445:                            ;   in Loop: Header=BB6_11809 Depth=3
	v_or_b32_sdwa v27, v10, s83 dst_sel:DWORD dst_unused:UNUSED_PAD src0_sel:BYTE_3 src1_sel:DWORD
                                        ; implicit-def: $vgpr10
; %bb.12446:                            ;   in Loop: Header=BB6_11809 Depth=3
	s_andn2_saveexec_b64 s[34:35], vcc
; %bb.12447:                            ;   in Loop: Header=BB6_11809 Depth=3
	v_cmp_lt_i32_e32 vcc, -1, v10
	v_mov_b32_e32 v6, 0x7c
	v_cndmask_b32_e32 v27, -4, v6, vcc
; %bb.12448:                            ;   in Loop: Header=BB6_11809 Depth=3
	s_or_b64 exec, exec, s[34:35]
.LBB6_12449:                            ;   in Loop: Header=BB6_11809 Depth=3
	s_or_b64 exec, exec, s[28:29]
	v_cmp_ne_u16_e32 vcc, 0, v52
	v_mov_b32_e32 v6, 0
	v_mov_b32_e32 v7, 0
	s_and_saveexec_b64 s[28:29], vcc
	s_cbranch_execz .LBB6_12457
; %bb.12450:                            ;   in Loop: Header=BB6_11809 Depth=3
	v_cmp_ne_u16_e32 vcc, s80, v52
	v_bfrev_b32_e32 v7, 1
	s_and_saveexec_b64 s[34:35], vcc
	s_cbranch_execz .LBB6_12456
; %bb.12451:                            ;   in Loop: Header=BB6_11809 Depth=3
	v_and_b32_e32 v7, 0x7c, v52
	v_and_b32_e32 v10, 3, v52
	v_cmp_ne_u32_e32 vcc, s81, v7
                                        ; implicit-def: $vgpr7
	s_and_saveexec_b64 s[36:37], vcc
	s_xor_b64 s[36:37], exec, s[36:37]
	s_cbranch_execz .LBB6_12453
; %bb.12452:                            ;   in Loop: Header=BB6_11809 Depth=3
	v_ffbh_u32_e32 v11, v10
	v_min_u32_e32 v11, 32, v11
	v_and_b32_e32 v7, 0xff, v52
	v_mov_b32_e32 v53, v34
	v_subrev_u32_e32 v28, 29, v11
	v_bfe_u32 v7, v7, 2, 5
	v_lshlrev_b64 v[28:29], v28, v[52:53]
	v_sub_u32_e32 v11, 30, v11
	v_cmp_eq_u32_e32 vcc, 0, v7
	v_and_b32_e32 v28, 3, v28
	v_cndmask_b32_e32 v7, v7, v11, vcc
	v_and_b32_sdwa v11, sext(v52), s82 dst_sel:DWORD dst_unused:UNUSED_PAD src0_sel:WORD_0 src1_sel:DWORD
	v_cndmask_b32_e32 v10, v10, v28, vcc
	v_lshl_add_u32 v7, v7, 23, v11
	v_lshl_or_b32 v7, v10, 21, v7
	v_add_u32_e32 v7, 0x38000000, v7
                                        ; implicit-def: $vgpr10
                                        ; implicit-def: $vgpr52
.LBB6_12453:                            ;   in Loop: Header=BB6_11809 Depth=3
	s_andn2_saveexec_b64 s[36:37], s[36:37]
; %bb.12454:                            ;   in Loop: Header=BB6_11809 Depth=3
	v_cmp_lt_i16_e32 vcc, -1, v52
	v_mov_b32_e32 v7, 0xff800000
	v_mov_b32_e32 v11, 0x7f800000
	v_cndmask_b32_e32 v7, v7, v11, vcc
	v_cmp_eq_u32_e32 vcc, 0, v10
	v_mov_b32_e32 v10, 0x7f800001
	v_cndmask_b32_e32 v7, v10, v7, vcc
; %bb.12455:                            ;   in Loop: Header=BB6_11809 Depth=3
	s_or_b64 exec, exec, s[36:37]
.LBB6_12456:                            ;   in Loop: Header=BB6_11809 Depth=3
	s_or_b64 exec, exec, s[34:35]
.LBB6_12457:                            ;   in Loop: Header=BB6_11809 Depth=3
	s_or_b64 exec, exec, s[28:29]
	v_cmp_ne_u16_e32 vcc, 0, v51
	s_and_saveexec_b64 s[28:29], vcc
	s_cbranch_execz .LBB6_12465
; %bb.12458:                            ;   in Loop: Header=BB6_11809 Depth=3
	v_cmp_ne_u16_e32 vcc, s80, v51
	v_bfrev_b32_e32 v6, 1
	s_and_saveexec_b64 s[34:35], vcc
	s_cbranch_execz .LBB6_12464
; %bb.12459:                            ;   in Loop: Header=BB6_11809 Depth=3
	v_and_b32_e32 v6, 0x7c, v51
	v_and_b32_e32 v10, 3, v51
	v_cmp_ne_u32_e32 vcc, s81, v6
                                        ; implicit-def: $vgpr6
	s_and_saveexec_b64 s[36:37], vcc
	s_xor_b64 s[36:37], exec, s[36:37]
	s_cbranch_execz .LBB6_12461
; %bb.12460:                            ;   in Loop: Header=BB6_11809 Depth=3
	v_ffbh_u32_e32 v11, v10
	v_min_u32_e32 v11, 32, v11
	v_and_b32_e32 v6, 0xff, v51
	v_mov_b32_e32 v52, v34
	v_subrev_u32_e32 v28, 29, v11
	v_bfe_u32 v6, v6, 2, 5
	v_lshlrev_b64 v[28:29], v28, v[51:52]
	v_sub_u32_e32 v11, 30, v11
	v_cmp_eq_u32_e32 vcc, 0, v6
	v_and_b32_e32 v28, 3, v28
	v_cndmask_b32_e32 v6, v6, v11, vcc
	v_and_b32_sdwa v11, sext(v51), s82 dst_sel:DWORD dst_unused:UNUSED_PAD src0_sel:WORD_0 src1_sel:DWORD
	v_cndmask_b32_e32 v10, v10, v28, vcc
	v_lshl_add_u32 v6, v6, 23, v11
	v_lshl_or_b32 v6, v10, 21, v6
	v_add_u32_e32 v6, 0x38000000, v6
                                        ; implicit-def: $vgpr10
                                        ; implicit-def: $vgpr51
.LBB6_12461:                            ;   in Loop: Header=BB6_11809 Depth=3
	s_andn2_saveexec_b64 s[36:37], s[36:37]
; %bb.12462:                            ;   in Loop: Header=BB6_11809 Depth=3
	v_cmp_lt_i16_e32 vcc, -1, v51
	v_mov_b32_e32 v6, 0xff800000
	v_mov_b32_e32 v11, 0x7f800000
	v_cndmask_b32_e32 v6, v6, v11, vcc
	v_cmp_eq_u32_e32 vcc, 0, v10
	v_mov_b32_e32 v10, 0x7f800001
	v_cndmask_b32_e32 v6, v10, v6, vcc
; %bb.12463:                            ;   in Loop: Header=BB6_11809 Depth=3
	s_or_b64 exec, exec, s[36:37]
.LBB6_12464:                            ;   in Loop: Header=BB6_11809 Depth=3
	s_or_b64 exec, exec, s[34:35]
.LBB6_12465:                            ;   in Loop: Header=BB6_11809 Depth=3
	s_or_b64 exec, exec, s[28:29]
	v_mul_f32_e32 v10, v7, v6
	v_and_b32_e32 v28, 0x7f800000, v10
	v_mov_b32_e32 v29, v34
	v_cmp_ne_u64_e32 vcc, s[76:77], v[28:29]
	v_and_b32_e32 v6, 0x7fffff, v10
	v_mov_b32_e32 v7, v34
                                        ; implicit-def: $vgpr28
	s_and_saveexec_b64 s[28:29], vcc
	s_xor_b64 s[34:35], exec, s[28:29]
	s_cbranch_execz .LBB6_12483
; %bb.12466:                            ;   in Loop: Header=BB6_11809 Depth=3
	v_and_b32_e32 v28, 0x7fffffff, v10
	v_mov_b32_e32 v29, v34
	v_cmp_gt_u64_e32 vcc, s[78:79], v[28:29]
	v_and_b32_sdwa v29, v10, s44 dst_sel:DWORD dst_unused:UNUSED_PAD src0_sel:BYTE_3 src1_sel:DWORD
                                        ; implicit-def: $vgpr28
	s_and_saveexec_b64 s[28:29], vcc
	s_xor_b64 s[36:37], exec, s[28:29]
	s_cbranch_execz .LBB6_12480
; %bb.12467:                            ;   in Loop: Header=BB6_11809 Depth=3
	v_cmp_ne_u32_e32 vcc, 0, v10
	v_mov_b32_e32 v28, 0
	s_and_saveexec_b64 s[38:39], vcc
	s_cbranch_execz .LBB6_12479
; %bb.12468:                            ;   in Loop: Header=BB6_11809 Depth=3
	v_bfe_u32 v28, v10, 23, 8
	v_cmp_gt_u32_e64 s[28:29], s45, v28
	v_sub_u32_e32 v10, 0x71, v28
	v_cmp_eq_u32_e32 vcc, 0, v28
	v_cndmask_b32_e64 v10, 0, v10, s[28:29]
	v_mov_b32_e32 v30, 0x70
	v_cndmask_b32_e32 v33, v10, v30, vcc
	v_or_b32_e32 v11, 0x800000, v6
	v_add_u32_e32 v10, 21, v33
	v_cndmask_b32_e32 v6, v11, v6, vcc
	v_lshlrev_b64 v[10:11], v10, -1
	v_add_u32_e32 v30, 20, v33
	v_bfi_b32 v10, v10, 0, v6
	v_lshlrev_b64 v[30:31], v30, 1
	v_lshrrev_b64 v[6:7], v33, v[6:7]
	v_bfi_b32 v11, v11, 0, 0
	v_cmp_eq_u64_e64 s[28:29], v[10:11], v[30:31]
	v_mov_b32_e32 v11, v7
	v_mov_b32_e32 v10, v6
	s_and_saveexec_b64 s[48:49], s[28:29]
; %bb.12469:                            ;   in Loop: Header=BB6_11809 Depth=3
	v_bfe_u32 v7, v6, 21, 1
	v_add_co_u32_e64 v7, s[28:29], v6, v7
	v_add_co_u32_e64 v10, s[28:29], -1, v7
; %bb.12470:                            ;   in Loop: Header=BB6_11809 Depth=3
	s_or_b64 exec, exec, s[48:49]
	v_add_u32_e32 v7, 0xffffff81, v28
	v_mov_b32_e32 v11, 0xffffff82
	v_cndmask_b32_e32 v7, v7, v11, vcc
	v_lshrrev_b32_e32 v11, 23, v6
	v_add3_u32 v28, v33, v7, v11
	v_add_u32_e32 v11, 14, v28
	v_and_b32_e32 v7, 0x1fffff, v10
	v_add_u32_e32 v6, v7, v6
	v_mov_b32_e32 v7, v34
	v_cmp_ne_u32_e32 vcc, 0, v11
                                        ; implicit-def: $vgpr10
	s_and_saveexec_b64 s[28:29], vcc
	s_xor_b64 s[28:29], exec, s[28:29]
; %bb.12471:                            ;   in Loop: Header=BB6_11809 Depth=3
	v_cmp_lt_u64_e32 vcc, s[88:89], v[6:7]
	v_add_u32_e32 v10, 15, v28
	v_cndmask_b32_e32 v10, v11, v10, vcc
	v_cndmask_b32_e64 v11, 0, 1, vcc
	v_lshrrev_b64 v[6:7], v11, v[6:7]
; %bb.12472:                            ;   in Loop: Header=BB6_11809 Depth=3
	s_andn2_saveexec_b64 s[28:29], s[28:29]
; %bb.12473:                            ;   in Loop: Header=BB6_11809 Depth=3
	v_bfe_u32 v10, v6, 23, 1
; %bb.12474:                            ;   in Loop: Header=BB6_11809 Depth=3
	s_or_b64 exec, exec, s[28:29]
	v_lshrrev_b64 v[6:7], 21, v[6:7]
	v_cmp_gt_i32_e32 vcc, 32, v10
	v_cndmask_b32_e32 v7, 0, v7, vcc
	v_cndmask_b32_e32 v6, 3, v6, vcc
	v_cmp_ne_u64_e32 vcc, 0, v[6:7]
	v_cmp_ne_u32_e64 s[28:29], 0, v10
	s_or_b64 s[28:29], s[28:29], vcc
                                        ; implicit-def: $vgpr28
	s_and_saveexec_b64 vcc, s[28:29]
	s_xor_b64 s[28:29], exec, vcc
; %bb.12475:                            ;   in Loop: Header=BB6_11809 Depth=3
	v_min_i32_e32 v7, 31, v10
	v_lshl_or_b32 v7, v7, 2, v29
	v_and_or_b32 v28, v6, 3, v7
                                        ; implicit-def: $vgpr29
; %bb.12476:                            ;   in Loop: Header=BB6_11809 Depth=3
	s_andn2_saveexec_b64 s[28:29], s[28:29]
; %bb.12477:                            ;   in Loop: Header=BB6_11809 Depth=3
	v_mov_b32_e32 v28, v29
; %bb.12478:                            ;   in Loop: Header=BB6_11809 Depth=3
	s_or_b64 exec, exec, s[28:29]
.LBB6_12479:                            ;   in Loop: Header=BB6_11809 Depth=3
	s_or_b64 exec, exec, s[38:39]
                                        ; implicit-def: $vgpr29
.LBB6_12480:                            ;   in Loop: Header=BB6_11809 Depth=3
	s_andn2_saveexec_b64 s[28:29], s[36:37]
; %bb.12481:                            ;   in Loop: Header=BB6_11809 Depth=3
	v_or_b32_e32 v28, 0x7b, v29
; %bb.12482:                            ;   in Loop: Header=BB6_11809 Depth=3
	s_or_b64 exec, exec, s[28:29]
                                        ; implicit-def: $vgpr10
                                        ; implicit-def: $vgpr6_vgpr7
.LBB6_12483:                            ;   in Loop: Header=BB6_11809 Depth=3
	s_andn2_saveexec_b64 s[28:29], s[34:35]
	s_cbranch_execz .LBB6_12489
; %bb.12484:                            ;   in Loop: Header=BB6_11809 Depth=3
	v_cmp_ne_u64_e32 vcc, 0, v[6:7]
                                        ; implicit-def: $vgpr28
	s_and_saveexec_b64 s[34:35], vcc
	s_xor_b64 vcc, exec, s[34:35]
; %bb.12485:                            ;   in Loop: Header=BB6_11809 Depth=3
	v_or_b32_sdwa v28, v10, s83 dst_sel:DWORD dst_unused:UNUSED_PAD src0_sel:BYTE_3 src1_sel:DWORD
                                        ; implicit-def: $vgpr10
; %bb.12486:                            ;   in Loop: Header=BB6_11809 Depth=3
	s_andn2_saveexec_b64 s[34:35], vcc
; %bb.12487:                            ;   in Loop: Header=BB6_11809 Depth=3
	v_cmp_lt_i32_e32 vcc, -1, v10
	v_mov_b32_e32 v6, 0x7c
	v_cndmask_b32_e32 v28, -4, v6, vcc
; %bb.12488:                            ;   in Loop: Header=BB6_11809 Depth=3
	s_or_b64 exec, exec, s[34:35]
.LBB6_12489:                            ;   in Loop: Header=BB6_11809 Depth=3
	s_or_b64 exec, exec, s[28:29]
	v_cmp_ne_u16_e32 vcc, 0, v50
	v_mov_b32_e32 v6, 0
	v_mov_b32_e32 v7, 0
	s_and_saveexec_b64 s[28:29], vcc
	s_cbranch_execz .LBB6_12497
; %bb.12490:                            ;   in Loop: Header=BB6_11809 Depth=3
	v_cmp_ne_u16_e32 vcc, s80, v50
	v_bfrev_b32_e32 v7, 1
	s_and_saveexec_b64 s[34:35], vcc
	s_cbranch_execz .LBB6_12496
; %bb.12491:                            ;   in Loop: Header=BB6_11809 Depth=3
	v_and_b32_e32 v7, 0x7c, v50
	v_and_b32_e32 v10, 3, v50
	v_cmp_ne_u32_e32 vcc, s81, v7
                                        ; implicit-def: $vgpr7
	s_and_saveexec_b64 s[36:37], vcc
	s_xor_b64 s[36:37], exec, s[36:37]
	s_cbranch_execz .LBB6_12493
; %bb.12492:                            ;   in Loop: Header=BB6_11809 Depth=3
	v_ffbh_u32_e32 v11, v10
	v_min_u32_e32 v11, 32, v11
	v_and_b32_e32 v7, 0xff, v50
	v_mov_b32_e32 v51, v34
	v_subrev_u32_e32 v29, 29, v11
	v_bfe_u32 v7, v7, 2, 5
	v_lshlrev_b64 v[29:30], v29, v[50:51]
	v_sub_u32_e32 v11, 30, v11
	v_cmp_eq_u32_e32 vcc, 0, v7
	v_and_b32_e32 v29, 3, v29
	v_cndmask_b32_e32 v7, v7, v11, vcc
	v_and_b32_sdwa v11, sext(v50), s82 dst_sel:DWORD dst_unused:UNUSED_PAD src0_sel:WORD_0 src1_sel:DWORD
	v_cndmask_b32_e32 v10, v10, v29, vcc
	v_lshl_add_u32 v7, v7, 23, v11
	v_lshl_or_b32 v7, v10, 21, v7
	v_add_u32_e32 v7, 0x38000000, v7
                                        ; implicit-def: $vgpr10
                                        ; implicit-def: $vgpr50
.LBB6_12493:                            ;   in Loop: Header=BB6_11809 Depth=3
	s_andn2_saveexec_b64 s[36:37], s[36:37]
; %bb.12494:                            ;   in Loop: Header=BB6_11809 Depth=3
	v_cmp_lt_i16_e32 vcc, -1, v50
	v_mov_b32_e32 v7, 0xff800000
	v_mov_b32_e32 v11, 0x7f800000
	v_cndmask_b32_e32 v7, v7, v11, vcc
	v_cmp_eq_u32_e32 vcc, 0, v10
	v_mov_b32_e32 v10, 0x7f800001
	v_cndmask_b32_e32 v7, v10, v7, vcc
; %bb.12495:                            ;   in Loop: Header=BB6_11809 Depth=3
	s_or_b64 exec, exec, s[36:37]
.LBB6_12496:                            ;   in Loop: Header=BB6_11809 Depth=3
	s_or_b64 exec, exec, s[34:35]
.LBB6_12497:                            ;   in Loop: Header=BB6_11809 Depth=3
	s_or_b64 exec, exec, s[28:29]
	v_cmp_ne_u16_e32 vcc, 0, v49
	s_and_saveexec_b64 s[28:29], vcc
	s_cbranch_execz .LBB6_12505
; %bb.12498:                            ;   in Loop: Header=BB6_11809 Depth=3
	v_cmp_ne_u16_e32 vcc, s80, v49
	v_bfrev_b32_e32 v6, 1
	s_and_saveexec_b64 s[34:35], vcc
	s_cbranch_execz .LBB6_12504
; %bb.12499:                            ;   in Loop: Header=BB6_11809 Depth=3
	v_and_b32_e32 v6, 0x7c, v49
	v_and_b32_e32 v10, 3, v49
	v_cmp_ne_u32_e32 vcc, s81, v6
                                        ; implicit-def: $vgpr6
	s_and_saveexec_b64 s[36:37], vcc
	s_xor_b64 s[36:37], exec, s[36:37]
	s_cbranch_execz .LBB6_12501
; %bb.12500:                            ;   in Loop: Header=BB6_11809 Depth=3
	v_ffbh_u32_e32 v11, v10
	v_min_u32_e32 v11, 32, v11
	v_and_b32_e32 v6, 0xff, v49
	v_mov_b32_e32 v50, v34
	v_subrev_u32_e32 v29, 29, v11
	v_bfe_u32 v6, v6, 2, 5
	v_lshlrev_b64 v[29:30], v29, v[49:50]
	v_sub_u32_e32 v11, 30, v11
	v_cmp_eq_u32_e32 vcc, 0, v6
	v_and_b32_e32 v29, 3, v29
	v_cndmask_b32_e32 v6, v6, v11, vcc
	v_and_b32_sdwa v11, sext(v49), s82 dst_sel:DWORD dst_unused:UNUSED_PAD src0_sel:WORD_0 src1_sel:DWORD
	v_cndmask_b32_e32 v10, v10, v29, vcc
	v_lshl_add_u32 v6, v6, 23, v11
	v_lshl_or_b32 v6, v10, 21, v6
	v_add_u32_e32 v6, 0x38000000, v6
                                        ; implicit-def: $vgpr10
                                        ; implicit-def: $vgpr49
.LBB6_12501:                            ;   in Loop: Header=BB6_11809 Depth=3
	s_andn2_saveexec_b64 s[36:37], s[36:37]
; %bb.12502:                            ;   in Loop: Header=BB6_11809 Depth=3
	v_cmp_lt_i16_e32 vcc, -1, v49
	v_mov_b32_e32 v6, 0xff800000
	v_mov_b32_e32 v11, 0x7f800000
	v_cndmask_b32_e32 v6, v6, v11, vcc
	v_cmp_eq_u32_e32 vcc, 0, v10
	v_mov_b32_e32 v10, 0x7f800001
	v_cndmask_b32_e32 v6, v10, v6, vcc
; %bb.12503:                            ;   in Loop: Header=BB6_11809 Depth=3
	s_or_b64 exec, exec, s[36:37]
.LBB6_12504:                            ;   in Loop: Header=BB6_11809 Depth=3
	s_or_b64 exec, exec, s[34:35]
.LBB6_12505:                            ;   in Loop: Header=BB6_11809 Depth=3
	s_or_b64 exec, exec, s[28:29]
	v_mul_f32_e32 v10, v7, v6
	v_and_b32_e32 v29, 0x7f800000, v10
	v_mov_b32_e32 v30, v34
	v_cmp_ne_u64_e32 vcc, s[76:77], v[29:30]
	v_and_b32_e32 v6, 0x7fffff, v10
	v_mov_b32_e32 v7, v34
                                        ; implicit-def: $vgpr29
	s_and_saveexec_b64 s[28:29], vcc
	s_xor_b64 s[34:35], exec, s[28:29]
	s_cbranch_execz .LBB6_12523
; %bb.12506:                            ;   in Loop: Header=BB6_11809 Depth=3
	v_and_b32_e32 v29, 0x7fffffff, v10
	v_mov_b32_e32 v30, v34
	v_cmp_gt_u64_e32 vcc, s[78:79], v[29:30]
	v_and_b32_sdwa v33, v10, s44 dst_sel:DWORD dst_unused:UNUSED_PAD src0_sel:BYTE_3 src1_sel:DWORD
                                        ; implicit-def: $vgpr29
	s_and_saveexec_b64 s[28:29], vcc
	s_xor_b64 s[36:37], exec, s[28:29]
	s_cbranch_execz .LBB6_12520
; %bb.12507:                            ;   in Loop: Header=BB6_11809 Depth=3
	v_cmp_ne_u32_e32 vcc, 0, v10
	v_mov_b32_e32 v29, 0
	s_and_saveexec_b64 s[38:39], vcc
	s_cbranch_execz .LBB6_12519
; %bb.12508:                            ;   in Loop: Header=BB6_11809 Depth=3
	v_bfe_u32 v29, v10, 23, 8
	v_cmp_gt_u32_e64 s[28:29], s45, v29
	v_sub_u32_e32 v10, 0x71, v29
	v_cmp_eq_u32_e32 vcc, 0, v29
	v_cndmask_b32_e64 v10, 0, v10, s[28:29]
	v_mov_b32_e32 v30, 0x70
	v_cndmask_b32_e32 v39, v10, v30, vcc
	v_or_b32_e32 v11, 0x800000, v6
	v_add_u32_e32 v10, 21, v39
	v_cndmask_b32_e32 v6, v11, v6, vcc
	v_lshlrev_b64 v[10:11], v10, -1
	v_add_u32_e32 v30, 20, v39
	v_bfi_b32 v10, v10, 0, v6
	v_lshlrev_b64 v[30:31], v30, 1
	v_lshrrev_b64 v[6:7], v39, v[6:7]
	v_bfi_b32 v11, v11, 0, 0
	v_cmp_eq_u64_e64 s[28:29], v[10:11], v[30:31]
	v_mov_b32_e32 v11, v7
	v_mov_b32_e32 v10, v6
	s_and_saveexec_b64 s[48:49], s[28:29]
; %bb.12509:                            ;   in Loop: Header=BB6_11809 Depth=3
	v_bfe_u32 v7, v6, 21, 1
	v_add_co_u32_e64 v7, s[28:29], v6, v7
	v_add_co_u32_e64 v10, s[28:29], -1, v7
; %bb.12510:                            ;   in Loop: Header=BB6_11809 Depth=3
	s_or_b64 exec, exec, s[48:49]
	v_add_u32_e32 v7, 0xffffff81, v29
	v_mov_b32_e32 v11, 0xffffff82
	v_cndmask_b32_e32 v7, v7, v11, vcc
	v_lshrrev_b32_e32 v11, 23, v6
	v_add3_u32 v29, v39, v7, v11
	v_add_u32_e32 v11, 14, v29
	v_and_b32_e32 v7, 0x1fffff, v10
	v_add_u32_e32 v6, v7, v6
	v_mov_b32_e32 v7, v34
	v_cmp_ne_u32_e32 vcc, 0, v11
                                        ; implicit-def: $vgpr10
	s_and_saveexec_b64 s[28:29], vcc
	s_xor_b64 s[28:29], exec, s[28:29]
; %bb.12511:                            ;   in Loop: Header=BB6_11809 Depth=3
	v_cmp_lt_u64_e32 vcc, s[88:89], v[6:7]
	v_add_u32_e32 v10, 15, v29
	v_cndmask_b32_e32 v10, v11, v10, vcc
	v_cndmask_b32_e64 v11, 0, 1, vcc
	v_lshrrev_b64 v[6:7], v11, v[6:7]
; %bb.12512:                            ;   in Loop: Header=BB6_11809 Depth=3
	s_andn2_saveexec_b64 s[28:29], s[28:29]
; %bb.12513:                            ;   in Loop: Header=BB6_11809 Depth=3
	v_bfe_u32 v10, v6, 23, 1
; %bb.12514:                            ;   in Loop: Header=BB6_11809 Depth=3
	s_or_b64 exec, exec, s[28:29]
	v_lshrrev_b64 v[6:7], 21, v[6:7]
	v_cmp_gt_i32_e32 vcc, 32, v10
	v_cndmask_b32_e32 v7, 0, v7, vcc
	v_cndmask_b32_e32 v6, 3, v6, vcc
	v_cmp_ne_u64_e32 vcc, 0, v[6:7]
	v_cmp_ne_u32_e64 s[28:29], 0, v10
	s_or_b64 s[28:29], s[28:29], vcc
                                        ; implicit-def: $vgpr29
	s_and_saveexec_b64 vcc, s[28:29]
	s_xor_b64 s[28:29], exec, vcc
; %bb.12515:                            ;   in Loop: Header=BB6_11809 Depth=3
	v_min_i32_e32 v7, 31, v10
	v_lshl_or_b32 v7, v7, 2, v33
	v_and_or_b32 v29, v6, 3, v7
                                        ; implicit-def: $vgpr33
; %bb.12516:                            ;   in Loop: Header=BB6_11809 Depth=3
	s_andn2_saveexec_b64 s[28:29], s[28:29]
; %bb.12517:                            ;   in Loop: Header=BB6_11809 Depth=3
	v_mov_b32_e32 v29, v33
; %bb.12518:                            ;   in Loop: Header=BB6_11809 Depth=3
	s_or_b64 exec, exec, s[28:29]
.LBB6_12519:                            ;   in Loop: Header=BB6_11809 Depth=3
	s_or_b64 exec, exec, s[38:39]
                                        ; implicit-def: $vgpr33
.LBB6_12520:                            ;   in Loop: Header=BB6_11809 Depth=3
	s_andn2_saveexec_b64 s[28:29], s[36:37]
; %bb.12521:                            ;   in Loop: Header=BB6_11809 Depth=3
	v_or_b32_e32 v29, 0x7b, v33
; %bb.12522:                            ;   in Loop: Header=BB6_11809 Depth=3
	s_or_b64 exec, exec, s[28:29]
                                        ; implicit-def: $vgpr10
                                        ; implicit-def: $vgpr6_vgpr7
.LBB6_12523:                            ;   in Loop: Header=BB6_11809 Depth=3
	s_andn2_saveexec_b64 s[28:29], s[34:35]
	s_cbranch_execz .LBB6_12529
; %bb.12524:                            ;   in Loop: Header=BB6_11809 Depth=3
	v_cmp_ne_u64_e32 vcc, 0, v[6:7]
                                        ; implicit-def: $vgpr29
	s_and_saveexec_b64 s[34:35], vcc
	s_xor_b64 vcc, exec, s[34:35]
; %bb.12525:                            ;   in Loop: Header=BB6_11809 Depth=3
	v_or_b32_sdwa v29, v10, s83 dst_sel:DWORD dst_unused:UNUSED_PAD src0_sel:BYTE_3 src1_sel:DWORD
                                        ; implicit-def: $vgpr10
; %bb.12526:                            ;   in Loop: Header=BB6_11809 Depth=3
	s_andn2_saveexec_b64 s[34:35], vcc
; %bb.12527:                            ;   in Loop: Header=BB6_11809 Depth=3
	v_cmp_lt_i32_e32 vcc, -1, v10
	v_mov_b32_e32 v6, 0x7c
	v_cndmask_b32_e32 v29, -4, v6, vcc
; %bb.12528:                            ;   in Loop: Header=BB6_11809 Depth=3
	s_or_b64 exec, exec, s[34:35]
.LBB6_12529:                            ;   in Loop: Header=BB6_11809 Depth=3
	s_or_b64 exec, exec, s[28:29]
	v_cmp_ne_u16_e32 vcc, 0, v48
	v_mov_b32_e32 v6, 0
	v_mov_b32_e32 v7, 0
	s_and_saveexec_b64 s[28:29], vcc
	s_cbranch_execz .LBB6_12537
; %bb.12530:                            ;   in Loop: Header=BB6_11809 Depth=3
	v_cmp_ne_u16_e32 vcc, s80, v48
	v_bfrev_b32_e32 v7, 1
	s_and_saveexec_b64 s[34:35], vcc
	s_cbranch_execz .LBB6_12536
; %bb.12531:                            ;   in Loop: Header=BB6_11809 Depth=3
	v_and_b32_e32 v7, 0x7c, v48
	v_and_b32_e32 v10, 3, v48
	v_cmp_ne_u32_e32 vcc, s81, v7
                                        ; implicit-def: $vgpr7
	s_and_saveexec_b64 s[36:37], vcc
	s_xor_b64 s[36:37], exec, s[36:37]
	s_cbranch_execz .LBB6_12533
; %bb.12532:                            ;   in Loop: Header=BB6_11809 Depth=3
	v_ffbh_u32_e32 v11, v10
	v_min_u32_e32 v11, 32, v11
	v_and_b32_e32 v7, 0xff, v48
	v_mov_b32_e32 v49, v34
	v_subrev_u32_e32 v30, 29, v11
	v_bfe_u32 v7, v7, 2, 5
	v_lshlrev_b64 v[30:31], v30, v[48:49]
	v_sub_u32_e32 v11, 30, v11
	v_cmp_eq_u32_e32 vcc, 0, v7
	v_and_b32_e32 v30, 3, v30
	v_cndmask_b32_e32 v7, v7, v11, vcc
	v_and_b32_sdwa v11, sext(v48), s82 dst_sel:DWORD dst_unused:UNUSED_PAD src0_sel:WORD_0 src1_sel:DWORD
	v_cndmask_b32_e32 v10, v10, v30, vcc
	v_lshl_add_u32 v7, v7, 23, v11
	v_lshl_or_b32 v7, v10, 21, v7
	v_add_u32_e32 v7, 0x38000000, v7
                                        ; implicit-def: $vgpr10
                                        ; implicit-def: $vgpr48
.LBB6_12533:                            ;   in Loop: Header=BB6_11809 Depth=3
	s_andn2_saveexec_b64 s[36:37], s[36:37]
; %bb.12534:                            ;   in Loop: Header=BB6_11809 Depth=3
	v_cmp_lt_i16_e32 vcc, -1, v48
	v_mov_b32_e32 v7, 0xff800000
	v_mov_b32_e32 v11, 0x7f800000
	v_cndmask_b32_e32 v7, v7, v11, vcc
	v_cmp_eq_u32_e32 vcc, 0, v10
	v_mov_b32_e32 v10, 0x7f800001
	v_cndmask_b32_e32 v7, v10, v7, vcc
; %bb.12535:                            ;   in Loop: Header=BB6_11809 Depth=3
	s_or_b64 exec, exec, s[36:37]
.LBB6_12536:                            ;   in Loop: Header=BB6_11809 Depth=3
	s_or_b64 exec, exec, s[34:35]
.LBB6_12537:                            ;   in Loop: Header=BB6_11809 Depth=3
	s_or_b64 exec, exec, s[28:29]
	v_cmp_ne_u16_e32 vcc, 0, v38
	s_and_saveexec_b64 s[28:29], vcc
	s_cbranch_execz .LBB6_12545
; %bb.12538:                            ;   in Loop: Header=BB6_11809 Depth=3
	v_cmp_ne_u16_e32 vcc, s80, v38
	v_bfrev_b32_e32 v6, 1
	s_and_saveexec_b64 s[34:35], vcc
	s_cbranch_execz .LBB6_12544
; %bb.12539:                            ;   in Loop: Header=BB6_11809 Depth=3
	v_and_b32_e32 v6, 0x7c, v38
	v_and_b32_e32 v10, 3, v38
	v_cmp_ne_u32_e32 vcc, s81, v6
                                        ; implicit-def: $vgpr6
	s_and_saveexec_b64 s[36:37], vcc
	s_xor_b64 s[36:37], exec, s[36:37]
	s_cbranch_execz .LBB6_12541
; %bb.12540:                            ;   in Loop: Header=BB6_11809 Depth=3
	v_ffbh_u32_e32 v11, v10
	v_min_u32_e32 v11, 32, v11
	v_and_b32_e32 v6, 0xff, v38
	v_mov_b32_e32 v39, v34
	v_subrev_u32_e32 v30, 29, v11
	v_bfe_u32 v6, v6, 2, 5
	v_lshlrev_b64 v[30:31], v30, v[38:39]
	v_sub_u32_e32 v11, 30, v11
	v_cmp_eq_u32_e32 vcc, 0, v6
	v_and_b32_e32 v30, 3, v30
	v_cndmask_b32_e32 v6, v6, v11, vcc
	v_and_b32_sdwa v11, sext(v38), s82 dst_sel:DWORD dst_unused:UNUSED_PAD src0_sel:WORD_0 src1_sel:DWORD
	v_cndmask_b32_e32 v10, v10, v30, vcc
	v_lshl_add_u32 v6, v6, 23, v11
	v_lshl_or_b32 v6, v10, 21, v6
	v_add_u32_e32 v6, 0x38000000, v6
                                        ; implicit-def: $vgpr10
                                        ; implicit-def: $vgpr38
.LBB6_12541:                            ;   in Loop: Header=BB6_11809 Depth=3
	s_andn2_saveexec_b64 s[36:37], s[36:37]
; %bb.12542:                            ;   in Loop: Header=BB6_11809 Depth=3
	v_cmp_lt_i16_e32 vcc, -1, v38
	v_mov_b32_e32 v6, 0xff800000
	v_mov_b32_e32 v11, 0x7f800000
	v_cndmask_b32_e32 v6, v6, v11, vcc
	v_cmp_eq_u32_e32 vcc, 0, v10
	v_mov_b32_e32 v10, 0x7f800001
	v_cndmask_b32_e32 v6, v10, v6, vcc
; %bb.12543:                            ;   in Loop: Header=BB6_11809 Depth=3
	s_or_b64 exec, exec, s[36:37]
.LBB6_12544:                            ;   in Loop: Header=BB6_11809 Depth=3
	s_or_b64 exec, exec, s[34:35]
.LBB6_12545:                            ;   in Loop: Header=BB6_11809 Depth=3
	s_or_b64 exec, exec, s[28:29]
	v_mul_f32_e32 v10, v7, v6
	v_and_b32_e32 v30, 0x7f800000, v10
	v_mov_b32_e32 v31, v34
	v_cmp_ne_u64_e32 vcc, s[76:77], v[30:31]
	v_and_b32_e32 v6, 0x7fffff, v10
	v_mov_b32_e32 v7, v34
                                        ; implicit-def: $vgpr39
	s_and_saveexec_b64 s[28:29], vcc
	s_xor_b64 s[34:35], exec, s[28:29]
	s_cbranch_execz .LBB6_12563
; %bb.12546:                            ;   in Loop: Header=BB6_11809 Depth=3
	v_and_b32_e32 v30, 0x7fffffff, v10
	v_mov_b32_e32 v31, v34
	v_cmp_gt_u64_e32 vcc, s[78:79], v[30:31]
	v_and_b32_sdwa v33, v10, s44 dst_sel:DWORD dst_unused:UNUSED_PAD src0_sel:BYTE_3 src1_sel:DWORD
                                        ; implicit-def: $vgpr39
	s_and_saveexec_b64 s[28:29], vcc
	s_xor_b64 s[36:37], exec, s[28:29]
	s_cbranch_execz .LBB6_12560
; %bb.12547:                            ;   in Loop: Header=BB6_11809 Depth=3
	v_cmp_ne_u32_e32 vcc, 0, v10
	v_mov_b32_e32 v39, 0
	s_and_saveexec_b64 s[38:39], vcc
	s_cbranch_execz .LBB6_12559
; %bb.12548:                            ;   in Loop: Header=BB6_11809 Depth=3
	v_bfe_u32 v38, v10, 23, 8
	v_cmp_gt_u32_e64 s[28:29], s45, v38
	v_sub_u32_e32 v10, 0x71, v38
	v_cmp_eq_u32_e32 vcc, 0, v38
	v_cndmask_b32_e64 v10, 0, v10, s[28:29]
	v_mov_b32_e32 v30, 0x70
	v_cndmask_b32_e32 v39, v10, v30, vcc
	v_or_b32_e32 v11, 0x800000, v6
	v_add_u32_e32 v10, 21, v39
	v_cndmask_b32_e32 v6, v11, v6, vcc
	v_lshlrev_b64 v[10:11], v10, -1
	v_add_u32_e32 v30, 20, v39
	v_bfi_b32 v10, v10, 0, v6
	v_lshlrev_b64 v[30:31], v30, 1
	v_lshrrev_b64 v[6:7], v39, v[6:7]
	v_bfi_b32 v11, v11, 0, 0
	v_cmp_eq_u64_e64 s[28:29], v[10:11], v[30:31]
	v_mov_b32_e32 v11, v7
	v_mov_b32_e32 v10, v6
	s_and_saveexec_b64 s[48:49], s[28:29]
; %bb.12549:                            ;   in Loop: Header=BB6_11809 Depth=3
	v_bfe_u32 v7, v6, 21, 1
	v_add_co_u32_e64 v7, s[28:29], v6, v7
	v_add_co_u32_e64 v10, s[28:29], -1, v7
; %bb.12550:                            ;   in Loop: Header=BB6_11809 Depth=3
	s_or_b64 exec, exec, s[48:49]
	v_add_u32_e32 v7, 0xffffff81, v38
	v_mov_b32_e32 v11, 0xffffff82
	v_cndmask_b32_e32 v7, v7, v11, vcc
	v_lshrrev_b32_e32 v11, 23, v6
	v_add3_u32 v38, v39, v7, v11
	v_add_u32_e32 v11, 14, v38
	v_and_b32_e32 v7, 0x1fffff, v10
	v_add_u32_e32 v6, v7, v6
	v_mov_b32_e32 v7, v34
	v_cmp_ne_u32_e32 vcc, 0, v11
                                        ; implicit-def: $vgpr10
	s_and_saveexec_b64 s[28:29], vcc
	s_xor_b64 s[28:29], exec, s[28:29]
; %bb.12551:                            ;   in Loop: Header=BB6_11809 Depth=3
	v_cmp_lt_u64_e32 vcc, s[88:89], v[6:7]
	v_add_u32_e32 v10, 15, v38
	v_cndmask_b32_e32 v10, v11, v10, vcc
	v_cndmask_b32_e64 v11, 0, 1, vcc
	v_lshrrev_b64 v[6:7], v11, v[6:7]
; %bb.12552:                            ;   in Loop: Header=BB6_11809 Depth=3
	s_andn2_saveexec_b64 s[28:29], s[28:29]
; %bb.12553:                            ;   in Loop: Header=BB6_11809 Depth=3
	v_bfe_u32 v10, v6, 23, 1
; %bb.12554:                            ;   in Loop: Header=BB6_11809 Depth=3
	s_or_b64 exec, exec, s[28:29]
	v_lshrrev_b64 v[6:7], 21, v[6:7]
	v_cmp_gt_i32_e32 vcc, 32, v10
	v_cndmask_b32_e32 v7, 0, v7, vcc
	v_cndmask_b32_e32 v6, 3, v6, vcc
	v_cmp_ne_u64_e32 vcc, 0, v[6:7]
	v_cmp_ne_u32_e64 s[28:29], 0, v10
	s_or_b64 s[28:29], s[28:29], vcc
                                        ; implicit-def: $vgpr39
	s_and_saveexec_b64 vcc, s[28:29]
	s_xor_b64 s[28:29], exec, vcc
; %bb.12555:                            ;   in Loop: Header=BB6_11809 Depth=3
	v_min_i32_e32 v7, 31, v10
	v_lshl_or_b32 v7, v7, 2, v33
	v_and_or_b32 v39, v6, 3, v7
                                        ; implicit-def: $vgpr33
; %bb.12556:                            ;   in Loop: Header=BB6_11809 Depth=3
	s_andn2_saveexec_b64 s[28:29], s[28:29]
; %bb.12557:                            ;   in Loop: Header=BB6_11809 Depth=3
	v_mov_b32_e32 v39, v33
; %bb.12558:                            ;   in Loop: Header=BB6_11809 Depth=3
	s_or_b64 exec, exec, s[28:29]
.LBB6_12559:                            ;   in Loop: Header=BB6_11809 Depth=3
	s_or_b64 exec, exec, s[38:39]
                                        ; implicit-def: $vgpr33
.LBB6_12560:                            ;   in Loop: Header=BB6_11809 Depth=3
	s_andn2_saveexec_b64 s[28:29], s[36:37]
; %bb.12561:                            ;   in Loop: Header=BB6_11809 Depth=3
	v_or_b32_e32 v39, 0x7b, v33
; %bb.12562:                            ;   in Loop: Header=BB6_11809 Depth=3
	s_or_b64 exec, exec, s[28:29]
                                        ; implicit-def: $vgpr10
                                        ; implicit-def: $vgpr6_vgpr7
.LBB6_12563:                            ;   in Loop: Header=BB6_11809 Depth=3
	s_andn2_saveexec_b64 s[28:29], s[34:35]
	s_cbranch_execz .LBB6_12569
; %bb.12564:                            ;   in Loop: Header=BB6_11809 Depth=3
	v_cmp_ne_u64_e32 vcc, 0, v[6:7]
                                        ; implicit-def: $vgpr39
	s_and_saveexec_b64 s[34:35], vcc
	s_xor_b64 vcc, exec, s[34:35]
; %bb.12565:                            ;   in Loop: Header=BB6_11809 Depth=3
	v_or_b32_sdwa v39, v10, s83 dst_sel:DWORD dst_unused:UNUSED_PAD src0_sel:BYTE_3 src1_sel:DWORD
                                        ; implicit-def: $vgpr10
; %bb.12566:                            ;   in Loop: Header=BB6_11809 Depth=3
	s_andn2_saveexec_b64 s[34:35], vcc
; %bb.12567:                            ;   in Loop: Header=BB6_11809 Depth=3
	v_cmp_lt_i32_e32 vcc, -1, v10
	v_mov_b32_e32 v6, 0x7c
	v_cndmask_b32_e32 v39, -4, v6, vcc
; %bb.12568:                            ;   in Loop: Header=BB6_11809 Depth=3
	s_or_b64 exec, exec, s[34:35]
.LBB6_12569:                            ;   in Loop: Header=BB6_11809 Depth=3
	s_or_b64 exec, exec, s[28:29]
	v_cmp_ne_u16_e32 vcc, 0, v37
	v_mov_b32_e32 v6, 0
	v_mov_b32_e32 v7, 0
	s_and_saveexec_b64 s[28:29], vcc
	s_cbranch_execz .LBB6_12577
; %bb.12570:                            ;   in Loop: Header=BB6_11809 Depth=3
	v_cmp_ne_u16_e32 vcc, s80, v37
	v_bfrev_b32_e32 v7, 1
	s_and_saveexec_b64 s[34:35], vcc
	s_cbranch_execz .LBB6_12576
; %bb.12571:                            ;   in Loop: Header=BB6_11809 Depth=3
	v_and_b32_e32 v7, 0x7c, v37
	v_and_b32_e32 v10, 3, v37
	v_cmp_ne_u32_e32 vcc, s81, v7
                                        ; implicit-def: $vgpr7
	s_and_saveexec_b64 s[36:37], vcc
	s_xor_b64 s[36:37], exec, s[36:37]
	s_cbranch_execz .LBB6_12573
; %bb.12572:                            ;   in Loop: Header=BB6_11809 Depth=3
	v_ffbh_u32_e32 v11, v10
	v_min_u32_e32 v11, 32, v11
	v_and_b32_e32 v7, 0xff, v37
	v_mov_b32_e32 v38, v34
	v_subrev_u32_e32 v30, 29, v11
	v_bfe_u32 v7, v7, 2, 5
	v_lshlrev_b64 v[30:31], v30, v[37:38]
	v_sub_u32_e32 v11, 30, v11
	v_cmp_eq_u32_e32 vcc, 0, v7
	v_and_b32_e32 v30, 3, v30
	v_cndmask_b32_e32 v7, v7, v11, vcc
	v_and_b32_sdwa v11, sext(v37), s82 dst_sel:DWORD dst_unused:UNUSED_PAD src0_sel:WORD_0 src1_sel:DWORD
	v_cndmask_b32_e32 v10, v10, v30, vcc
	v_lshl_add_u32 v7, v7, 23, v11
	v_lshl_or_b32 v7, v10, 21, v7
	v_add_u32_e32 v7, 0x38000000, v7
                                        ; implicit-def: $vgpr10
                                        ; implicit-def: $vgpr37
.LBB6_12573:                            ;   in Loop: Header=BB6_11809 Depth=3
	s_andn2_saveexec_b64 s[36:37], s[36:37]
; %bb.12574:                            ;   in Loop: Header=BB6_11809 Depth=3
	v_cmp_lt_i16_e32 vcc, -1, v37
	v_mov_b32_e32 v7, 0xff800000
	v_mov_b32_e32 v11, 0x7f800000
	v_cndmask_b32_e32 v7, v7, v11, vcc
	v_cmp_eq_u32_e32 vcc, 0, v10
	v_mov_b32_e32 v10, 0x7f800001
	v_cndmask_b32_e32 v7, v10, v7, vcc
; %bb.12575:                            ;   in Loop: Header=BB6_11809 Depth=3
	s_or_b64 exec, exec, s[36:37]
.LBB6_12576:                            ;   in Loop: Header=BB6_11809 Depth=3
	s_or_b64 exec, exec, s[34:35]
.LBB6_12577:                            ;   in Loop: Header=BB6_11809 Depth=3
	s_or_b64 exec, exec, s[28:29]
	v_cmp_ne_u16_e32 vcc, 0, v35
	s_and_saveexec_b64 s[28:29], vcc
	s_cbranch_execz .LBB6_12585
; %bb.12578:                            ;   in Loop: Header=BB6_11809 Depth=3
	v_cmp_ne_u16_e32 vcc, s80, v35
	v_bfrev_b32_e32 v6, 1
	s_and_saveexec_b64 s[34:35], vcc
	s_cbranch_execz .LBB6_12584
; %bb.12579:                            ;   in Loop: Header=BB6_11809 Depth=3
	v_and_b32_e32 v6, 0x7c, v35
	v_and_b32_e32 v10, 3, v35
	v_cmp_ne_u32_e32 vcc, s81, v6
                                        ; implicit-def: $vgpr6
	s_and_saveexec_b64 s[36:37], vcc
	s_xor_b64 s[36:37], exec, s[36:37]
	s_cbranch_execz .LBB6_12581
; %bb.12580:                            ;   in Loop: Header=BB6_11809 Depth=3
	v_ffbh_u32_e32 v11, v10
	v_min_u32_e32 v11, 32, v11
	v_and_b32_e32 v6, 0xff, v35
	v_mov_b32_e32 v36, v34
	v_subrev_u32_e32 v30, 29, v11
	v_bfe_u32 v6, v6, 2, 5
	v_lshlrev_b64 v[30:31], v30, v[35:36]
	v_sub_u32_e32 v11, 30, v11
	v_cmp_eq_u32_e32 vcc, 0, v6
	v_and_b32_e32 v30, 3, v30
	v_cndmask_b32_e32 v6, v6, v11, vcc
	v_and_b32_sdwa v11, sext(v35), s82 dst_sel:DWORD dst_unused:UNUSED_PAD src0_sel:WORD_0 src1_sel:DWORD
	v_cndmask_b32_e32 v10, v10, v30, vcc
	v_lshl_add_u32 v6, v6, 23, v11
	v_lshl_or_b32 v6, v10, 21, v6
	v_add_u32_e32 v6, 0x38000000, v6
                                        ; implicit-def: $vgpr10
                                        ; implicit-def: $vgpr35
.LBB6_12581:                            ;   in Loop: Header=BB6_11809 Depth=3
	s_andn2_saveexec_b64 s[36:37], s[36:37]
; %bb.12582:                            ;   in Loop: Header=BB6_11809 Depth=3
	v_cmp_lt_i16_e32 vcc, -1, v35
	v_mov_b32_e32 v6, 0xff800000
	v_mov_b32_e32 v11, 0x7f800000
	v_cndmask_b32_e32 v6, v6, v11, vcc
	v_cmp_eq_u32_e32 vcc, 0, v10
	v_mov_b32_e32 v10, 0x7f800001
	v_cndmask_b32_e32 v6, v10, v6, vcc
; %bb.12583:                            ;   in Loop: Header=BB6_11809 Depth=3
	s_or_b64 exec, exec, s[36:37]
.LBB6_12584:                            ;   in Loop: Header=BB6_11809 Depth=3
	s_or_b64 exec, exec, s[34:35]
.LBB6_12585:                            ;   in Loop: Header=BB6_11809 Depth=3
	s_or_b64 exec, exec, s[28:29]
	v_mul_f32_e32 v10, v7, v6
	v_and_b32_e32 v30, 0x7f800000, v10
	v_mov_b32_e32 v31, v34
	v_cmp_ne_u64_e32 vcc, s[76:77], v[30:31]
	v_and_b32_e32 v6, 0x7fffff, v10
	v_mov_b32_e32 v7, v34
                                        ; implicit-def: $vgpr37
	s_and_saveexec_b64 s[28:29], vcc
	s_xor_b64 s[34:35], exec, s[28:29]
	s_cbranch_execz .LBB6_12603
; %bb.12586:                            ;   in Loop: Header=BB6_11809 Depth=3
	v_and_b32_e32 v30, 0x7fffffff, v10
	v_mov_b32_e32 v31, v34
	v_cmp_gt_u64_e32 vcc, s[78:79], v[30:31]
	v_and_b32_sdwa v33, v10, s44 dst_sel:DWORD dst_unused:UNUSED_PAD src0_sel:BYTE_3 src1_sel:DWORD
                                        ; implicit-def: $vgpr37
	s_and_saveexec_b64 s[28:29], vcc
	s_xor_b64 s[36:37], exec, s[28:29]
	s_cbranch_execz .LBB6_12600
; %bb.12587:                            ;   in Loop: Header=BB6_11809 Depth=3
	v_cmp_ne_u32_e32 vcc, 0, v10
	v_mov_b32_e32 v37, 0
	s_and_saveexec_b64 s[38:39], vcc
	s_cbranch_execz .LBB6_12599
; %bb.12588:                            ;   in Loop: Header=BB6_11809 Depth=3
	v_bfe_u32 v36, v10, 23, 8
	v_cmp_gt_u32_e64 s[28:29], s45, v36
	v_sub_u32_e32 v10, 0x71, v36
	v_cmp_eq_u32_e32 vcc, 0, v36
	v_cndmask_b32_e64 v10, 0, v10, s[28:29]
	v_mov_b32_e32 v30, 0x70
	v_cndmask_b32_e32 v37, v10, v30, vcc
	v_or_b32_e32 v11, 0x800000, v6
	v_add_u32_e32 v10, 21, v37
	v_cndmask_b32_e32 v6, v11, v6, vcc
	v_lshlrev_b64 v[10:11], v10, -1
	v_add_u32_e32 v30, 20, v37
	v_bfi_b32 v10, v10, 0, v6
	v_lshlrev_b64 v[30:31], v30, 1
	v_lshrrev_b64 v[6:7], v37, v[6:7]
	v_bfi_b32 v11, v11, 0, 0
	v_cmp_eq_u64_e64 s[28:29], v[10:11], v[30:31]
	v_mov_b32_e32 v11, v7
	v_mov_b32_e32 v10, v6
	s_and_saveexec_b64 s[48:49], s[28:29]
; %bb.12589:                            ;   in Loop: Header=BB6_11809 Depth=3
	v_bfe_u32 v7, v6, 21, 1
	v_add_co_u32_e64 v7, s[28:29], v6, v7
	v_add_co_u32_e64 v10, s[28:29], -1, v7
; %bb.12590:                            ;   in Loop: Header=BB6_11809 Depth=3
	s_or_b64 exec, exec, s[48:49]
	v_add_u32_e32 v7, 0xffffff81, v36
	v_mov_b32_e32 v11, 0xffffff82
	v_cndmask_b32_e32 v7, v7, v11, vcc
	v_lshrrev_b32_e32 v11, 23, v6
	v_add3_u32 v36, v37, v7, v11
	v_add_u32_e32 v11, 14, v36
	v_and_b32_e32 v7, 0x1fffff, v10
	v_add_u32_e32 v6, v7, v6
	v_mov_b32_e32 v7, v34
	v_cmp_ne_u32_e32 vcc, 0, v11
                                        ; implicit-def: $vgpr10
	s_and_saveexec_b64 s[28:29], vcc
	s_xor_b64 s[28:29], exec, s[28:29]
; %bb.12591:                            ;   in Loop: Header=BB6_11809 Depth=3
	v_cmp_lt_u64_e32 vcc, s[88:89], v[6:7]
	v_add_u32_e32 v10, 15, v36
	v_cndmask_b32_e32 v10, v11, v10, vcc
	v_cndmask_b32_e64 v11, 0, 1, vcc
	v_lshrrev_b64 v[6:7], v11, v[6:7]
; %bb.12592:                            ;   in Loop: Header=BB6_11809 Depth=3
	s_andn2_saveexec_b64 s[28:29], s[28:29]
; %bb.12593:                            ;   in Loop: Header=BB6_11809 Depth=3
	v_bfe_u32 v10, v6, 23, 1
; %bb.12594:                            ;   in Loop: Header=BB6_11809 Depth=3
	s_or_b64 exec, exec, s[28:29]
	v_lshrrev_b64 v[6:7], 21, v[6:7]
	v_cmp_gt_i32_e32 vcc, 32, v10
	v_cndmask_b32_e32 v7, 0, v7, vcc
	v_cndmask_b32_e32 v6, 3, v6, vcc
	v_cmp_ne_u64_e32 vcc, 0, v[6:7]
	v_cmp_ne_u32_e64 s[28:29], 0, v10
	s_or_b64 s[28:29], s[28:29], vcc
                                        ; implicit-def: $vgpr37
	s_and_saveexec_b64 vcc, s[28:29]
	s_xor_b64 s[28:29], exec, vcc
; %bb.12595:                            ;   in Loop: Header=BB6_11809 Depth=3
	v_min_i32_e32 v7, 31, v10
	v_lshl_or_b32 v7, v7, 2, v33
	v_and_or_b32 v37, v6, 3, v7
                                        ; implicit-def: $vgpr33
; %bb.12596:                            ;   in Loop: Header=BB6_11809 Depth=3
	s_andn2_saveexec_b64 s[28:29], s[28:29]
; %bb.12597:                            ;   in Loop: Header=BB6_11809 Depth=3
	v_mov_b32_e32 v37, v33
; %bb.12598:                            ;   in Loop: Header=BB6_11809 Depth=3
	s_or_b64 exec, exec, s[28:29]
.LBB6_12599:                            ;   in Loop: Header=BB6_11809 Depth=3
	s_or_b64 exec, exec, s[38:39]
                                        ; implicit-def: $vgpr33
.LBB6_12600:                            ;   in Loop: Header=BB6_11809 Depth=3
	s_andn2_saveexec_b64 s[28:29], s[36:37]
; %bb.12601:                            ;   in Loop: Header=BB6_11809 Depth=3
	v_or_b32_e32 v37, 0x7b, v33
; %bb.12602:                            ;   in Loop: Header=BB6_11809 Depth=3
	s_or_b64 exec, exec, s[28:29]
                                        ; implicit-def: $vgpr10
                                        ; implicit-def: $vgpr6_vgpr7
.LBB6_12603:                            ;   in Loop: Header=BB6_11809 Depth=3
	s_andn2_saveexec_b64 s[28:29], s[34:35]
	s_cbranch_execz .LBB6_12609
; %bb.12604:                            ;   in Loop: Header=BB6_11809 Depth=3
	v_cmp_ne_u64_e32 vcc, 0, v[6:7]
                                        ; implicit-def: $vgpr37
	s_and_saveexec_b64 s[34:35], vcc
	s_xor_b64 vcc, exec, s[34:35]
; %bb.12605:                            ;   in Loop: Header=BB6_11809 Depth=3
	v_or_b32_sdwa v37, v10, s83 dst_sel:DWORD dst_unused:UNUSED_PAD src0_sel:BYTE_3 src1_sel:DWORD
                                        ; implicit-def: $vgpr10
; %bb.12606:                            ;   in Loop: Header=BB6_11809 Depth=3
	s_andn2_saveexec_b64 s[34:35], vcc
; %bb.12607:                            ;   in Loop: Header=BB6_11809 Depth=3
	v_cmp_lt_i32_e32 vcc, -1, v10
	v_mov_b32_e32 v6, 0x7c
	v_cndmask_b32_e32 v37, -4, v6, vcc
; %bb.12608:                            ;   in Loop: Header=BB6_11809 Depth=3
	s_or_b64 exec, exec, s[34:35]
.LBB6_12609:                            ;   in Loop: Header=BB6_11809 Depth=3
	s_or_b64 exec, exec, s[28:29]
	buffer_load_dword v6, off, s[0:3], s33 offset:376 ; 4-byte Folded Reload
	buffer_load_dword v7, off, s[0:3], s33 offset:380 ; 4-byte Folded Reload
	s_waitcnt vmcnt(0)
	v_mov_b32_e32 v7, 0
	v_mov_b32_e32 v11, v6
	v_cmp_ne_u16_e32 vcc, 0, v11
	v_mov_b32_e32 v6, 0
	s_and_saveexec_b64 s[28:29], vcc
	s_cbranch_execz .LBB6_12617
; %bb.12610:                            ;   in Loop: Header=BB6_11809 Depth=3
	v_cmp_ne_u16_e32 vcc, s80, v11
	v_bfrev_b32_e32 v7, 1
	s_and_saveexec_b64 s[34:35], vcc
	s_cbranch_execz .LBB6_12616
; %bb.12611:                            ;   in Loop: Header=BB6_11809 Depth=3
	v_and_b32_e32 v7, 0x7c, v11
	v_and_b32_e32 v10, 3, v11
	v_cmp_ne_u32_e32 vcc, s81, v7
                                        ; implicit-def: $vgpr7
	s_and_saveexec_b64 s[36:37], vcc
	s_xor_b64 s[36:37], exec, s[36:37]
	s_cbranch_execz .LBB6_12613
; %bb.12612:                            ;   in Loop: Header=BB6_11809 Depth=3
	buffer_load_dword v35, off, s[0:3], s33 offset:376 ; 4-byte Folded Reload
	buffer_load_dword v36, off, s[0:3], s33 offset:380 ; 4-byte Folded Reload
	v_ffbh_u32_e32 v11, v10
	v_min_u32_e32 v11, 32, v11
	s_waitcnt vmcnt(0)
	v_mov_b32_e32 v36, v34
	v_subrev_u32_e32 v30, 29, v11
	v_sub_u32_e32 v11, 30, v11
	v_and_b32_e32 v7, 0xff, v35
	v_bfe_u32 v7, v7, 2, 5
	v_lshlrev_b64 v[30:31], v30, v[35:36]
	v_cmp_eq_u32_e32 vcc, 0, v7
	v_and_b32_e32 v30, 3, v30
	v_cndmask_b32_e32 v7, v7, v11, vcc
	v_and_b32_sdwa v11, sext(v35), s82 dst_sel:DWORD dst_unused:UNUSED_PAD src0_sel:WORD_0 src1_sel:DWORD
	v_cndmask_b32_e32 v10, v10, v30, vcc
	v_lshl_add_u32 v7, v7, 23, v11
	v_lshl_or_b32 v7, v10, 21, v7
	v_add_u32_e32 v7, 0x38000000, v7
                                        ; implicit-def: $vgpr11
                                        ; implicit-def: $vgpr10
	buffer_store_dword v11, off, s[0:3], s33 offset:376 ; 4-byte Folded Spill
	s_nop 0
	buffer_store_dword v12, off, s[0:3], s33 offset:380 ; 4-byte Folded Spill
.LBB6_12613:                            ;   in Loop: Header=BB6_11809 Depth=3
	s_andn2_saveexec_b64 s[36:37], s[36:37]
	s_cbranch_execz .LBB6_12615
; %bb.12614:                            ;   in Loop: Header=BB6_11809 Depth=3
	buffer_load_dword v30, off, s[0:3], s33 offset:376 ; 4-byte Folded Reload
	buffer_load_dword v31, off, s[0:3], s33 offset:380 ; 4-byte Folded Reload
	v_mov_b32_e32 v7, 0xff800000
	v_mov_b32_e32 v11, 0x7f800000
	s_waitcnt vmcnt(1)
	v_cmp_lt_i16_e32 vcc, -1, v30
	v_cndmask_b32_e32 v7, v7, v11, vcc
	v_cmp_eq_u32_e32 vcc, 0, v10
	v_mov_b32_e32 v10, 0x7f800001
	v_cndmask_b32_e32 v7, v10, v7, vcc
.LBB6_12615:                            ;   in Loop: Header=BB6_11809 Depth=3
	s_or_b64 exec, exec, s[36:37]
.LBB6_12616:                            ;   in Loop: Header=BB6_11809 Depth=3
	s_or_b64 exec, exec, s[34:35]
.LBB6_12617:                            ;   in Loop: Header=BB6_11809 Depth=3
	s_or_b64 exec, exec, s[28:29]
	v_cmp_ne_u16_e32 vcc, 0, v32
	s_and_saveexec_b64 s[28:29], vcc
	s_cbranch_execz .LBB6_12625
; %bb.12618:                            ;   in Loop: Header=BB6_11809 Depth=3
	v_cmp_ne_u16_e32 vcc, s80, v32
	v_bfrev_b32_e32 v6, 1
	s_and_saveexec_b64 s[34:35], vcc
	s_cbranch_execz .LBB6_12624
; %bb.12619:                            ;   in Loop: Header=BB6_11809 Depth=3
	v_and_b32_e32 v6, 0x7c, v32
	v_and_b32_e32 v10, 3, v32
	v_cmp_ne_u32_e32 vcc, s81, v6
                                        ; implicit-def: $vgpr6
	s_and_saveexec_b64 s[36:37], vcc
	s_xor_b64 s[36:37], exec, s[36:37]
	s_cbranch_execz .LBB6_12621
; %bb.12620:                            ;   in Loop: Header=BB6_11809 Depth=3
	v_ffbh_u32_e32 v11, v10
	v_min_u32_e32 v11, 32, v11
	v_and_b32_e32 v6, 0xff, v32
	v_mov_b32_e32 v33, v34
	v_subrev_u32_e32 v30, 29, v11
	v_bfe_u32 v6, v6, 2, 5
	s_waitcnt vmcnt(0)
	v_lshlrev_b64 v[30:31], v30, v[32:33]
	v_sub_u32_e32 v11, 30, v11
	v_cmp_eq_u32_e32 vcc, 0, v6
	v_and_b32_e32 v30, 3, v30
	v_cndmask_b32_e32 v6, v6, v11, vcc
	v_and_b32_sdwa v11, sext(v32), s82 dst_sel:DWORD dst_unused:UNUSED_PAD src0_sel:WORD_0 src1_sel:DWORD
	v_cndmask_b32_e32 v10, v10, v30, vcc
	v_lshl_add_u32 v6, v6, 23, v11
	v_lshl_or_b32 v6, v10, 21, v6
	v_add_u32_e32 v6, 0x38000000, v6
                                        ; implicit-def: $vgpr10
                                        ; implicit-def: $vgpr32
.LBB6_12621:                            ;   in Loop: Header=BB6_11809 Depth=3
	s_andn2_saveexec_b64 s[36:37], s[36:37]
; %bb.12622:                            ;   in Loop: Header=BB6_11809 Depth=3
	v_cmp_lt_i16_e32 vcc, -1, v32
	v_mov_b32_e32 v6, 0xff800000
	v_mov_b32_e32 v11, 0x7f800000
	v_cndmask_b32_e32 v6, v6, v11, vcc
	v_cmp_eq_u32_e32 vcc, 0, v10
	v_mov_b32_e32 v10, 0x7f800001
	v_cndmask_b32_e32 v6, v10, v6, vcc
; %bb.12623:                            ;   in Loop: Header=BB6_11809 Depth=3
	s_or_b64 exec, exec, s[36:37]
.LBB6_12624:                            ;   in Loop: Header=BB6_11809 Depth=3
	s_or_b64 exec, exec, s[34:35]
.LBB6_12625:                            ;   in Loop: Header=BB6_11809 Depth=3
	s_or_b64 exec, exec, s[28:29]
	v_mul_f32_e32 v10, v7, v6
	v_and_b32_e32 v30, 0x7f800000, v10
	s_waitcnt vmcnt(0)
	v_mov_b32_e32 v31, v34
	v_cmp_ne_u64_e32 vcc, s[76:77], v[30:31]
	v_and_b32_e32 v6, 0x7fffff, v10
	v_mov_b32_e32 v7, v34
                                        ; implicit-def: $vgpr33
	s_and_saveexec_b64 s[28:29], vcc
	s_xor_b64 s[34:35], exec, s[28:29]
	s_cbranch_execz .LBB6_12643
; %bb.12626:                            ;   in Loop: Header=BB6_11809 Depth=3
	v_and_b32_e32 v30, 0x7fffffff, v10
	v_mov_b32_e32 v31, v34
	v_cmp_gt_u64_e32 vcc, s[78:79], v[30:31]
	v_and_b32_sdwa v32, v10, s44 dst_sel:DWORD dst_unused:UNUSED_PAD src0_sel:BYTE_3 src1_sel:DWORD
                                        ; implicit-def: $vgpr33
	s_and_saveexec_b64 s[28:29], vcc
	s_xor_b64 s[36:37], exec, s[28:29]
	s_cbranch_execz .LBB6_12640
; %bb.12627:                            ;   in Loop: Header=BB6_11809 Depth=3
	v_cmp_ne_u32_e32 vcc, 0, v10
	v_mov_b32_e32 v33, 0
	s_and_saveexec_b64 s[38:39], vcc
	s_cbranch_execz .LBB6_12639
; %bb.12628:                            ;   in Loop: Header=BB6_11809 Depth=3
	v_bfe_u32 v33, v10, 23, 8
	v_cmp_gt_u32_e64 s[28:29], s45, v33
	v_sub_u32_e32 v10, 0x71, v33
	v_cmp_eq_u32_e32 vcc, 0, v33
	v_cndmask_b32_e64 v10, 0, v10, s[28:29]
	v_mov_b32_e32 v30, 0x70
	v_cndmask_b32_e32 v35, v10, v30, vcc
	v_or_b32_e32 v11, 0x800000, v6
	v_add_u32_e32 v10, 21, v35
	v_cndmask_b32_e32 v6, v11, v6, vcc
	v_lshlrev_b64 v[10:11], v10, -1
	v_add_u32_e32 v30, 20, v35
	v_bfi_b32 v10, v10, 0, v6
	v_lshlrev_b64 v[30:31], v30, 1
	v_lshrrev_b64 v[6:7], v35, v[6:7]
	v_bfi_b32 v11, v11, 0, 0
	v_cmp_eq_u64_e64 s[28:29], v[10:11], v[30:31]
	v_mov_b32_e32 v11, v7
	v_mov_b32_e32 v10, v6
	s_and_saveexec_b64 s[48:49], s[28:29]
; %bb.12629:                            ;   in Loop: Header=BB6_11809 Depth=3
	v_bfe_u32 v7, v6, 21, 1
	v_add_co_u32_e64 v7, s[28:29], v6, v7
	v_add_co_u32_e64 v10, s[28:29], -1, v7
; %bb.12630:                            ;   in Loop: Header=BB6_11809 Depth=3
	s_or_b64 exec, exec, s[48:49]
	v_add_u32_e32 v7, 0xffffff81, v33
	v_mov_b32_e32 v11, 0xffffff82
	v_cndmask_b32_e32 v7, v7, v11, vcc
	v_lshrrev_b32_e32 v11, 23, v6
	v_add3_u32 v33, v35, v7, v11
	v_add_u32_e32 v11, 14, v33
	v_and_b32_e32 v7, 0x1fffff, v10
	v_add_u32_e32 v6, v7, v6
	v_mov_b32_e32 v7, v34
	v_cmp_ne_u32_e32 vcc, 0, v11
                                        ; implicit-def: $vgpr10
	s_and_saveexec_b64 s[28:29], vcc
	s_xor_b64 s[28:29], exec, s[28:29]
; %bb.12631:                            ;   in Loop: Header=BB6_11809 Depth=3
	v_cmp_lt_u64_e32 vcc, s[88:89], v[6:7]
	v_add_u32_e32 v10, 15, v33
	v_cndmask_b32_e32 v10, v11, v10, vcc
	v_cndmask_b32_e64 v11, 0, 1, vcc
	v_lshrrev_b64 v[6:7], v11, v[6:7]
; %bb.12632:                            ;   in Loop: Header=BB6_11809 Depth=3
	s_andn2_saveexec_b64 s[28:29], s[28:29]
; %bb.12633:                            ;   in Loop: Header=BB6_11809 Depth=3
	v_bfe_u32 v10, v6, 23, 1
; %bb.12634:                            ;   in Loop: Header=BB6_11809 Depth=3
	s_or_b64 exec, exec, s[28:29]
	v_lshrrev_b64 v[6:7], 21, v[6:7]
	v_cmp_gt_i32_e32 vcc, 32, v10
	v_cndmask_b32_e32 v7, 0, v7, vcc
	v_cndmask_b32_e32 v6, 3, v6, vcc
	v_cmp_ne_u64_e32 vcc, 0, v[6:7]
	v_cmp_ne_u32_e64 s[28:29], 0, v10
	s_or_b64 s[28:29], s[28:29], vcc
                                        ; implicit-def: $vgpr33
	s_and_saveexec_b64 vcc, s[28:29]
	s_xor_b64 s[28:29], exec, vcc
; %bb.12635:                            ;   in Loop: Header=BB6_11809 Depth=3
	v_min_i32_e32 v7, 31, v10
	v_lshl_or_b32 v7, v7, 2, v32
	v_and_or_b32 v33, v6, 3, v7
                                        ; implicit-def: $vgpr32
; %bb.12636:                            ;   in Loop: Header=BB6_11809 Depth=3
	s_andn2_saveexec_b64 s[28:29], s[28:29]
; %bb.12637:                            ;   in Loop: Header=BB6_11809 Depth=3
	v_mov_b32_e32 v33, v32
; %bb.12638:                            ;   in Loop: Header=BB6_11809 Depth=3
	s_or_b64 exec, exec, s[28:29]
.LBB6_12639:                            ;   in Loop: Header=BB6_11809 Depth=3
	s_or_b64 exec, exec, s[38:39]
                                        ; implicit-def: $vgpr32
.LBB6_12640:                            ;   in Loop: Header=BB6_11809 Depth=3
	s_andn2_saveexec_b64 s[28:29], s[36:37]
; %bb.12641:                            ;   in Loop: Header=BB6_11809 Depth=3
	v_or_b32_e32 v33, 0x7b, v32
; %bb.12642:                            ;   in Loop: Header=BB6_11809 Depth=3
	s_or_b64 exec, exec, s[28:29]
                                        ; implicit-def: $vgpr10
                                        ; implicit-def: $vgpr6_vgpr7
.LBB6_12643:                            ;   in Loop: Header=BB6_11809 Depth=3
	s_andn2_saveexec_b64 s[28:29], s[34:35]
	s_cbranch_execz .LBB6_12649
; %bb.12644:                            ;   in Loop: Header=BB6_11809 Depth=3
	v_cmp_ne_u64_e32 vcc, 0, v[6:7]
                                        ; implicit-def: $vgpr33
	s_and_saveexec_b64 s[34:35], vcc
	s_xor_b64 vcc, exec, s[34:35]
; %bb.12645:                            ;   in Loop: Header=BB6_11809 Depth=3
	v_or_b32_sdwa v33, v10, s83 dst_sel:DWORD dst_unused:UNUSED_PAD src0_sel:BYTE_3 src1_sel:DWORD
                                        ; implicit-def: $vgpr10
; %bb.12646:                            ;   in Loop: Header=BB6_11809 Depth=3
	s_andn2_saveexec_b64 s[34:35], vcc
; %bb.12647:                            ;   in Loop: Header=BB6_11809 Depth=3
	v_cmp_lt_i32_e32 vcc, -1, v10
	v_mov_b32_e32 v6, 0x7c
	v_cndmask_b32_e32 v33, -4, v6, vcc
; %bb.12648:                            ;   in Loop: Header=BB6_11809 Depth=3
	s_or_b64 exec, exec, s[34:35]
.LBB6_12649:                            ;   in Loop: Header=BB6_11809 Depth=3
	s_or_b64 exec, exec, s[28:29]
	buffer_load_dword v6, off, s[0:3], s33 offset:264 ; 4-byte Folded Reload
	buffer_load_dword v7, off, s[0:3], s33 offset:268 ; 4-byte Folded Reload
	s_waitcnt vmcnt(0)
	v_mov_b32_e32 v7, 0
	v_mov_b32_e32 v11, v6
	v_cmp_ne_u16_e32 vcc, 0, v11
	v_mov_b32_e32 v6, 0
	s_and_saveexec_b64 s[28:29], vcc
	s_cbranch_execz .LBB6_12657
; %bb.12650:                            ;   in Loop: Header=BB6_11809 Depth=3
	v_cmp_ne_u16_e32 vcc, s80, v11
	v_bfrev_b32_e32 v7, 1
	s_and_saveexec_b64 s[34:35], vcc
	s_cbranch_execz .LBB6_12656
; %bb.12651:                            ;   in Loop: Header=BB6_11809 Depth=3
	v_and_b32_e32 v7, 0x7c, v11
	v_and_b32_e32 v10, 3, v11
	v_cmp_ne_u32_e32 vcc, s81, v7
                                        ; implicit-def: $vgpr7
	s_and_saveexec_b64 s[36:37], vcc
	s_xor_b64 s[36:37], exec, s[36:37]
	s_cbranch_execz .LBB6_12653
; %bb.12652:                            ;   in Loop: Header=BB6_11809 Depth=3
	buffer_load_dword v35, off, s[0:3], s33 offset:264 ; 4-byte Folded Reload
	buffer_load_dword v36, off, s[0:3], s33 offset:268 ; 4-byte Folded Reload
	v_ffbh_u32_e32 v11, v10
	v_min_u32_e32 v11, 32, v11
	s_waitcnt vmcnt(0)
	v_mov_b32_e32 v36, v34
	v_subrev_u32_e32 v30, 29, v11
	v_sub_u32_e32 v11, 30, v11
	v_and_b32_e32 v7, 0xff, v35
	v_bfe_u32 v7, v7, 2, 5
	v_lshlrev_b64 v[30:31], v30, v[35:36]
	v_cmp_eq_u32_e32 vcc, 0, v7
	v_and_b32_e32 v30, 3, v30
	v_cndmask_b32_e32 v7, v7, v11, vcc
	v_and_b32_sdwa v11, sext(v35), s82 dst_sel:DWORD dst_unused:UNUSED_PAD src0_sel:WORD_0 src1_sel:DWORD
	v_cndmask_b32_e32 v10, v10, v30, vcc
	v_lshl_add_u32 v7, v7, 23, v11
	v_lshl_or_b32 v7, v10, 21, v7
	v_add_u32_e32 v7, 0x38000000, v7
                                        ; implicit-def: $vgpr11
                                        ; implicit-def: $vgpr10
	buffer_store_dword v11, off, s[0:3], s33 offset:264 ; 4-byte Folded Spill
	s_nop 0
	buffer_store_dword v12, off, s[0:3], s33 offset:268 ; 4-byte Folded Spill
.LBB6_12653:                            ;   in Loop: Header=BB6_11809 Depth=3
	s_andn2_saveexec_b64 s[36:37], s[36:37]
	s_cbranch_execz .LBB6_12655
; %bb.12654:                            ;   in Loop: Header=BB6_11809 Depth=3
	buffer_load_dword v30, off, s[0:3], s33 offset:264 ; 4-byte Folded Reload
	buffer_load_dword v31, off, s[0:3], s33 offset:268 ; 4-byte Folded Reload
	v_mov_b32_e32 v7, 0xff800000
	v_mov_b32_e32 v11, 0x7f800000
	s_waitcnt vmcnt(1)
	v_cmp_lt_i16_e32 vcc, -1, v30
	v_cndmask_b32_e32 v7, v7, v11, vcc
	v_cmp_eq_u32_e32 vcc, 0, v10
	v_mov_b32_e32 v10, 0x7f800001
	v_cndmask_b32_e32 v7, v10, v7, vcc
.LBB6_12655:                            ;   in Loop: Header=BB6_11809 Depth=3
	s_or_b64 exec, exec, s[36:37]
.LBB6_12656:                            ;   in Loop: Header=BB6_11809 Depth=3
	s_or_b64 exec, exec, s[34:35]
.LBB6_12657:                            ;   in Loop: Header=BB6_11809 Depth=3
	s_or_b64 exec, exec, s[28:29]
	buffer_load_dword v10, off, s[0:3], s33 offset:256 ; 4-byte Folded Reload
	buffer_load_dword v11, off, s[0:3], s33 offset:260 ; 4-byte Folded Reload
	s_waitcnt vmcnt(0)
	v_mov_b32_e32 v11, v10
	v_cmp_ne_u16_e32 vcc, 0, v11
	s_and_saveexec_b64 s[28:29], vcc
	s_cbranch_execz .LBB6_12665
; %bb.12658:                            ;   in Loop: Header=BB6_11809 Depth=3
	v_cmp_ne_u16_e32 vcc, s80, v11
	v_bfrev_b32_e32 v6, 1
	s_and_saveexec_b64 s[34:35], vcc
	s_cbranch_execz .LBB6_12664
; %bb.12659:                            ;   in Loop: Header=BB6_11809 Depth=3
	v_and_b32_e32 v6, 0x7c, v11
	v_and_b32_e32 v10, 3, v11
	v_cmp_ne_u32_e32 vcc, s81, v6
                                        ; implicit-def: $vgpr6
	s_and_saveexec_b64 s[36:37], vcc
	s_xor_b64 s[36:37], exec, s[36:37]
	s_cbranch_execz .LBB6_12661
; %bb.12660:                            ;   in Loop: Header=BB6_11809 Depth=3
	buffer_load_dword v35, off, s[0:3], s33 offset:256 ; 4-byte Folded Reload
	buffer_load_dword v36, off, s[0:3], s33 offset:260 ; 4-byte Folded Reload
	v_ffbh_u32_e32 v11, v10
	v_min_u32_e32 v11, 32, v11
	s_waitcnt vmcnt(0)
	v_mov_b32_e32 v36, v34
	v_subrev_u32_e32 v30, 29, v11
	v_sub_u32_e32 v11, 30, v11
	v_and_b32_e32 v6, 0xff, v35
	v_bfe_u32 v6, v6, 2, 5
	v_lshlrev_b64 v[30:31], v30, v[35:36]
	v_cmp_eq_u32_e32 vcc, 0, v6
	v_and_b32_e32 v30, 3, v30
	v_cndmask_b32_e32 v6, v6, v11, vcc
	v_and_b32_sdwa v11, sext(v35), s82 dst_sel:DWORD dst_unused:UNUSED_PAD src0_sel:WORD_0 src1_sel:DWORD
	v_cndmask_b32_e32 v10, v10, v30, vcc
	v_lshl_add_u32 v6, v6, 23, v11
	v_lshl_or_b32 v6, v10, 21, v6
	v_add_u32_e32 v6, 0x38000000, v6
                                        ; implicit-def: $vgpr11
                                        ; implicit-def: $vgpr10
	buffer_store_dword v11, off, s[0:3], s33 offset:256 ; 4-byte Folded Spill
	s_nop 0
	buffer_store_dword v12, off, s[0:3], s33 offset:260 ; 4-byte Folded Spill
.LBB6_12661:                            ;   in Loop: Header=BB6_11809 Depth=3
	s_andn2_saveexec_b64 s[36:37], s[36:37]
	s_cbranch_execz .LBB6_12663
; %bb.12662:                            ;   in Loop: Header=BB6_11809 Depth=3
	buffer_load_dword v30, off, s[0:3], s33 offset:256 ; 4-byte Folded Reload
	buffer_load_dword v31, off, s[0:3], s33 offset:260 ; 4-byte Folded Reload
	v_mov_b32_e32 v6, 0xff800000
	v_mov_b32_e32 v11, 0x7f800000
	s_waitcnt vmcnt(1)
	v_cmp_lt_i16_e32 vcc, -1, v30
	v_cndmask_b32_e32 v6, v6, v11, vcc
	v_cmp_eq_u32_e32 vcc, 0, v10
	v_mov_b32_e32 v10, 0x7f800001
	v_cndmask_b32_e32 v6, v10, v6, vcc
.LBB6_12663:                            ;   in Loop: Header=BB6_11809 Depth=3
	s_or_b64 exec, exec, s[36:37]
.LBB6_12664:                            ;   in Loop: Header=BB6_11809 Depth=3
	s_or_b64 exec, exec, s[34:35]
.LBB6_12665:                            ;   in Loop: Header=BB6_11809 Depth=3
	s_or_b64 exec, exec, s[28:29]
	v_mul_f32_e32 v10, v7, v6
	v_and_b32_e32 v30, 0x7f800000, v10
	s_waitcnt vmcnt(0)
	v_mov_b32_e32 v31, v34
	v_cmp_ne_u64_e32 vcc, s[76:77], v[30:31]
	v_and_b32_e32 v6, 0x7fffff, v10
	v_mov_b32_e32 v7, v34
                                        ; implicit-def: $vgpr30
	s_and_saveexec_b64 s[28:29], vcc
	s_xor_b64 s[34:35], exec, s[28:29]
	s_cbranch_execz .LBB6_12683
; %bb.12666:                            ;   in Loop: Header=BB6_11809 Depth=3
	v_and_b32_e32 v30, 0x7fffffff, v10
	v_mov_b32_e32 v31, v34
	v_cmp_gt_u64_e32 vcc, s[78:79], v[30:31]
	v_and_b32_sdwa v31, v10, s44 dst_sel:DWORD dst_unused:UNUSED_PAD src0_sel:BYTE_3 src1_sel:DWORD
                                        ; implicit-def: $vgpr30
	s_and_saveexec_b64 s[28:29], vcc
	s_xor_b64 s[36:37], exec, s[28:29]
	s_cbranch_execz .LBB6_12680
; %bb.12667:                            ;   in Loop: Header=BB6_11809 Depth=3
	v_cmp_ne_u32_e32 vcc, 0, v10
	v_mov_b32_e32 v30, 0
	s_and_saveexec_b64 s[38:39], vcc
	s_cbranch_execz .LBB6_12679
; %bb.12668:                            ;   in Loop: Header=BB6_11809 Depth=3
	v_bfe_u32 v30, v10, 23, 8
	v_cmp_gt_u32_e64 s[28:29], s45, v30
	v_sub_u32_e32 v10, 0x71, v30
	v_cmp_eq_u32_e32 vcc, 0, v30
	v_cndmask_b32_e64 v10, 0, v10, s[28:29]
	v_mov_b32_e32 v32, 0x70
	v_cndmask_b32_e32 v32, v10, v32, vcc
	v_or_b32_e32 v11, 0x800000, v6
	v_add_u32_e32 v10, 21, v32
	v_cndmask_b32_e32 v6, v11, v6, vcc
	v_lshlrev_b64 v[10:11], v10, -1
	v_add_u32_e32 v35, 20, v32
	v_bfi_b32 v10, v10, 0, v6
	v_lshlrev_b64 v[35:36], v35, 1
	v_lshrrev_b64 v[6:7], v32, v[6:7]
	v_bfi_b32 v11, v11, 0, 0
	v_cmp_eq_u64_e64 s[28:29], v[10:11], v[35:36]
	v_mov_b32_e32 v11, v7
	v_mov_b32_e32 v10, v6
	s_and_saveexec_b64 s[48:49], s[28:29]
; %bb.12669:                            ;   in Loop: Header=BB6_11809 Depth=3
	v_bfe_u32 v7, v6, 21, 1
	v_add_co_u32_e64 v7, s[28:29], v6, v7
	v_add_co_u32_e64 v10, s[28:29], -1, v7
; %bb.12670:                            ;   in Loop: Header=BB6_11809 Depth=3
	s_or_b64 exec, exec, s[48:49]
	v_add_u32_e32 v7, 0xffffff81, v30
	v_mov_b32_e32 v11, 0xffffff82
	v_cndmask_b32_e32 v7, v7, v11, vcc
	v_lshrrev_b32_e32 v11, 23, v6
	v_add3_u32 v30, v32, v7, v11
	v_add_u32_e32 v11, 14, v30
	v_and_b32_e32 v7, 0x1fffff, v10
	v_add_u32_e32 v6, v7, v6
	v_mov_b32_e32 v7, v34
	v_cmp_ne_u32_e32 vcc, 0, v11
                                        ; implicit-def: $vgpr10
	s_and_saveexec_b64 s[28:29], vcc
	s_xor_b64 s[28:29], exec, s[28:29]
; %bb.12671:                            ;   in Loop: Header=BB6_11809 Depth=3
	v_cmp_lt_u64_e32 vcc, s[88:89], v[6:7]
	v_add_u32_e32 v10, 15, v30
	v_cndmask_b32_e32 v10, v11, v10, vcc
	v_cndmask_b32_e64 v11, 0, 1, vcc
	v_lshrrev_b64 v[6:7], v11, v[6:7]
; %bb.12672:                            ;   in Loop: Header=BB6_11809 Depth=3
	s_andn2_saveexec_b64 s[28:29], s[28:29]
; %bb.12673:                            ;   in Loop: Header=BB6_11809 Depth=3
	v_bfe_u32 v10, v6, 23, 1
; %bb.12674:                            ;   in Loop: Header=BB6_11809 Depth=3
	s_or_b64 exec, exec, s[28:29]
	v_lshrrev_b64 v[6:7], 21, v[6:7]
	v_cmp_gt_i32_e32 vcc, 32, v10
	v_cndmask_b32_e32 v7, 0, v7, vcc
	v_cndmask_b32_e32 v6, 3, v6, vcc
	v_cmp_ne_u64_e32 vcc, 0, v[6:7]
	v_cmp_ne_u32_e64 s[28:29], 0, v10
	s_or_b64 s[28:29], s[28:29], vcc
                                        ; implicit-def: $vgpr30
	s_and_saveexec_b64 vcc, s[28:29]
	s_xor_b64 s[28:29], exec, vcc
; %bb.12675:                            ;   in Loop: Header=BB6_11809 Depth=3
	v_min_i32_e32 v7, 31, v10
	v_lshl_or_b32 v7, v7, 2, v31
	v_and_or_b32 v30, v6, 3, v7
                                        ; implicit-def: $vgpr31
; %bb.12676:                            ;   in Loop: Header=BB6_11809 Depth=3
	s_andn2_saveexec_b64 s[28:29], s[28:29]
; %bb.12677:                            ;   in Loop: Header=BB6_11809 Depth=3
	v_mov_b32_e32 v30, v31
; %bb.12678:                            ;   in Loop: Header=BB6_11809 Depth=3
	s_or_b64 exec, exec, s[28:29]
.LBB6_12679:                            ;   in Loop: Header=BB6_11809 Depth=3
	s_or_b64 exec, exec, s[38:39]
                                        ; implicit-def: $vgpr31
.LBB6_12680:                            ;   in Loop: Header=BB6_11809 Depth=3
	s_andn2_saveexec_b64 s[28:29], s[36:37]
; %bb.12681:                            ;   in Loop: Header=BB6_11809 Depth=3
	v_or_b32_e32 v30, 0x7b, v31
; %bb.12682:                            ;   in Loop: Header=BB6_11809 Depth=3
	s_or_b64 exec, exec, s[28:29]
                                        ; implicit-def: $vgpr10
                                        ; implicit-def: $vgpr6_vgpr7
.LBB6_12683:                            ;   in Loop: Header=BB6_11809 Depth=3
	s_andn2_saveexec_b64 s[28:29], s[34:35]
	s_cbranch_execz .LBB6_12689
; %bb.12684:                            ;   in Loop: Header=BB6_11809 Depth=3
	v_cmp_ne_u64_e32 vcc, 0, v[6:7]
                                        ; implicit-def: $vgpr30
	s_and_saveexec_b64 s[34:35], vcc
	s_xor_b64 vcc, exec, s[34:35]
; %bb.12685:                            ;   in Loop: Header=BB6_11809 Depth=3
	v_or_b32_sdwa v30, v10, s83 dst_sel:DWORD dst_unused:UNUSED_PAD src0_sel:BYTE_3 src1_sel:DWORD
                                        ; implicit-def: $vgpr10
; %bb.12686:                            ;   in Loop: Header=BB6_11809 Depth=3
	s_andn2_saveexec_b64 s[34:35], vcc
; %bb.12687:                            ;   in Loop: Header=BB6_11809 Depth=3
	v_cmp_lt_i32_e32 vcc, -1, v10
	v_mov_b32_e32 v6, 0x7c
	v_cndmask_b32_e32 v30, -4, v6, vcc
; %bb.12688:                            ;   in Loop: Header=BB6_11809 Depth=3
	s_or_b64 exec, exec, s[34:35]
.LBB6_12689:                            ;   in Loop: Header=BB6_11809 Depth=3
	s_or_b64 exec, exec, s[28:29]
	buffer_load_dword v6, off, s[0:3], s33 offset:248 ; 4-byte Folded Reload
	buffer_load_dword v7, off, s[0:3], s33 offset:252 ; 4-byte Folded Reload
	s_waitcnt vmcnt(0)
	v_mov_b32_e32 v7, 0
	v_mov_b32_e32 v11, v6
	v_cmp_ne_u16_e32 vcc, 0, v11
	v_mov_b32_e32 v6, 0
	s_and_saveexec_b64 s[28:29], vcc
	s_cbranch_execz .LBB6_12697
; %bb.12690:                            ;   in Loop: Header=BB6_11809 Depth=3
	v_cmp_ne_u16_e32 vcc, s80, v11
	v_bfrev_b32_e32 v7, 1
	s_and_saveexec_b64 s[34:35], vcc
	s_cbranch_execz .LBB6_12696
; %bb.12691:                            ;   in Loop: Header=BB6_11809 Depth=3
	v_and_b32_e32 v7, 0x7c, v11
	v_and_b32_e32 v10, 3, v11
	v_cmp_ne_u32_e32 vcc, s81, v7
                                        ; implicit-def: $vgpr7
	s_and_saveexec_b64 s[36:37], vcc
	s_xor_b64 s[36:37], exec, s[36:37]
	s_cbranch_execz .LBB6_12693
; %bb.12692:                            ;   in Loop: Header=BB6_11809 Depth=3
	buffer_load_dword v35, off, s[0:3], s33 offset:248 ; 4-byte Folded Reload
	buffer_load_dword v36, off, s[0:3], s33 offset:252 ; 4-byte Folded Reload
	v_ffbh_u32_e32 v11, v10
	v_min_u32_e32 v11, 32, v11
	s_waitcnt vmcnt(0)
	v_mov_b32_e32 v36, v34
	v_subrev_u32_e32 v31, 29, v11
	v_sub_u32_e32 v11, 30, v11
	v_and_b32_e32 v7, 0xff, v35
	v_bfe_u32 v7, v7, 2, 5
	v_lshlrev_b64 v[31:32], v31, v[35:36]
	v_cmp_eq_u32_e32 vcc, 0, v7
	v_and_b32_e32 v31, 3, v31
	v_cndmask_b32_e32 v7, v7, v11, vcc
	v_and_b32_sdwa v11, sext(v35), s82 dst_sel:DWORD dst_unused:UNUSED_PAD src0_sel:WORD_0 src1_sel:DWORD
	v_cndmask_b32_e32 v10, v10, v31, vcc
	v_lshl_add_u32 v7, v7, 23, v11
	v_lshl_or_b32 v7, v10, 21, v7
	v_add_u32_e32 v7, 0x38000000, v7
                                        ; implicit-def: $vgpr11
                                        ; implicit-def: $vgpr10
	buffer_store_dword v11, off, s[0:3], s33 offset:248 ; 4-byte Folded Spill
	s_nop 0
	buffer_store_dword v12, off, s[0:3], s33 offset:252 ; 4-byte Folded Spill
.LBB6_12693:                            ;   in Loop: Header=BB6_11809 Depth=3
	s_andn2_saveexec_b64 s[36:37], s[36:37]
	s_cbranch_execz .LBB6_12695
; %bb.12694:                            ;   in Loop: Header=BB6_11809 Depth=3
	buffer_load_dword v31, off, s[0:3], s33 offset:248 ; 4-byte Folded Reload
	buffer_load_dword v32, off, s[0:3], s33 offset:252 ; 4-byte Folded Reload
	v_mov_b32_e32 v7, 0xff800000
	v_mov_b32_e32 v11, 0x7f800000
	s_waitcnt vmcnt(1)
	v_cmp_lt_i16_e32 vcc, -1, v31
	v_cndmask_b32_e32 v7, v7, v11, vcc
	v_cmp_eq_u32_e32 vcc, 0, v10
	v_mov_b32_e32 v10, 0x7f800001
	v_cndmask_b32_e32 v7, v10, v7, vcc
.LBB6_12695:                            ;   in Loop: Header=BB6_11809 Depth=3
	s_or_b64 exec, exec, s[36:37]
.LBB6_12696:                            ;   in Loop: Header=BB6_11809 Depth=3
	s_or_b64 exec, exec, s[34:35]
.LBB6_12697:                            ;   in Loop: Header=BB6_11809 Depth=3
	s_or_b64 exec, exec, s[28:29]
	buffer_load_dword v10, off, s[0:3], s33 offset:240 ; 4-byte Folded Reload
	buffer_load_dword v11, off, s[0:3], s33 offset:244 ; 4-byte Folded Reload
	s_waitcnt vmcnt(0)
	v_mov_b32_e32 v11, v10
	v_cmp_ne_u16_e32 vcc, 0, v11
	s_and_saveexec_b64 s[28:29], vcc
	s_cbranch_execz .LBB6_12705
; %bb.12698:                            ;   in Loop: Header=BB6_11809 Depth=3
	v_cmp_ne_u16_e32 vcc, s80, v11
	v_bfrev_b32_e32 v6, 1
	s_and_saveexec_b64 s[34:35], vcc
	s_cbranch_execz .LBB6_12704
; %bb.12699:                            ;   in Loop: Header=BB6_11809 Depth=3
	v_and_b32_e32 v6, 0x7c, v11
	v_and_b32_e32 v10, 3, v11
	v_cmp_ne_u32_e32 vcc, s81, v6
                                        ; implicit-def: $vgpr6
	s_and_saveexec_b64 s[36:37], vcc
	s_xor_b64 s[36:37], exec, s[36:37]
	s_cbranch_execz .LBB6_12701
; %bb.12700:                            ;   in Loop: Header=BB6_11809 Depth=3
	buffer_load_dword v35, off, s[0:3], s33 offset:240 ; 4-byte Folded Reload
	buffer_load_dword v36, off, s[0:3], s33 offset:244 ; 4-byte Folded Reload
	v_ffbh_u32_e32 v11, v10
	v_min_u32_e32 v11, 32, v11
	s_waitcnt vmcnt(0)
	v_mov_b32_e32 v36, v34
	v_subrev_u32_e32 v31, 29, v11
	v_sub_u32_e32 v11, 30, v11
	v_and_b32_e32 v6, 0xff, v35
	v_bfe_u32 v6, v6, 2, 5
	v_lshlrev_b64 v[31:32], v31, v[35:36]
	v_cmp_eq_u32_e32 vcc, 0, v6
	v_and_b32_e32 v31, 3, v31
	v_cndmask_b32_e32 v6, v6, v11, vcc
	v_and_b32_sdwa v11, sext(v35), s82 dst_sel:DWORD dst_unused:UNUSED_PAD src0_sel:WORD_0 src1_sel:DWORD
	v_cndmask_b32_e32 v10, v10, v31, vcc
	v_lshl_add_u32 v6, v6, 23, v11
	v_lshl_or_b32 v6, v10, 21, v6
	v_add_u32_e32 v6, 0x38000000, v6
                                        ; implicit-def: $vgpr11
                                        ; implicit-def: $vgpr10
	buffer_store_dword v11, off, s[0:3], s33 offset:240 ; 4-byte Folded Spill
	s_nop 0
	buffer_store_dword v12, off, s[0:3], s33 offset:244 ; 4-byte Folded Spill
.LBB6_12701:                            ;   in Loop: Header=BB6_11809 Depth=3
	s_andn2_saveexec_b64 s[36:37], s[36:37]
	s_cbranch_execz .LBB6_12703
; %bb.12702:                            ;   in Loop: Header=BB6_11809 Depth=3
	buffer_load_dword v31, off, s[0:3], s33 offset:240 ; 4-byte Folded Reload
	buffer_load_dword v32, off, s[0:3], s33 offset:244 ; 4-byte Folded Reload
	v_mov_b32_e32 v6, 0xff800000
	v_mov_b32_e32 v11, 0x7f800000
	s_waitcnt vmcnt(1)
	v_cmp_lt_i16_e32 vcc, -1, v31
	v_cndmask_b32_e32 v6, v6, v11, vcc
	v_cmp_eq_u32_e32 vcc, 0, v10
	v_mov_b32_e32 v10, 0x7f800001
	v_cndmask_b32_e32 v6, v10, v6, vcc
.LBB6_12703:                            ;   in Loop: Header=BB6_11809 Depth=3
	s_or_b64 exec, exec, s[36:37]
.LBB6_12704:                            ;   in Loop: Header=BB6_11809 Depth=3
	s_or_b64 exec, exec, s[34:35]
.LBB6_12705:                            ;   in Loop: Header=BB6_11809 Depth=3
	s_or_b64 exec, exec, s[28:29]
	v_mul_f32_e32 v10, v7, v6
	v_and_b32_e32 v31, 0x7f800000, v10
	s_waitcnt vmcnt(0)
	v_mov_b32_e32 v32, v34
	v_cmp_ne_u64_e32 vcc, s[76:77], v[31:32]
	v_and_b32_e32 v6, 0x7fffff, v10
	v_mov_b32_e32 v7, v34
                                        ; implicit-def: $vgpr31
	s_and_saveexec_b64 s[28:29], vcc
	s_xor_b64 s[34:35], exec, s[28:29]
	s_cbranch_execz .LBB6_12723
; %bb.12706:                            ;   in Loop: Header=BB6_11809 Depth=3
	v_and_b32_e32 v31, 0x7fffffff, v10
	v_mov_b32_e32 v32, v34
	v_cmp_gt_u64_e32 vcc, s[78:79], v[31:32]
	v_and_b32_sdwa v32, v10, s44 dst_sel:DWORD dst_unused:UNUSED_PAD src0_sel:BYTE_3 src1_sel:DWORD
                                        ; implicit-def: $vgpr31
	s_and_saveexec_b64 s[28:29], vcc
	s_xor_b64 s[36:37], exec, s[28:29]
	s_cbranch_execz .LBB6_12720
; %bb.12707:                            ;   in Loop: Header=BB6_11809 Depth=3
	v_cmp_ne_u32_e32 vcc, 0, v10
	v_mov_b32_e32 v31, 0
	s_and_saveexec_b64 s[38:39], vcc
	s_cbranch_execz .LBB6_12719
; %bb.12708:                            ;   in Loop: Header=BB6_11809 Depth=3
	v_bfe_u32 v31, v10, 23, 8
	v_cmp_gt_u32_e64 s[28:29], s45, v31
	v_sub_u32_e32 v10, 0x71, v31
	v_cmp_eq_u32_e32 vcc, 0, v31
	v_cndmask_b32_e64 v10, 0, v10, s[28:29]
	v_mov_b32_e32 v35, 0x70
	v_cndmask_b32_e32 v35, v10, v35, vcc
	v_or_b32_e32 v11, 0x800000, v6
	v_add_u32_e32 v10, 21, v35
	v_cndmask_b32_e32 v6, v11, v6, vcc
	v_lshlrev_b64 v[10:11], v10, -1
	v_add_u32_e32 v36, 20, v35
	v_bfi_b32 v10, v10, 0, v6
	v_lshlrev_b64 v[48:49], v36, 1
	v_lshrrev_b64 v[6:7], v35, v[6:7]
	v_bfi_b32 v11, v11, 0, 0
	v_cmp_eq_u64_e64 s[28:29], v[10:11], v[48:49]
	v_mov_b32_e32 v11, v7
	v_mov_b32_e32 v10, v6
	s_and_saveexec_b64 s[48:49], s[28:29]
; %bb.12709:                            ;   in Loop: Header=BB6_11809 Depth=3
	v_bfe_u32 v7, v6, 21, 1
	v_add_co_u32_e64 v7, s[28:29], v6, v7
	v_add_co_u32_e64 v10, s[28:29], -1, v7
; %bb.12710:                            ;   in Loop: Header=BB6_11809 Depth=3
	s_or_b64 exec, exec, s[48:49]
	v_add_u32_e32 v7, 0xffffff81, v31
	v_mov_b32_e32 v11, 0xffffff82
	v_cndmask_b32_e32 v7, v7, v11, vcc
	v_lshrrev_b32_e32 v11, 23, v6
	v_add3_u32 v31, v35, v7, v11
	v_add_u32_e32 v11, 14, v31
	v_and_b32_e32 v7, 0x1fffff, v10
	v_add_u32_e32 v6, v7, v6
	v_mov_b32_e32 v7, v34
	v_cmp_ne_u32_e32 vcc, 0, v11
                                        ; implicit-def: $vgpr10
	s_and_saveexec_b64 s[28:29], vcc
	s_xor_b64 s[28:29], exec, s[28:29]
; %bb.12711:                            ;   in Loop: Header=BB6_11809 Depth=3
	v_cmp_lt_u64_e32 vcc, s[88:89], v[6:7]
	v_add_u32_e32 v10, 15, v31
	v_cndmask_b32_e32 v10, v11, v10, vcc
	v_cndmask_b32_e64 v11, 0, 1, vcc
	v_lshrrev_b64 v[6:7], v11, v[6:7]
; %bb.12712:                            ;   in Loop: Header=BB6_11809 Depth=3
	s_andn2_saveexec_b64 s[28:29], s[28:29]
; %bb.12713:                            ;   in Loop: Header=BB6_11809 Depth=3
	v_bfe_u32 v10, v6, 23, 1
; %bb.12714:                            ;   in Loop: Header=BB6_11809 Depth=3
	s_or_b64 exec, exec, s[28:29]
	v_lshrrev_b64 v[6:7], 21, v[6:7]
	v_cmp_gt_i32_e32 vcc, 32, v10
	v_cndmask_b32_e32 v7, 0, v7, vcc
	v_cndmask_b32_e32 v6, 3, v6, vcc
	v_cmp_ne_u64_e32 vcc, 0, v[6:7]
	v_cmp_ne_u32_e64 s[28:29], 0, v10
	s_or_b64 s[28:29], s[28:29], vcc
                                        ; implicit-def: $vgpr31
	s_and_saveexec_b64 vcc, s[28:29]
	s_xor_b64 s[28:29], exec, vcc
; %bb.12715:                            ;   in Loop: Header=BB6_11809 Depth=3
	v_min_i32_e32 v7, 31, v10
	v_lshl_or_b32 v7, v7, 2, v32
	v_and_or_b32 v31, v6, 3, v7
                                        ; implicit-def: $vgpr32
; %bb.12716:                            ;   in Loop: Header=BB6_11809 Depth=3
	s_andn2_saveexec_b64 s[28:29], s[28:29]
; %bb.12717:                            ;   in Loop: Header=BB6_11809 Depth=3
	v_mov_b32_e32 v31, v32
; %bb.12718:                            ;   in Loop: Header=BB6_11809 Depth=3
	s_or_b64 exec, exec, s[28:29]
.LBB6_12719:                            ;   in Loop: Header=BB6_11809 Depth=3
	s_or_b64 exec, exec, s[38:39]
                                        ; implicit-def: $vgpr32
.LBB6_12720:                            ;   in Loop: Header=BB6_11809 Depth=3
	s_andn2_saveexec_b64 s[28:29], s[36:37]
; %bb.12721:                            ;   in Loop: Header=BB6_11809 Depth=3
	v_or_b32_e32 v31, 0x7b, v32
; %bb.12722:                            ;   in Loop: Header=BB6_11809 Depth=3
	s_or_b64 exec, exec, s[28:29]
                                        ; implicit-def: $vgpr10
                                        ; implicit-def: $vgpr6_vgpr7
.LBB6_12723:                            ;   in Loop: Header=BB6_11809 Depth=3
	s_andn2_saveexec_b64 s[28:29], s[34:35]
	s_cbranch_execz .LBB6_12729
; %bb.12724:                            ;   in Loop: Header=BB6_11809 Depth=3
	v_cmp_ne_u64_e32 vcc, 0, v[6:7]
                                        ; implicit-def: $vgpr31
	s_and_saveexec_b64 s[34:35], vcc
	s_xor_b64 vcc, exec, s[34:35]
; %bb.12725:                            ;   in Loop: Header=BB6_11809 Depth=3
	v_or_b32_sdwa v31, v10, s83 dst_sel:DWORD dst_unused:UNUSED_PAD src0_sel:BYTE_3 src1_sel:DWORD
                                        ; implicit-def: $vgpr10
; %bb.12726:                            ;   in Loop: Header=BB6_11809 Depth=3
	s_andn2_saveexec_b64 s[34:35], vcc
; %bb.12727:                            ;   in Loop: Header=BB6_11809 Depth=3
	v_cmp_lt_i32_e32 vcc, -1, v10
	v_mov_b32_e32 v6, 0x7c
	v_cndmask_b32_e32 v31, -4, v6, vcc
; %bb.12728:                            ;   in Loop: Header=BB6_11809 Depth=3
	s_or_b64 exec, exec, s[34:35]
.LBB6_12729:                            ;   in Loop: Header=BB6_11809 Depth=3
	s_or_b64 exec, exec, s[28:29]
	buffer_load_dword v6, off, s[0:3], s33 offset:232 ; 4-byte Folded Reload
	buffer_load_dword v7, off, s[0:3], s33 offset:236 ; 4-byte Folded Reload
	s_waitcnt vmcnt(0)
	v_mov_b32_e32 v7, 0
	v_mov_b32_e32 v11, v6
	v_cmp_ne_u16_e32 vcc, 0, v11
	v_mov_b32_e32 v6, 0
	s_and_saveexec_b64 s[28:29], vcc
	s_cbranch_execz .LBB6_12737
; %bb.12730:                            ;   in Loop: Header=BB6_11809 Depth=3
	v_cmp_ne_u16_e32 vcc, s80, v11
	v_bfrev_b32_e32 v7, 1
	s_and_saveexec_b64 s[34:35], vcc
	s_cbranch_execz .LBB6_12736
; %bb.12731:                            ;   in Loop: Header=BB6_11809 Depth=3
	v_and_b32_e32 v7, 0x7c, v11
	v_and_b32_e32 v10, 3, v11
	v_cmp_ne_u32_e32 vcc, s81, v7
                                        ; implicit-def: $vgpr7
	s_and_saveexec_b64 s[36:37], vcc
	s_xor_b64 s[36:37], exec, s[36:37]
	s_cbranch_execz .LBB6_12733
; %bb.12732:                            ;   in Loop: Header=BB6_11809 Depth=3
	buffer_load_dword v48, off, s[0:3], s33 offset:232 ; 4-byte Folded Reload
	buffer_load_dword v49, off, s[0:3], s33 offset:236 ; 4-byte Folded Reload
	v_ffbh_u32_e32 v11, v10
	v_min_u32_e32 v11, 32, v11
	s_waitcnt vmcnt(0)
	v_mov_b32_e32 v49, v34
	v_subrev_u32_e32 v32, 29, v11
	v_sub_u32_e32 v11, 30, v11
	v_and_b32_e32 v7, 0xff, v48
	v_bfe_u32 v7, v7, 2, 5
	v_lshlrev_b64 v[35:36], v32, v[48:49]
	v_cmp_eq_u32_e32 vcc, 0, v7
	v_and_b32_e32 v32, 3, v35
	v_cndmask_b32_e32 v7, v7, v11, vcc
	v_and_b32_sdwa v11, sext(v48), s82 dst_sel:DWORD dst_unused:UNUSED_PAD src0_sel:WORD_0 src1_sel:DWORD
	v_cndmask_b32_e32 v10, v10, v32, vcc
	v_lshl_add_u32 v7, v7, 23, v11
	v_lshl_or_b32 v7, v10, 21, v7
	v_add_u32_e32 v7, 0x38000000, v7
                                        ; implicit-def: $vgpr11
                                        ; implicit-def: $vgpr10
	buffer_store_dword v11, off, s[0:3], s33 offset:232 ; 4-byte Folded Spill
	s_nop 0
	buffer_store_dword v12, off, s[0:3], s33 offset:236 ; 4-byte Folded Spill
.LBB6_12733:                            ;   in Loop: Header=BB6_11809 Depth=3
	s_andn2_saveexec_b64 s[36:37], s[36:37]
	s_cbranch_execz .LBB6_12735
; %bb.12734:                            ;   in Loop: Header=BB6_11809 Depth=3
	buffer_load_dword v35, off, s[0:3], s33 offset:232 ; 4-byte Folded Reload
	buffer_load_dword v36, off, s[0:3], s33 offset:236 ; 4-byte Folded Reload
	v_mov_b32_e32 v7, 0xff800000
	v_mov_b32_e32 v11, 0x7f800000
	s_waitcnt vmcnt(1)
	v_cmp_lt_i16_e32 vcc, -1, v35
	v_cndmask_b32_e32 v7, v7, v11, vcc
	v_cmp_eq_u32_e32 vcc, 0, v10
	v_mov_b32_e32 v10, 0x7f800001
	v_cndmask_b32_e32 v7, v10, v7, vcc
.LBB6_12735:                            ;   in Loop: Header=BB6_11809 Depth=3
	s_or_b64 exec, exec, s[36:37]
.LBB6_12736:                            ;   in Loop: Header=BB6_11809 Depth=3
	s_or_b64 exec, exec, s[34:35]
.LBB6_12737:                            ;   in Loop: Header=BB6_11809 Depth=3
	s_or_b64 exec, exec, s[28:29]
	buffer_load_dword v10, off, s[0:3], s33 offset:224 ; 4-byte Folded Reload
	buffer_load_dword v11, off, s[0:3], s33 offset:228 ; 4-byte Folded Reload
	s_waitcnt vmcnt(0)
	v_mov_b32_e32 v11, v10
	v_cmp_ne_u16_e32 vcc, 0, v11
	s_and_saveexec_b64 s[28:29], vcc
	s_cbranch_execz .LBB6_12745
; %bb.12738:                            ;   in Loop: Header=BB6_11809 Depth=3
	v_cmp_ne_u16_e32 vcc, s80, v11
	v_bfrev_b32_e32 v6, 1
	s_and_saveexec_b64 s[34:35], vcc
	s_cbranch_execz .LBB6_12744
; %bb.12739:                            ;   in Loop: Header=BB6_11809 Depth=3
	v_and_b32_e32 v6, 0x7c, v11
	v_and_b32_e32 v10, 3, v11
	v_cmp_ne_u32_e32 vcc, s81, v6
                                        ; implicit-def: $vgpr6
	s_and_saveexec_b64 s[36:37], vcc
	s_xor_b64 s[36:37], exec, s[36:37]
	s_cbranch_execz .LBB6_12741
; %bb.12740:                            ;   in Loop: Header=BB6_11809 Depth=3
	buffer_load_dword v48, off, s[0:3], s33 offset:224 ; 4-byte Folded Reload
	buffer_load_dword v49, off, s[0:3], s33 offset:228 ; 4-byte Folded Reload
	v_ffbh_u32_e32 v11, v10
	v_min_u32_e32 v11, 32, v11
	s_waitcnt vmcnt(0)
	v_mov_b32_e32 v49, v34
	v_subrev_u32_e32 v32, 29, v11
	v_sub_u32_e32 v11, 30, v11
	v_and_b32_e32 v6, 0xff, v48
	v_bfe_u32 v6, v6, 2, 5
	v_lshlrev_b64 v[35:36], v32, v[48:49]
	v_cmp_eq_u32_e32 vcc, 0, v6
	v_and_b32_e32 v32, 3, v35
	v_cndmask_b32_e32 v6, v6, v11, vcc
	v_and_b32_sdwa v11, sext(v48), s82 dst_sel:DWORD dst_unused:UNUSED_PAD src0_sel:WORD_0 src1_sel:DWORD
	v_cndmask_b32_e32 v10, v10, v32, vcc
	v_lshl_add_u32 v6, v6, 23, v11
	v_lshl_or_b32 v6, v10, 21, v6
	v_add_u32_e32 v6, 0x38000000, v6
                                        ; implicit-def: $vgpr11
                                        ; implicit-def: $vgpr10
	buffer_store_dword v11, off, s[0:3], s33 offset:224 ; 4-byte Folded Spill
	s_nop 0
	buffer_store_dword v12, off, s[0:3], s33 offset:228 ; 4-byte Folded Spill
.LBB6_12741:                            ;   in Loop: Header=BB6_11809 Depth=3
	s_andn2_saveexec_b64 s[36:37], s[36:37]
	s_cbranch_execz .LBB6_12743
; %bb.12742:                            ;   in Loop: Header=BB6_11809 Depth=3
	buffer_load_dword v35, off, s[0:3], s33 offset:224 ; 4-byte Folded Reload
	buffer_load_dword v36, off, s[0:3], s33 offset:228 ; 4-byte Folded Reload
	v_mov_b32_e32 v6, 0xff800000
	v_mov_b32_e32 v11, 0x7f800000
	s_waitcnt vmcnt(1)
	v_cmp_lt_i16_e32 vcc, -1, v35
	v_cndmask_b32_e32 v6, v6, v11, vcc
	v_cmp_eq_u32_e32 vcc, 0, v10
	v_mov_b32_e32 v10, 0x7f800001
	v_cndmask_b32_e32 v6, v10, v6, vcc
.LBB6_12743:                            ;   in Loop: Header=BB6_11809 Depth=3
	s_or_b64 exec, exec, s[36:37]
.LBB6_12744:                            ;   in Loop: Header=BB6_11809 Depth=3
	s_or_b64 exec, exec, s[34:35]
.LBB6_12745:                            ;   in Loop: Header=BB6_11809 Depth=3
	s_or_b64 exec, exec, s[28:29]
	v_mul_f32_e32 v10, v7, v6
	v_and_b32_e32 v35, 0x7f800000, v10
	s_waitcnt vmcnt(0)
	v_mov_b32_e32 v36, v34
	v_cmp_ne_u64_e32 vcc, s[76:77], v[35:36]
	v_and_b32_e32 v6, 0x7fffff, v10
	v_mov_b32_e32 v7, v34
                                        ; implicit-def: $vgpr32
	s_and_saveexec_b64 s[28:29], vcc
	s_xor_b64 s[34:35], exec, s[28:29]
	s_cbranch_execz .LBB6_12763
; %bb.12746:                            ;   in Loop: Header=BB6_11809 Depth=3
	v_and_b32_e32 v35, 0x7fffffff, v10
	v_mov_b32_e32 v36, v34
	v_cmp_gt_u64_e32 vcc, s[78:79], v[35:36]
	v_and_b32_sdwa v35, v10, s44 dst_sel:DWORD dst_unused:UNUSED_PAD src0_sel:BYTE_3 src1_sel:DWORD
                                        ; implicit-def: $vgpr32
	s_and_saveexec_b64 s[28:29], vcc
	s_xor_b64 s[36:37], exec, s[28:29]
	s_cbranch_execz .LBB6_12760
; %bb.12747:                            ;   in Loop: Header=BB6_11809 Depth=3
	v_cmp_ne_u32_e32 vcc, 0, v10
	v_mov_b32_e32 v32, 0
	s_and_saveexec_b64 s[38:39], vcc
	s_cbranch_execz .LBB6_12759
; %bb.12748:                            ;   in Loop: Header=BB6_11809 Depth=3
	v_bfe_u32 v32, v10, 23, 8
	v_cmp_gt_u32_e64 s[28:29], s45, v32
	v_sub_u32_e32 v10, 0x71, v32
	v_cmp_eq_u32_e32 vcc, 0, v32
	v_cndmask_b32_e64 v10, 0, v10, s[28:29]
	v_mov_b32_e32 v36, 0x70
	v_cndmask_b32_e32 v36, v10, v36, vcc
	v_or_b32_e32 v11, 0x800000, v6
	v_add_u32_e32 v10, 21, v36
	v_cndmask_b32_e32 v6, v11, v6, vcc
	v_lshlrev_b64 v[10:11], v10, -1
	v_add_u32_e32 v38, 20, v36
	v_bfi_b32 v10, v10, 0, v6
	v_lshlrev_b64 v[48:49], v38, 1
	v_lshrrev_b64 v[6:7], v36, v[6:7]
	v_bfi_b32 v11, v11, 0, 0
	v_cmp_eq_u64_e64 s[28:29], v[10:11], v[48:49]
	v_mov_b32_e32 v11, v7
	v_mov_b32_e32 v10, v6
	s_and_saveexec_b64 s[48:49], s[28:29]
; %bb.12749:                            ;   in Loop: Header=BB6_11809 Depth=3
	v_bfe_u32 v7, v6, 21, 1
	v_add_co_u32_e64 v7, s[28:29], v6, v7
	v_add_co_u32_e64 v10, s[28:29], -1, v7
; %bb.12750:                            ;   in Loop: Header=BB6_11809 Depth=3
	s_or_b64 exec, exec, s[48:49]
	v_add_u32_e32 v7, 0xffffff81, v32
	v_mov_b32_e32 v11, 0xffffff82
	v_cndmask_b32_e32 v7, v7, v11, vcc
	v_lshrrev_b32_e32 v11, 23, v6
	v_add3_u32 v32, v36, v7, v11
	v_add_u32_e32 v11, 14, v32
	v_and_b32_e32 v7, 0x1fffff, v10
	v_add_u32_e32 v6, v7, v6
	v_mov_b32_e32 v7, v34
	v_cmp_ne_u32_e32 vcc, 0, v11
                                        ; implicit-def: $vgpr10
	s_and_saveexec_b64 s[28:29], vcc
	s_xor_b64 s[28:29], exec, s[28:29]
; %bb.12751:                            ;   in Loop: Header=BB6_11809 Depth=3
	v_cmp_lt_u64_e32 vcc, s[88:89], v[6:7]
	v_add_u32_e32 v10, 15, v32
	v_cndmask_b32_e32 v10, v11, v10, vcc
	v_cndmask_b32_e64 v11, 0, 1, vcc
	v_lshrrev_b64 v[6:7], v11, v[6:7]
; %bb.12752:                            ;   in Loop: Header=BB6_11809 Depth=3
	s_andn2_saveexec_b64 s[28:29], s[28:29]
; %bb.12753:                            ;   in Loop: Header=BB6_11809 Depth=3
	v_bfe_u32 v10, v6, 23, 1
; %bb.12754:                            ;   in Loop: Header=BB6_11809 Depth=3
	s_or_b64 exec, exec, s[28:29]
	v_lshrrev_b64 v[6:7], 21, v[6:7]
	v_cmp_gt_i32_e32 vcc, 32, v10
	v_cndmask_b32_e32 v7, 0, v7, vcc
	v_cndmask_b32_e32 v6, 3, v6, vcc
	v_cmp_ne_u64_e32 vcc, 0, v[6:7]
	v_cmp_ne_u32_e64 s[28:29], 0, v10
	s_or_b64 s[28:29], s[28:29], vcc
                                        ; implicit-def: $vgpr32
	s_and_saveexec_b64 vcc, s[28:29]
	s_xor_b64 s[28:29], exec, vcc
; %bb.12755:                            ;   in Loop: Header=BB6_11809 Depth=3
	v_min_i32_e32 v7, 31, v10
	v_lshl_or_b32 v7, v7, 2, v35
	v_and_or_b32 v32, v6, 3, v7
                                        ; implicit-def: $vgpr35
; %bb.12756:                            ;   in Loop: Header=BB6_11809 Depth=3
	s_andn2_saveexec_b64 s[28:29], s[28:29]
; %bb.12757:                            ;   in Loop: Header=BB6_11809 Depth=3
	v_mov_b32_e32 v32, v35
; %bb.12758:                            ;   in Loop: Header=BB6_11809 Depth=3
	s_or_b64 exec, exec, s[28:29]
.LBB6_12759:                            ;   in Loop: Header=BB6_11809 Depth=3
	s_or_b64 exec, exec, s[38:39]
                                        ; implicit-def: $vgpr35
.LBB6_12760:                            ;   in Loop: Header=BB6_11809 Depth=3
	s_andn2_saveexec_b64 s[28:29], s[36:37]
; %bb.12761:                            ;   in Loop: Header=BB6_11809 Depth=3
	v_or_b32_e32 v32, 0x7b, v35
; %bb.12762:                            ;   in Loop: Header=BB6_11809 Depth=3
	s_or_b64 exec, exec, s[28:29]
                                        ; implicit-def: $vgpr10
                                        ; implicit-def: $vgpr6_vgpr7
.LBB6_12763:                            ;   in Loop: Header=BB6_11809 Depth=3
	s_andn2_saveexec_b64 s[28:29], s[34:35]
	s_cbranch_execz .LBB6_12769
; %bb.12764:                            ;   in Loop: Header=BB6_11809 Depth=3
	v_cmp_ne_u64_e32 vcc, 0, v[6:7]
                                        ; implicit-def: $vgpr32
	s_and_saveexec_b64 s[34:35], vcc
	s_xor_b64 vcc, exec, s[34:35]
; %bb.12765:                            ;   in Loop: Header=BB6_11809 Depth=3
	v_or_b32_sdwa v32, v10, s83 dst_sel:DWORD dst_unused:UNUSED_PAD src0_sel:BYTE_3 src1_sel:DWORD
                                        ; implicit-def: $vgpr10
; %bb.12766:                            ;   in Loop: Header=BB6_11809 Depth=3
	s_andn2_saveexec_b64 s[34:35], vcc
; %bb.12767:                            ;   in Loop: Header=BB6_11809 Depth=3
	v_cmp_lt_i32_e32 vcc, -1, v10
	v_mov_b32_e32 v6, 0x7c
	v_cndmask_b32_e32 v32, -4, v6, vcc
; %bb.12768:                            ;   in Loop: Header=BB6_11809 Depth=3
	s_or_b64 exec, exec, s[34:35]
.LBB6_12769:                            ;   in Loop: Header=BB6_11809 Depth=3
	s_or_b64 exec, exec, s[28:29]
	buffer_load_dword v6, off, s[0:3], s33 offset:216 ; 4-byte Folded Reload
	buffer_load_dword v7, off, s[0:3], s33 offset:220 ; 4-byte Folded Reload
	s_waitcnt vmcnt(0)
	v_mov_b32_e32 v7, 0
	v_mov_b32_e32 v11, v6
	v_cmp_ne_u16_e32 vcc, 0, v11
	v_mov_b32_e32 v6, 0
	s_and_saveexec_b64 s[28:29], vcc
	s_cbranch_execz .LBB6_12777
; %bb.12770:                            ;   in Loop: Header=BB6_11809 Depth=3
	v_cmp_ne_u16_e32 vcc, s80, v11
	v_bfrev_b32_e32 v7, 1
	s_and_saveexec_b64 s[34:35], vcc
	s_cbranch_execz .LBB6_12776
; %bb.12771:                            ;   in Loop: Header=BB6_11809 Depth=3
	v_and_b32_e32 v7, 0x7c, v11
	v_and_b32_e32 v10, 3, v11
	v_cmp_ne_u32_e32 vcc, s81, v7
                                        ; implicit-def: $vgpr7
	s_and_saveexec_b64 s[36:37], vcc
	s_xor_b64 s[36:37], exec, s[36:37]
	s_cbranch_execz .LBB6_12773
; %bb.12772:                            ;   in Loop: Header=BB6_11809 Depth=3
	buffer_load_dword v48, off, s[0:3], s33 offset:216 ; 4-byte Folded Reload
	buffer_load_dword v49, off, s[0:3], s33 offset:220 ; 4-byte Folded Reload
	v_ffbh_u32_e32 v11, v10
	v_min_u32_e32 v11, 32, v11
	s_waitcnt vmcnt(0)
	v_mov_b32_e32 v49, v34
	v_subrev_u32_e32 v35, 29, v11
	v_sub_u32_e32 v11, 30, v11
	v_and_b32_e32 v7, 0xff, v48
	v_bfe_u32 v7, v7, 2, 5
	v_lshlrev_b64 v[35:36], v35, v[48:49]
	v_cmp_eq_u32_e32 vcc, 0, v7
	v_and_b32_e32 v35, 3, v35
	v_cndmask_b32_e32 v7, v7, v11, vcc
	v_and_b32_sdwa v11, sext(v48), s82 dst_sel:DWORD dst_unused:UNUSED_PAD src0_sel:WORD_0 src1_sel:DWORD
	v_cndmask_b32_e32 v10, v10, v35, vcc
	v_lshl_add_u32 v7, v7, 23, v11
	v_lshl_or_b32 v7, v10, 21, v7
	v_add_u32_e32 v7, 0x38000000, v7
                                        ; implicit-def: $vgpr11
                                        ; implicit-def: $vgpr10
	buffer_store_dword v11, off, s[0:3], s33 offset:216 ; 4-byte Folded Spill
	s_nop 0
	buffer_store_dword v12, off, s[0:3], s33 offset:220 ; 4-byte Folded Spill
.LBB6_12773:                            ;   in Loop: Header=BB6_11809 Depth=3
	s_andn2_saveexec_b64 s[36:37], s[36:37]
	s_cbranch_execz .LBB6_12775
; %bb.12774:                            ;   in Loop: Header=BB6_11809 Depth=3
	buffer_load_dword v35, off, s[0:3], s33 offset:216 ; 4-byte Folded Reload
	buffer_load_dword v36, off, s[0:3], s33 offset:220 ; 4-byte Folded Reload
	v_mov_b32_e32 v7, 0xff800000
	v_mov_b32_e32 v11, 0x7f800000
	s_waitcnt vmcnt(1)
	v_cmp_lt_i16_e32 vcc, -1, v35
	v_cndmask_b32_e32 v7, v7, v11, vcc
	v_cmp_eq_u32_e32 vcc, 0, v10
	v_mov_b32_e32 v10, 0x7f800001
	v_cndmask_b32_e32 v7, v10, v7, vcc
.LBB6_12775:                            ;   in Loop: Header=BB6_11809 Depth=3
	s_or_b64 exec, exec, s[36:37]
.LBB6_12776:                            ;   in Loop: Header=BB6_11809 Depth=3
	s_or_b64 exec, exec, s[34:35]
.LBB6_12777:                            ;   in Loop: Header=BB6_11809 Depth=3
	s_or_b64 exec, exec, s[28:29]
	buffer_load_dword v10, off, s[0:3], s33 offset:208 ; 4-byte Folded Reload
	buffer_load_dword v11, off, s[0:3], s33 offset:212 ; 4-byte Folded Reload
	s_waitcnt vmcnt(0)
	v_mov_b32_e32 v11, v10
	v_cmp_ne_u16_e32 vcc, 0, v11
	s_and_saveexec_b64 s[28:29], vcc
	s_cbranch_execz .LBB6_12785
; %bb.12778:                            ;   in Loop: Header=BB6_11809 Depth=3
	v_cmp_ne_u16_e32 vcc, s80, v11
	v_bfrev_b32_e32 v6, 1
	s_and_saveexec_b64 s[34:35], vcc
	s_cbranch_execz .LBB6_12784
; %bb.12779:                            ;   in Loop: Header=BB6_11809 Depth=3
	v_and_b32_e32 v6, 0x7c, v11
	v_and_b32_e32 v10, 3, v11
	v_cmp_ne_u32_e32 vcc, s81, v6
                                        ; implicit-def: $vgpr6
	s_and_saveexec_b64 s[36:37], vcc
	s_xor_b64 s[36:37], exec, s[36:37]
	s_cbranch_execz .LBB6_12781
; %bb.12780:                            ;   in Loop: Header=BB6_11809 Depth=3
	buffer_load_dword v48, off, s[0:3], s33 offset:208 ; 4-byte Folded Reload
	buffer_load_dword v49, off, s[0:3], s33 offset:212 ; 4-byte Folded Reload
	v_ffbh_u32_e32 v11, v10
	v_min_u32_e32 v11, 32, v11
	s_waitcnt vmcnt(0)
	v_mov_b32_e32 v49, v34
	v_subrev_u32_e32 v35, 29, v11
	v_sub_u32_e32 v11, 30, v11
	v_and_b32_e32 v6, 0xff, v48
	v_bfe_u32 v6, v6, 2, 5
	v_lshlrev_b64 v[35:36], v35, v[48:49]
	v_cmp_eq_u32_e32 vcc, 0, v6
	v_and_b32_e32 v35, 3, v35
	v_cndmask_b32_e32 v6, v6, v11, vcc
	v_and_b32_sdwa v11, sext(v48), s82 dst_sel:DWORD dst_unused:UNUSED_PAD src0_sel:WORD_0 src1_sel:DWORD
	v_cndmask_b32_e32 v10, v10, v35, vcc
	v_lshl_add_u32 v6, v6, 23, v11
	v_lshl_or_b32 v6, v10, 21, v6
	v_add_u32_e32 v6, 0x38000000, v6
                                        ; implicit-def: $vgpr11
                                        ; implicit-def: $vgpr10
	buffer_store_dword v11, off, s[0:3], s33 offset:208 ; 4-byte Folded Spill
	s_nop 0
	buffer_store_dword v12, off, s[0:3], s33 offset:212 ; 4-byte Folded Spill
.LBB6_12781:                            ;   in Loop: Header=BB6_11809 Depth=3
	s_andn2_saveexec_b64 s[36:37], s[36:37]
	s_cbranch_execz .LBB6_12783
; %bb.12782:                            ;   in Loop: Header=BB6_11809 Depth=3
	buffer_load_dword v35, off, s[0:3], s33 offset:208 ; 4-byte Folded Reload
	buffer_load_dword v36, off, s[0:3], s33 offset:212 ; 4-byte Folded Reload
	v_mov_b32_e32 v6, 0xff800000
	v_mov_b32_e32 v11, 0x7f800000
	s_waitcnt vmcnt(1)
	v_cmp_lt_i16_e32 vcc, -1, v35
	v_cndmask_b32_e32 v6, v6, v11, vcc
	v_cmp_eq_u32_e32 vcc, 0, v10
	v_mov_b32_e32 v10, 0x7f800001
	v_cndmask_b32_e32 v6, v10, v6, vcc
.LBB6_12783:                            ;   in Loop: Header=BB6_11809 Depth=3
	s_or_b64 exec, exec, s[36:37]
.LBB6_12784:                            ;   in Loop: Header=BB6_11809 Depth=3
	s_or_b64 exec, exec, s[34:35]
.LBB6_12785:                            ;   in Loop: Header=BB6_11809 Depth=3
	s_or_b64 exec, exec, s[28:29]
	v_mul_f32_e32 v10, v7, v6
	v_and_b32_e32 v35, 0x7f800000, v10
	s_waitcnt vmcnt(0)
	v_mov_b32_e32 v36, v34
	v_cmp_ne_u64_e32 vcc, s[76:77], v[35:36]
	v_and_b32_e32 v6, 0x7fffff, v10
	v_mov_b32_e32 v7, v34
                                        ; implicit-def: $vgpr35
	s_and_saveexec_b64 s[28:29], vcc
	s_xor_b64 s[34:35], exec, s[28:29]
	s_cbranch_execz .LBB6_12803
; %bb.12786:                            ;   in Loop: Header=BB6_11809 Depth=3
	v_and_b32_e32 v35, 0x7fffffff, v10
	v_mov_b32_e32 v36, v34
	v_cmp_gt_u64_e32 vcc, s[78:79], v[35:36]
	v_and_b32_sdwa v36, v10, s44 dst_sel:DWORD dst_unused:UNUSED_PAD src0_sel:BYTE_3 src1_sel:DWORD
                                        ; implicit-def: $vgpr35
	s_and_saveexec_b64 s[28:29], vcc
	s_xor_b64 s[36:37], exec, s[28:29]
	s_cbranch_execz .LBB6_12800
; %bb.12787:                            ;   in Loop: Header=BB6_11809 Depth=3
	v_cmp_ne_u32_e32 vcc, 0, v10
	v_mov_b32_e32 v35, 0
	s_and_saveexec_b64 s[38:39], vcc
	s_cbranch_execz .LBB6_12799
; %bb.12788:                            ;   in Loop: Header=BB6_11809 Depth=3
	v_bfe_u32 v35, v10, 23, 8
	v_cmp_gt_u32_e64 s[28:29], s45, v35
	v_sub_u32_e32 v10, 0x71, v35
	v_cmp_eq_u32_e32 vcc, 0, v35
	v_cndmask_b32_e64 v10, 0, v10, s[28:29]
	v_mov_b32_e32 v38, 0x70
	v_cndmask_b32_e32 v38, v10, v38, vcc
	v_or_b32_e32 v11, 0x800000, v6
	v_add_u32_e32 v10, 21, v38
	v_cndmask_b32_e32 v6, v11, v6, vcc
	v_lshlrev_b64 v[10:11], v10, -1
	v_add_u32_e32 v48, 20, v38
	v_bfi_b32 v10, v10, 0, v6
	v_lshlrev_b64 v[48:49], v48, 1
	v_lshrrev_b64 v[6:7], v38, v[6:7]
	v_bfi_b32 v11, v11, 0, 0
	v_cmp_eq_u64_e64 s[28:29], v[10:11], v[48:49]
	v_mov_b32_e32 v11, v7
	v_mov_b32_e32 v10, v6
	s_and_saveexec_b64 s[48:49], s[28:29]
; %bb.12789:                            ;   in Loop: Header=BB6_11809 Depth=3
	v_bfe_u32 v7, v6, 21, 1
	v_add_co_u32_e64 v7, s[28:29], v6, v7
	v_add_co_u32_e64 v10, s[28:29], -1, v7
; %bb.12790:                            ;   in Loop: Header=BB6_11809 Depth=3
	s_or_b64 exec, exec, s[48:49]
	v_add_u32_e32 v7, 0xffffff81, v35
	v_mov_b32_e32 v11, 0xffffff82
	v_cndmask_b32_e32 v7, v7, v11, vcc
	v_lshrrev_b32_e32 v11, 23, v6
	v_add3_u32 v35, v38, v7, v11
	v_add_u32_e32 v11, 14, v35
	v_and_b32_e32 v7, 0x1fffff, v10
	v_add_u32_e32 v6, v7, v6
	v_mov_b32_e32 v7, v34
	v_cmp_ne_u32_e32 vcc, 0, v11
                                        ; implicit-def: $vgpr10
	s_and_saveexec_b64 s[28:29], vcc
	s_xor_b64 s[28:29], exec, s[28:29]
; %bb.12791:                            ;   in Loop: Header=BB6_11809 Depth=3
	v_cmp_lt_u64_e32 vcc, s[88:89], v[6:7]
	v_add_u32_e32 v10, 15, v35
	v_cndmask_b32_e32 v10, v11, v10, vcc
	v_cndmask_b32_e64 v11, 0, 1, vcc
	v_lshrrev_b64 v[6:7], v11, v[6:7]
; %bb.12792:                            ;   in Loop: Header=BB6_11809 Depth=3
	s_andn2_saveexec_b64 s[28:29], s[28:29]
; %bb.12793:                            ;   in Loop: Header=BB6_11809 Depth=3
	v_bfe_u32 v10, v6, 23, 1
; %bb.12794:                            ;   in Loop: Header=BB6_11809 Depth=3
	s_or_b64 exec, exec, s[28:29]
	v_lshrrev_b64 v[6:7], 21, v[6:7]
	v_cmp_gt_i32_e32 vcc, 32, v10
	v_cndmask_b32_e32 v7, 0, v7, vcc
	v_cndmask_b32_e32 v6, 3, v6, vcc
	v_cmp_ne_u64_e32 vcc, 0, v[6:7]
	v_cmp_ne_u32_e64 s[28:29], 0, v10
	s_or_b64 s[28:29], s[28:29], vcc
                                        ; implicit-def: $vgpr35
	s_and_saveexec_b64 vcc, s[28:29]
	s_xor_b64 s[28:29], exec, vcc
; %bb.12795:                            ;   in Loop: Header=BB6_11809 Depth=3
	v_min_i32_e32 v7, 31, v10
	v_lshl_or_b32 v7, v7, 2, v36
	v_and_or_b32 v35, v6, 3, v7
                                        ; implicit-def: $vgpr36
; %bb.12796:                            ;   in Loop: Header=BB6_11809 Depth=3
	s_andn2_saveexec_b64 s[28:29], s[28:29]
; %bb.12797:                            ;   in Loop: Header=BB6_11809 Depth=3
	v_mov_b32_e32 v35, v36
; %bb.12798:                            ;   in Loop: Header=BB6_11809 Depth=3
	s_or_b64 exec, exec, s[28:29]
.LBB6_12799:                            ;   in Loop: Header=BB6_11809 Depth=3
	s_or_b64 exec, exec, s[38:39]
                                        ; implicit-def: $vgpr36
.LBB6_12800:                            ;   in Loop: Header=BB6_11809 Depth=3
	s_andn2_saveexec_b64 s[28:29], s[36:37]
; %bb.12801:                            ;   in Loop: Header=BB6_11809 Depth=3
	v_or_b32_e32 v35, 0x7b, v36
; %bb.12802:                            ;   in Loop: Header=BB6_11809 Depth=3
	s_or_b64 exec, exec, s[28:29]
                                        ; implicit-def: $vgpr10
                                        ; implicit-def: $vgpr6_vgpr7
.LBB6_12803:                            ;   in Loop: Header=BB6_11809 Depth=3
	s_andn2_saveexec_b64 s[28:29], s[34:35]
	s_cbranch_execz .LBB6_12809
; %bb.12804:                            ;   in Loop: Header=BB6_11809 Depth=3
	v_cmp_ne_u64_e32 vcc, 0, v[6:7]
                                        ; implicit-def: $vgpr35
	s_and_saveexec_b64 s[34:35], vcc
	s_xor_b64 vcc, exec, s[34:35]
; %bb.12805:                            ;   in Loop: Header=BB6_11809 Depth=3
	v_or_b32_sdwa v35, v10, s83 dst_sel:DWORD dst_unused:UNUSED_PAD src0_sel:BYTE_3 src1_sel:DWORD
                                        ; implicit-def: $vgpr10
; %bb.12806:                            ;   in Loop: Header=BB6_11809 Depth=3
	s_andn2_saveexec_b64 s[34:35], vcc
; %bb.12807:                            ;   in Loop: Header=BB6_11809 Depth=3
	v_cmp_lt_i32_e32 vcc, -1, v10
	v_mov_b32_e32 v6, 0x7c
	v_cndmask_b32_e32 v35, -4, v6, vcc
; %bb.12808:                            ;   in Loop: Header=BB6_11809 Depth=3
	s_or_b64 exec, exec, s[34:35]
.LBB6_12809:                            ;   in Loop: Header=BB6_11809 Depth=3
	s_or_b64 exec, exec, s[28:29]
	buffer_load_dword v6, off, s[0:3], s33 offset:200 ; 4-byte Folded Reload
	buffer_load_dword v7, off, s[0:3], s33 offset:204 ; 4-byte Folded Reload
	s_waitcnt vmcnt(0)
	v_mov_b32_e32 v7, 0
	v_mov_b32_e32 v11, v6
	v_cmp_ne_u16_e32 vcc, 0, v11
	v_mov_b32_e32 v6, 0
	s_and_saveexec_b64 s[28:29], vcc
	s_cbranch_execz .LBB6_12817
; %bb.12810:                            ;   in Loop: Header=BB6_11809 Depth=3
	v_cmp_ne_u16_e32 vcc, s80, v11
	v_bfrev_b32_e32 v7, 1
	s_and_saveexec_b64 s[34:35], vcc
	s_cbranch_execz .LBB6_12816
; %bb.12811:                            ;   in Loop: Header=BB6_11809 Depth=3
	v_and_b32_e32 v7, 0x7c, v11
	v_and_b32_e32 v10, 3, v11
	v_cmp_ne_u32_e32 vcc, s81, v7
                                        ; implicit-def: $vgpr7
	s_and_saveexec_b64 s[36:37], vcc
	s_xor_b64 s[36:37], exec, s[36:37]
	s_cbranch_execz .LBB6_12813
; %bb.12812:                            ;   in Loop: Header=BB6_11809 Depth=3
	buffer_load_dword v50, off, s[0:3], s33 offset:200 ; 4-byte Folded Reload
	buffer_load_dword v51, off, s[0:3], s33 offset:204 ; 4-byte Folded Reload
	v_ffbh_u32_e32 v11, v10
	v_min_u32_e32 v11, 32, v11
	s_waitcnt vmcnt(0)
	v_mov_b32_e32 v51, v34
	v_subrev_u32_e32 v36, 29, v11
	v_sub_u32_e32 v11, 30, v11
	v_and_b32_e32 v7, 0xff, v50
	v_bfe_u32 v7, v7, 2, 5
	v_lshlrev_b64 v[48:49], v36, v[50:51]
	v_cmp_eq_u32_e32 vcc, 0, v7
	v_and_b32_e32 v36, 3, v48
	v_cndmask_b32_e32 v7, v7, v11, vcc
	v_and_b32_sdwa v11, sext(v50), s82 dst_sel:DWORD dst_unused:UNUSED_PAD src0_sel:WORD_0 src1_sel:DWORD
	v_cndmask_b32_e32 v10, v10, v36, vcc
	v_lshl_add_u32 v7, v7, 23, v11
	v_lshl_or_b32 v7, v10, 21, v7
	v_add_u32_e32 v7, 0x38000000, v7
                                        ; implicit-def: $vgpr11
                                        ; implicit-def: $vgpr10
	buffer_store_dword v11, off, s[0:3], s33 offset:200 ; 4-byte Folded Spill
	s_nop 0
	buffer_store_dword v12, off, s[0:3], s33 offset:204 ; 4-byte Folded Spill
.LBB6_12813:                            ;   in Loop: Header=BB6_11809 Depth=3
	s_andn2_saveexec_b64 s[36:37], s[36:37]
	s_cbranch_execz .LBB6_12815
; %bb.12814:                            ;   in Loop: Header=BB6_11809 Depth=3
	buffer_load_dword v48, off, s[0:3], s33 offset:200 ; 4-byte Folded Reload
	buffer_load_dword v49, off, s[0:3], s33 offset:204 ; 4-byte Folded Reload
	v_mov_b32_e32 v7, 0xff800000
	v_mov_b32_e32 v11, 0x7f800000
	s_waitcnt vmcnt(1)
	v_cmp_lt_i16_e32 vcc, -1, v48
	v_cndmask_b32_e32 v7, v7, v11, vcc
	v_cmp_eq_u32_e32 vcc, 0, v10
	v_mov_b32_e32 v10, 0x7f800001
	v_cndmask_b32_e32 v7, v10, v7, vcc
.LBB6_12815:                            ;   in Loop: Header=BB6_11809 Depth=3
	s_or_b64 exec, exec, s[36:37]
.LBB6_12816:                            ;   in Loop: Header=BB6_11809 Depth=3
	s_or_b64 exec, exec, s[34:35]
.LBB6_12817:                            ;   in Loop: Header=BB6_11809 Depth=3
	s_or_b64 exec, exec, s[28:29]
	buffer_load_dword v10, off, s[0:3], s33 offset:192 ; 4-byte Folded Reload
	buffer_load_dword v11, off, s[0:3], s33 offset:196 ; 4-byte Folded Reload
	s_waitcnt vmcnt(0)
	v_mov_b32_e32 v11, v10
	v_cmp_ne_u16_e32 vcc, 0, v11
	s_and_saveexec_b64 s[28:29], vcc
	s_cbranch_execz .LBB6_12825
; %bb.12818:                            ;   in Loop: Header=BB6_11809 Depth=3
	v_cmp_ne_u16_e32 vcc, s80, v11
	v_bfrev_b32_e32 v6, 1
	s_and_saveexec_b64 s[34:35], vcc
	s_cbranch_execz .LBB6_12824
; %bb.12819:                            ;   in Loop: Header=BB6_11809 Depth=3
	v_and_b32_e32 v6, 0x7c, v11
	v_and_b32_e32 v10, 3, v11
	v_cmp_ne_u32_e32 vcc, s81, v6
                                        ; implicit-def: $vgpr6
	s_and_saveexec_b64 s[36:37], vcc
	s_xor_b64 s[36:37], exec, s[36:37]
	s_cbranch_execz .LBB6_12821
; %bb.12820:                            ;   in Loop: Header=BB6_11809 Depth=3
	buffer_load_dword v50, off, s[0:3], s33 offset:192 ; 4-byte Folded Reload
	buffer_load_dword v51, off, s[0:3], s33 offset:196 ; 4-byte Folded Reload
	v_ffbh_u32_e32 v11, v10
	v_min_u32_e32 v11, 32, v11
	s_waitcnt vmcnt(0)
	v_mov_b32_e32 v51, v34
	v_subrev_u32_e32 v36, 29, v11
	v_sub_u32_e32 v11, 30, v11
	v_and_b32_e32 v6, 0xff, v50
	v_bfe_u32 v6, v6, 2, 5
	v_lshlrev_b64 v[48:49], v36, v[50:51]
	v_cmp_eq_u32_e32 vcc, 0, v6
	v_and_b32_e32 v36, 3, v48
	v_cndmask_b32_e32 v6, v6, v11, vcc
	v_and_b32_sdwa v11, sext(v50), s82 dst_sel:DWORD dst_unused:UNUSED_PAD src0_sel:WORD_0 src1_sel:DWORD
	v_cndmask_b32_e32 v10, v10, v36, vcc
	v_lshl_add_u32 v6, v6, 23, v11
	v_lshl_or_b32 v6, v10, 21, v6
	v_add_u32_e32 v6, 0x38000000, v6
                                        ; implicit-def: $vgpr11
                                        ; implicit-def: $vgpr10
	buffer_store_dword v11, off, s[0:3], s33 offset:192 ; 4-byte Folded Spill
	s_nop 0
	buffer_store_dword v12, off, s[0:3], s33 offset:196 ; 4-byte Folded Spill
.LBB6_12821:                            ;   in Loop: Header=BB6_11809 Depth=3
	s_andn2_saveexec_b64 s[36:37], s[36:37]
	s_cbranch_execz .LBB6_12823
; %bb.12822:                            ;   in Loop: Header=BB6_11809 Depth=3
	buffer_load_dword v48, off, s[0:3], s33 offset:192 ; 4-byte Folded Reload
	buffer_load_dword v49, off, s[0:3], s33 offset:196 ; 4-byte Folded Reload
	v_mov_b32_e32 v6, 0xff800000
	v_mov_b32_e32 v11, 0x7f800000
	s_waitcnt vmcnt(1)
	v_cmp_lt_i16_e32 vcc, -1, v48
	v_cndmask_b32_e32 v6, v6, v11, vcc
	v_cmp_eq_u32_e32 vcc, 0, v10
	v_mov_b32_e32 v10, 0x7f800001
	v_cndmask_b32_e32 v6, v10, v6, vcc
.LBB6_12823:                            ;   in Loop: Header=BB6_11809 Depth=3
	s_or_b64 exec, exec, s[36:37]
.LBB6_12824:                            ;   in Loop: Header=BB6_11809 Depth=3
	s_or_b64 exec, exec, s[34:35]
.LBB6_12825:                            ;   in Loop: Header=BB6_11809 Depth=3
	s_or_b64 exec, exec, s[28:29]
	v_mul_f32_e32 v10, v7, v6
	v_and_b32_e32 v48, 0x7f800000, v10
	s_waitcnt vmcnt(0)
	v_mov_b32_e32 v49, v34
	v_cmp_ne_u64_e32 vcc, s[76:77], v[48:49]
	v_and_b32_e32 v6, 0x7fffff, v10
	v_mov_b32_e32 v7, v34
                                        ; implicit-def: $vgpr36
	s_and_saveexec_b64 s[28:29], vcc
	s_xor_b64 s[34:35], exec, s[28:29]
	s_cbranch_execz .LBB6_12843
; %bb.12826:                            ;   in Loop: Header=BB6_11809 Depth=3
	v_and_b32_e32 v48, 0x7fffffff, v10
	v_mov_b32_e32 v49, v34
	v_cmp_gt_u64_e32 vcc, s[78:79], v[48:49]
	v_and_b32_sdwa v38, v10, s44 dst_sel:DWORD dst_unused:UNUSED_PAD src0_sel:BYTE_3 src1_sel:DWORD
                                        ; implicit-def: $vgpr36
	s_and_saveexec_b64 s[28:29], vcc
	s_xor_b64 s[36:37], exec, s[28:29]
	s_cbranch_execz .LBB6_12840
; %bb.12827:                            ;   in Loop: Header=BB6_11809 Depth=3
	v_cmp_ne_u32_e32 vcc, 0, v10
	v_mov_b32_e32 v36, 0
	s_and_saveexec_b64 s[38:39], vcc
	s_cbranch_execz .LBB6_12839
; %bb.12828:                            ;   in Loop: Header=BB6_11809 Depth=3
	v_bfe_u32 v36, v10, 23, 8
	v_cmp_gt_u32_e64 s[28:29], s45, v36
	v_sub_u32_e32 v10, 0x71, v36
	v_cmp_eq_u32_e32 vcc, 0, v36
	v_cndmask_b32_e64 v10, 0, v10, s[28:29]
	v_mov_b32_e32 v48, 0x70
	v_cndmask_b32_e32 v48, v10, v48, vcc
	v_or_b32_e32 v11, 0x800000, v6
	v_add_u32_e32 v10, 21, v48
	v_cndmask_b32_e32 v6, v11, v6, vcc
	v_lshlrev_b64 v[10:11], v10, -1
	v_add_u32_e32 v49, 20, v48
	v_bfi_b32 v10, v10, 0, v6
	v_lshlrev_b64 v[49:50], v49, 1
	v_lshrrev_b64 v[6:7], v48, v[6:7]
	v_bfi_b32 v11, v11, 0, 0
	v_cmp_eq_u64_e64 s[28:29], v[10:11], v[49:50]
	v_mov_b32_e32 v11, v7
	v_mov_b32_e32 v10, v6
	s_and_saveexec_b64 s[48:49], s[28:29]
; %bb.12829:                            ;   in Loop: Header=BB6_11809 Depth=3
	v_bfe_u32 v7, v6, 21, 1
	v_add_co_u32_e64 v7, s[28:29], v6, v7
	v_add_co_u32_e64 v10, s[28:29], -1, v7
; %bb.12830:                            ;   in Loop: Header=BB6_11809 Depth=3
	s_or_b64 exec, exec, s[48:49]
	v_add_u32_e32 v7, 0xffffff81, v36
	v_mov_b32_e32 v11, 0xffffff82
	v_cndmask_b32_e32 v7, v7, v11, vcc
	v_lshrrev_b32_e32 v11, 23, v6
	v_add3_u32 v36, v48, v7, v11
	v_add_u32_e32 v11, 14, v36
	v_and_b32_e32 v7, 0x1fffff, v10
	v_add_u32_e32 v6, v7, v6
	v_mov_b32_e32 v7, v34
	v_cmp_ne_u32_e32 vcc, 0, v11
                                        ; implicit-def: $vgpr10
	s_and_saveexec_b64 s[28:29], vcc
	s_xor_b64 s[28:29], exec, s[28:29]
; %bb.12831:                            ;   in Loop: Header=BB6_11809 Depth=3
	v_cmp_lt_u64_e32 vcc, s[88:89], v[6:7]
	v_add_u32_e32 v10, 15, v36
	v_cndmask_b32_e32 v10, v11, v10, vcc
	v_cndmask_b32_e64 v11, 0, 1, vcc
	v_lshrrev_b64 v[6:7], v11, v[6:7]
; %bb.12832:                            ;   in Loop: Header=BB6_11809 Depth=3
	s_andn2_saveexec_b64 s[28:29], s[28:29]
; %bb.12833:                            ;   in Loop: Header=BB6_11809 Depth=3
	v_bfe_u32 v10, v6, 23, 1
; %bb.12834:                            ;   in Loop: Header=BB6_11809 Depth=3
	s_or_b64 exec, exec, s[28:29]
	v_lshrrev_b64 v[6:7], 21, v[6:7]
	v_cmp_gt_i32_e32 vcc, 32, v10
	v_cndmask_b32_e32 v7, 0, v7, vcc
	v_cndmask_b32_e32 v6, 3, v6, vcc
	v_cmp_ne_u64_e32 vcc, 0, v[6:7]
	v_cmp_ne_u32_e64 s[28:29], 0, v10
	s_or_b64 s[28:29], s[28:29], vcc
                                        ; implicit-def: $vgpr36
	s_and_saveexec_b64 vcc, s[28:29]
	s_xor_b64 s[28:29], exec, vcc
; %bb.12835:                            ;   in Loop: Header=BB6_11809 Depth=3
	v_min_i32_e32 v7, 31, v10
	v_lshl_or_b32 v7, v7, 2, v38
	v_and_or_b32 v36, v6, 3, v7
                                        ; implicit-def: $vgpr38
; %bb.12836:                            ;   in Loop: Header=BB6_11809 Depth=3
	s_andn2_saveexec_b64 s[28:29], s[28:29]
; %bb.12837:                            ;   in Loop: Header=BB6_11809 Depth=3
	v_mov_b32_e32 v36, v38
; %bb.12838:                            ;   in Loop: Header=BB6_11809 Depth=3
	s_or_b64 exec, exec, s[28:29]
.LBB6_12839:                            ;   in Loop: Header=BB6_11809 Depth=3
	s_or_b64 exec, exec, s[38:39]
                                        ; implicit-def: $vgpr38
.LBB6_12840:                            ;   in Loop: Header=BB6_11809 Depth=3
	s_andn2_saveexec_b64 s[28:29], s[36:37]
; %bb.12841:                            ;   in Loop: Header=BB6_11809 Depth=3
	v_or_b32_e32 v36, 0x7b, v38
; %bb.12842:                            ;   in Loop: Header=BB6_11809 Depth=3
	s_or_b64 exec, exec, s[28:29]
                                        ; implicit-def: $vgpr10
                                        ; implicit-def: $vgpr6_vgpr7
.LBB6_12843:                            ;   in Loop: Header=BB6_11809 Depth=3
	s_andn2_saveexec_b64 s[28:29], s[34:35]
	s_cbranch_execz .LBB6_12849
; %bb.12844:                            ;   in Loop: Header=BB6_11809 Depth=3
	v_cmp_ne_u64_e32 vcc, 0, v[6:7]
                                        ; implicit-def: $vgpr36
	s_and_saveexec_b64 s[34:35], vcc
	s_xor_b64 vcc, exec, s[34:35]
; %bb.12845:                            ;   in Loop: Header=BB6_11809 Depth=3
	v_or_b32_sdwa v36, v10, s83 dst_sel:DWORD dst_unused:UNUSED_PAD src0_sel:BYTE_3 src1_sel:DWORD
                                        ; implicit-def: $vgpr10
; %bb.12846:                            ;   in Loop: Header=BB6_11809 Depth=3
	s_andn2_saveexec_b64 s[34:35], vcc
; %bb.12847:                            ;   in Loop: Header=BB6_11809 Depth=3
	v_cmp_lt_i32_e32 vcc, -1, v10
	v_mov_b32_e32 v6, 0x7c
	v_cndmask_b32_e32 v36, -4, v6, vcc
; %bb.12848:                            ;   in Loop: Header=BB6_11809 Depth=3
	s_or_b64 exec, exec, s[34:35]
.LBB6_12849:                            ;   in Loop: Header=BB6_11809 Depth=3
	s_or_b64 exec, exec, s[28:29]
	buffer_load_dword v6, off, s[0:3], s33 offset:184 ; 4-byte Folded Reload
	buffer_load_dword v7, off, s[0:3], s33 offset:188 ; 4-byte Folded Reload
	s_waitcnt vmcnt(0)
	v_mov_b32_e32 v7, 0
	v_mov_b32_e32 v11, v6
	v_cmp_ne_u16_e32 vcc, 0, v11
	v_mov_b32_e32 v6, 0
	s_and_saveexec_b64 s[28:29], vcc
	s_cbranch_execz .LBB6_12857
; %bb.12850:                            ;   in Loop: Header=BB6_11809 Depth=3
	v_cmp_ne_u16_e32 vcc, s80, v11
	v_bfrev_b32_e32 v7, 1
	s_and_saveexec_b64 s[34:35], vcc
	s_cbranch_execz .LBB6_12856
; %bb.12851:                            ;   in Loop: Header=BB6_11809 Depth=3
	v_and_b32_e32 v7, 0x7c, v11
	v_and_b32_e32 v10, 3, v11
	v_cmp_ne_u32_e32 vcc, s81, v7
                                        ; implicit-def: $vgpr7
	s_and_saveexec_b64 s[36:37], vcc
	s_xor_b64 s[36:37], exec, s[36:37]
	s_cbranch_execz .LBB6_12853
; %bb.12852:                            ;   in Loop: Header=BB6_11809 Depth=3
	buffer_load_dword v50, off, s[0:3], s33 offset:184 ; 4-byte Folded Reload
	buffer_load_dword v51, off, s[0:3], s33 offset:188 ; 4-byte Folded Reload
	v_ffbh_u32_e32 v11, v10
	v_min_u32_e32 v11, 32, v11
	s_waitcnt vmcnt(0)
	v_mov_b32_e32 v51, v34
	v_subrev_u32_e32 v38, 29, v11
	v_sub_u32_e32 v11, 30, v11
	v_and_b32_e32 v7, 0xff, v50
	v_bfe_u32 v7, v7, 2, 5
	v_lshlrev_b64 v[48:49], v38, v[50:51]
	v_cmp_eq_u32_e32 vcc, 0, v7
	v_and_b32_e32 v38, 3, v48
	v_cndmask_b32_e32 v7, v7, v11, vcc
	v_and_b32_sdwa v11, sext(v50), s82 dst_sel:DWORD dst_unused:UNUSED_PAD src0_sel:WORD_0 src1_sel:DWORD
	v_cndmask_b32_e32 v10, v10, v38, vcc
	v_lshl_add_u32 v7, v7, 23, v11
	v_lshl_or_b32 v7, v10, 21, v7
	v_add_u32_e32 v7, 0x38000000, v7
                                        ; implicit-def: $vgpr11
                                        ; implicit-def: $vgpr10
	buffer_store_dword v11, off, s[0:3], s33 offset:184 ; 4-byte Folded Spill
	s_nop 0
	buffer_store_dword v12, off, s[0:3], s33 offset:188 ; 4-byte Folded Spill
.LBB6_12853:                            ;   in Loop: Header=BB6_11809 Depth=3
	s_andn2_saveexec_b64 s[36:37], s[36:37]
	s_cbranch_execz .LBB6_12855
; %bb.12854:                            ;   in Loop: Header=BB6_11809 Depth=3
	buffer_load_dword v48, off, s[0:3], s33 offset:184 ; 4-byte Folded Reload
	buffer_load_dword v49, off, s[0:3], s33 offset:188 ; 4-byte Folded Reload
	v_mov_b32_e32 v7, 0xff800000
	v_mov_b32_e32 v11, 0x7f800000
	s_waitcnt vmcnt(1)
	v_cmp_lt_i16_e32 vcc, -1, v48
	v_cndmask_b32_e32 v7, v7, v11, vcc
	v_cmp_eq_u32_e32 vcc, 0, v10
	v_mov_b32_e32 v10, 0x7f800001
	v_cndmask_b32_e32 v7, v10, v7, vcc
.LBB6_12855:                            ;   in Loop: Header=BB6_11809 Depth=3
	s_or_b64 exec, exec, s[36:37]
.LBB6_12856:                            ;   in Loop: Header=BB6_11809 Depth=3
	s_or_b64 exec, exec, s[34:35]
.LBB6_12857:                            ;   in Loop: Header=BB6_11809 Depth=3
	s_or_b64 exec, exec, s[28:29]
	buffer_load_dword v10, off, s[0:3], s33 offset:176 ; 4-byte Folded Reload
	buffer_load_dword v11, off, s[0:3], s33 offset:180 ; 4-byte Folded Reload
	s_waitcnt vmcnt(0)
	v_mov_b32_e32 v11, v10
	v_cmp_ne_u16_e32 vcc, 0, v11
	s_and_saveexec_b64 s[28:29], vcc
	s_cbranch_execz .LBB6_12865
; %bb.12858:                            ;   in Loop: Header=BB6_11809 Depth=3
	v_cmp_ne_u16_e32 vcc, s80, v11
	v_bfrev_b32_e32 v6, 1
	s_and_saveexec_b64 s[34:35], vcc
	s_cbranch_execz .LBB6_12864
; %bb.12859:                            ;   in Loop: Header=BB6_11809 Depth=3
	v_and_b32_e32 v6, 0x7c, v11
	v_and_b32_e32 v10, 3, v11
	v_cmp_ne_u32_e32 vcc, s81, v6
                                        ; implicit-def: $vgpr6
	s_and_saveexec_b64 s[36:37], vcc
	s_xor_b64 s[36:37], exec, s[36:37]
	s_cbranch_execz .LBB6_12861
; %bb.12860:                            ;   in Loop: Header=BB6_11809 Depth=3
	buffer_load_dword v50, off, s[0:3], s33 offset:176 ; 4-byte Folded Reload
	buffer_load_dword v51, off, s[0:3], s33 offset:180 ; 4-byte Folded Reload
	v_ffbh_u32_e32 v11, v10
	v_min_u32_e32 v11, 32, v11
	s_waitcnt vmcnt(0)
	v_mov_b32_e32 v51, v34
	v_subrev_u32_e32 v38, 29, v11
	v_sub_u32_e32 v11, 30, v11
	v_and_b32_e32 v6, 0xff, v50
	v_bfe_u32 v6, v6, 2, 5
	v_lshlrev_b64 v[48:49], v38, v[50:51]
	v_cmp_eq_u32_e32 vcc, 0, v6
	v_and_b32_e32 v38, 3, v48
	v_cndmask_b32_e32 v6, v6, v11, vcc
	v_and_b32_sdwa v11, sext(v50), s82 dst_sel:DWORD dst_unused:UNUSED_PAD src0_sel:WORD_0 src1_sel:DWORD
	v_cndmask_b32_e32 v10, v10, v38, vcc
	v_lshl_add_u32 v6, v6, 23, v11
	v_lshl_or_b32 v6, v10, 21, v6
	v_add_u32_e32 v6, 0x38000000, v6
                                        ; implicit-def: $vgpr11
                                        ; implicit-def: $vgpr10
	buffer_store_dword v11, off, s[0:3], s33 offset:176 ; 4-byte Folded Spill
	s_nop 0
	buffer_store_dword v12, off, s[0:3], s33 offset:180 ; 4-byte Folded Spill
.LBB6_12861:                            ;   in Loop: Header=BB6_11809 Depth=3
	s_andn2_saveexec_b64 s[36:37], s[36:37]
	s_cbranch_execz .LBB6_12863
; %bb.12862:                            ;   in Loop: Header=BB6_11809 Depth=3
	buffer_load_dword v48, off, s[0:3], s33 offset:176 ; 4-byte Folded Reload
	buffer_load_dword v49, off, s[0:3], s33 offset:180 ; 4-byte Folded Reload
	v_mov_b32_e32 v6, 0xff800000
	v_mov_b32_e32 v11, 0x7f800000
	s_waitcnt vmcnt(1)
	v_cmp_lt_i16_e32 vcc, -1, v48
	v_cndmask_b32_e32 v6, v6, v11, vcc
	v_cmp_eq_u32_e32 vcc, 0, v10
	v_mov_b32_e32 v10, 0x7f800001
	v_cndmask_b32_e32 v6, v10, v6, vcc
.LBB6_12863:                            ;   in Loop: Header=BB6_11809 Depth=3
	s_or_b64 exec, exec, s[36:37]
.LBB6_12864:                            ;   in Loop: Header=BB6_11809 Depth=3
	s_or_b64 exec, exec, s[34:35]
.LBB6_12865:                            ;   in Loop: Header=BB6_11809 Depth=3
	s_or_b64 exec, exec, s[28:29]
	v_mul_f32_e32 v10, v7, v6
	v_and_b32_e32 v48, 0x7f800000, v10
	s_waitcnt vmcnt(0)
	v_mov_b32_e32 v49, v34
	v_cmp_ne_u64_e32 vcc, s[76:77], v[48:49]
	v_and_b32_e32 v6, 0x7fffff, v10
	v_mov_b32_e32 v7, v34
                                        ; implicit-def: $vgpr38
	s_and_saveexec_b64 s[28:29], vcc
	s_xor_b64 s[34:35], exec, s[28:29]
	s_cbranch_execz .LBB6_12883
; %bb.12866:                            ;   in Loop: Header=BB6_11809 Depth=3
	v_and_b32_e32 v48, 0x7fffffff, v10
	v_mov_b32_e32 v49, v34
	v_cmp_gt_u64_e32 vcc, s[78:79], v[48:49]
	v_and_b32_sdwa v48, v10, s44 dst_sel:DWORD dst_unused:UNUSED_PAD src0_sel:BYTE_3 src1_sel:DWORD
                                        ; implicit-def: $vgpr38
	s_and_saveexec_b64 s[28:29], vcc
	s_xor_b64 s[36:37], exec, s[28:29]
	s_cbranch_execz .LBB6_12880
; %bb.12867:                            ;   in Loop: Header=BB6_11809 Depth=3
	v_cmp_ne_u32_e32 vcc, 0, v10
	v_mov_b32_e32 v38, 0
	s_and_saveexec_b64 s[38:39], vcc
	s_cbranch_execz .LBB6_12879
; %bb.12868:                            ;   in Loop: Header=BB6_11809 Depth=3
	v_bfe_u32 v38, v10, 23, 8
	v_cmp_gt_u32_e64 s[28:29], s45, v38
	v_sub_u32_e32 v10, 0x71, v38
	v_cmp_eq_u32_e32 vcc, 0, v38
	v_cndmask_b32_e64 v10, 0, v10, s[28:29]
	v_mov_b32_e32 v49, 0x70
	v_cndmask_b32_e32 v49, v10, v49, vcc
	v_or_b32_e32 v11, 0x800000, v6
	v_add_u32_e32 v10, 21, v49
	v_cndmask_b32_e32 v6, v11, v6, vcc
	v_lshlrev_b64 v[10:11], v10, -1
	v_add_u32_e32 v50, 20, v49
	v_bfi_b32 v10, v10, 0, v6
	v_lshlrev_b64 v[50:51], v50, 1
	v_lshrrev_b64 v[6:7], v49, v[6:7]
	v_bfi_b32 v11, v11, 0, 0
	v_cmp_eq_u64_e64 s[28:29], v[10:11], v[50:51]
	v_mov_b32_e32 v11, v7
	v_mov_b32_e32 v10, v6
	s_and_saveexec_b64 s[48:49], s[28:29]
; %bb.12869:                            ;   in Loop: Header=BB6_11809 Depth=3
	v_bfe_u32 v7, v6, 21, 1
	v_add_co_u32_e64 v7, s[28:29], v6, v7
	v_add_co_u32_e64 v10, s[28:29], -1, v7
; %bb.12870:                            ;   in Loop: Header=BB6_11809 Depth=3
	s_or_b64 exec, exec, s[48:49]
	v_add_u32_e32 v7, 0xffffff81, v38
	v_mov_b32_e32 v11, 0xffffff82
	v_cndmask_b32_e32 v7, v7, v11, vcc
	v_lshrrev_b32_e32 v11, 23, v6
	v_add3_u32 v38, v49, v7, v11
	v_add_u32_e32 v11, 14, v38
	v_and_b32_e32 v7, 0x1fffff, v10
	v_add_u32_e32 v6, v7, v6
	v_mov_b32_e32 v7, v34
	v_cmp_ne_u32_e32 vcc, 0, v11
                                        ; implicit-def: $vgpr10
	s_and_saveexec_b64 s[28:29], vcc
	s_xor_b64 s[28:29], exec, s[28:29]
; %bb.12871:                            ;   in Loop: Header=BB6_11809 Depth=3
	v_cmp_lt_u64_e32 vcc, s[88:89], v[6:7]
	v_add_u32_e32 v10, 15, v38
	v_cndmask_b32_e32 v10, v11, v10, vcc
	v_cndmask_b32_e64 v11, 0, 1, vcc
	v_lshrrev_b64 v[6:7], v11, v[6:7]
; %bb.12872:                            ;   in Loop: Header=BB6_11809 Depth=3
	s_andn2_saveexec_b64 s[28:29], s[28:29]
; %bb.12873:                            ;   in Loop: Header=BB6_11809 Depth=3
	v_bfe_u32 v10, v6, 23, 1
; %bb.12874:                            ;   in Loop: Header=BB6_11809 Depth=3
	s_or_b64 exec, exec, s[28:29]
	v_lshrrev_b64 v[6:7], 21, v[6:7]
	v_cmp_gt_i32_e32 vcc, 32, v10
	v_cndmask_b32_e32 v7, 0, v7, vcc
	v_cndmask_b32_e32 v6, 3, v6, vcc
	v_cmp_ne_u64_e32 vcc, 0, v[6:7]
	v_cmp_ne_u32_e64 s[28:29], 0, v10
	s_or_b64 s[28:29], s[28:29], vcc
                                        ; implicit-def: $vgpr38
	s_and_saveexec_b64 vcc, s[28:29]
	s_xor_b64 s[28:29], exec, vcc
; %bb.12875:                            ;   in Loop: Header=BB6_11809 Depth=3
	v_min_i32_e32 v7, 31, v10
	v_lshl_or_b32 v7, v7, 2, v48
	v_and_or_b32 v38, v6, 3, v7
                                        ; implicit-def: $vgpr48
; %bb.12876:                            ;   in Loop: Header=BB6_11809 Depth=3
	s_andn2_saveexec_b64 s[28:29], s[28:29]
; %bb.12877:                            ;   in Loop: Header=BB6_11809 Depth=3
	v_mov_b32_e32 v38, v48
; %bb.12878:                            ;   in Loop: Header=BB6_11809 Depth=3
	s_or_b64 exec, exec, s[28:29]
.LBB6_12879:                            ;   in Loop: Header=BB6_11809 Depth=3
	s_or_b64 exec, exec, s[38:39]
                                        ; implicit-def: $vgpr48
.LBB6_12880:                            ;   in Loop: Header=BB6_11809 Depth=3
	s_andn2_saveexec_b64 s[28:29], s[36:37]
; %bb.12881:                            ;   in Loop: Header=BB6_11809 Depth=3
	v_or_b32_e32 v38, 0x7b, v48
; %bb.12882:                            ;   in Loop: Header=BB6_11809 Depth=3
	s_or_b64 exec, exec, s[28:29]
                                        ; implicit-def: $vgpr10
                                        ; implicit-def: $vgpr6_vgpr7
.LBB6_12883:                            ;   in Loop: Header=BB6_11809 Depth=3
	s_andn2_saveexec_b64 s[28:29], s[34:35]
	s_cbranch_execz .LBB6_12889
; %bb.12884:                            ;   in Loop: Header=BB6_11809 Depth=3
	v_cmp_ne_u64_e32 vcc, 0, v[6:7]
                                        ; implicit-def: $vgpr38
	s_and_saveexec_b64 s[34:35], vcc
	s_xor_b64 vcc, exec, s[34:35]
; %bb.12885:                            ;   in Loop: Header=BB6_11809 Depth=3
	v_or_b32_sdwa v38, v10, s83 dst_sel:DWORD dst_unused:UNUSED_PAD src0_sel:BYTE_3 src1_sel:DWORD
                                        ; implicit-def: $vgpr10
; %bb.12886:                            ;   in Loop: Header=BB6_11809 Depth=3
	s_andn2_saveexec_b64 s[34:35], vcc
; %bb.12887:                            ;   in Loop: Header=BB6_11809 Depth=3
	v_cmp_lt_i32_e32 vcc, -1, v10
	v_mov_b32_e32 v6, 0x7c
	v_cndmask_b32_e32 v38, -4, v6, vcc
; %bb.12888:                            ;   in Loop: Header=BB6_11809 Depth=3
	s_or_b64 exec, exec, s[34:35]
.LBB6_12889:                            ;   in Loop: Header=BB6_11809 Depth=3
	s_or_b64 exec, exec, s[28:29]
	buffer_load_dword v6, off, s[0:3], s33 offset:168 ; 4-byte Folded Reload
	buffer_load_dword v7, off, s[0:3], s33 offset:172 ; 4-byte Folded Reload
	s_waitcnt vmcnt(0)
	v_mov_b32_e32 v7, 0
	v_mov_b32_e32 v11, v6
	v_cmp_ne_u16_e32 vcc, 0, v11
	v_mov_b32_e32 v6, 0
	s_and_saveexec_b64 s[28:29], vcc
	s_cbranch_execz .LBB6_12897
; %bb.12890:                            ;   in Loop: Header=BB6_11809 Depth=3
	v_cmp_ne_u16_e32 vcc, s80, v11
	v_bfrev_b32_e32 v7, 1
	s_and_saveexec_b64 s[34:35], vcc
	s_cbranch_execz .LBB6_12896
; %bb.12891:                            ;   in Loop: Header=BB6_11809 Depth=3
	v_and_b32_e32 v7, 0x7c, v11
	v_and_b32_e32 v10, 3, v11
	v_cmp_ne_u32_e32 vcc, s81, v7
                                        ; implicit-def: $vgpr7
	s_and_saveexec_b64 s[36:37], vcc
	s_xor_b64 s[36:37], exec, s[36:37]
	s_cbranch_execz .LBB6_12893
; %bb.12892:                            ;   in Loop: Header=BB6_11809 Depth=3
	buffer_load_dword v50, off, s[0:3], s33 offset:168 ; 4-byte Folded Reload
	buffer_load_dword v51, off, s[0:3], s33 offset:172 ; 4-byte Folded Reload
	v_ffbh_u32_e32 v11, v10
	v_min_u32_e32 v11, 32, v11
	s_waitcnt vmcnt(0)
	v_mov_b32_e32 v51, v34
	v_subrev_u32_e32 v48, 29, v11
	v_sub_u32_e32 v11, 30, v11
	v_and_b32_e32 v7, 0xff, v50
	v_bfe_u32 v7, v7, 2, 5
	v_lshlrev_b64 v[48:49], v48, v[50:51]
	v_cmp_eq_u32_e32 vcc, 0, v7
	v_and_b32_e32 v48, 3, v48
	v_cndmask_b32_e32 v7, v7, v11, vcc
	v_and_b32_sdwa v11, sext(v50), s82 dst_sel:DWORD dst_unused:UNUSED_PAD src0_sel:WORD_0 src1_sel:DWORD
	v_cndmask_b32_e32 v10, v10, v48, vcc
	v_lshl_add_u32 v7, v7, 23, v11
	v_lshl_or_b32 v7, v10, 21, v7
	v_add_u32_e32 v7, 0x38000000, v7
                                        ; implicit-def: $vgpr11
                                        ; implicit-def: $vgpr10
	buffer_store_dword v11, off, s[0:3], s33 offset:168 ; 4-byte Folded Spill
	s_nop 0
	buffer_store_dword v12, off, s[0:3], s33 offset:172 ; 4-byte Folded Spill
.LBB6_12893:                            ;   in Loop: Header=BB6_11809 Depth=3
	s_andn2_saveexec_b64 s[36:37], s[36:37]
	s_cbranch_execz .LBB6_12895
; %bb.12894:                            ;   in Loop: Header=BB6_11809 Depth=3
	buffer_load_dword v48, off, s[0:3], s33 offset:168 ; 4-byte Folded Reload
	buffer_load_dword v49, off, s[0:3], s33 offset:172 ; 4-byte Folded Reload
	v_mov_b32_e32 v7, 0xff800000
	v_mov_b32_e32 v11, 0x7f800000
	s_waitcnt vmcnt(1)
	v_cmp_lt_i16_e32 vcc, -1, v48
	v_cndmask_b32_e32 v7, v7, v11, vcc
	v_cmp_eq_u32_e32 vcc, 0, v10
	v_mov_b32_e32 v10, 0x7f800001
	v_cndmask_b32_e32 v7, v10, v7, vcc
.LBB6_12895:                            ;   in Loop: Header=BB6_11809 Depth=3
	s_or_b64 exec, exec, s[36:37]
.LBB6_12896:                            ;   in Loop: Header=BB6_11809 Depth=3
	s_or_b64 exec, exec, s[34:35]
.LBB6_12897:                            ;   in Loop: Header=BB6_11809 Depth=3
	s_or_b64 exec, exec, s[28:29]
	buffer_load_dword v10, off, s[0:3], s33 offset:160 ; 4-byte Folded Reload
	buffer_load_dword v11, off, s[0:3], s33 offset:164 ; 4-byte Folded Reload
	s_waitcnt vmcnt(0)
	v_mov_b32_e32 v11, v10
	v_cmp_ne_u16_e32 vcc, 0, v11
	s_and_saveexec_b64 s[28:29], vcc
	s_cbranch_execz .LBB6_12905
; %bb.12898:                            ;   in Loop: Header=BB6_11809 Depth=3
	v_cmp_ne_u16_e32 vcc, s80, v11
	v_bfrev_b32_e32 v6, 1
	s_and_saveexec_b64 s[34:35], vcc
	s_cbranch_execz .LBB6_12904
; %bb.12899:                            ;   in Loop: Header=BB6_11809 Depth=3
	v_and_b32_e32 v6, 0x7c, v11
	v_and_b32_e32 v10, 3, v11
	v_cmp_ne_u32_e32 vcc, s81, v6
                                        ; implicit-def: $vgpr6
	s_and_saveexec_b64 s[36:37], vcc
	s_xor_b64 s[36:37], exec, s[36:37]
	s_cbranch_execz .LBB6_12901
; %bb.12900:                            ;   in Loop: Header=BB6_11809 Depth=3
	buffer_load_dword v50, off, s[0:3], s33 offset:160 ; 4-byte Folded Reload
	buffer_load_dword v51, off, s[0:3], s33 offset:164 ; 4-byte Folded Reload
	v_ffbh_u32_e32 v11, v10
	v_min_u32_e32 v11, 32, v11
	s_waitcnt vmcnt(0)
	v_mov_b32_e32 v51, v34
	v_subrev_u32_e32 v48, 29, v11
	v_sub_u32_e32 v11, 30, v11
	v_and_b32_e32 v6, 0xff, v50
	v_bfe_u32 v6, v6, 2, 5
	v_lshlrev_b64 v[48:49], v48, v[50:51]
	v_cmp_eq_u32_e32 vcc, 0, v6
	v_and_b32_e32 v48, 3, v48
	v_cndmask_b32_e32 v6, v6, v11, vcc
	v_and_b32_sdwa v11, sext(v50), s82 dst_sel:DWORD dst_unused:UNUSED_PAD src0_sel:WORD_0 src1_sel:DWORD
	v_cndmask_b32_e32 v10, v10, v48, vcc
	v_lshl_add_u32 v6, v6, 23, v11
	v_lshl_or_b32 v6, v10, 21, v6
	v_add_u32_e32 v6, 0x38000000, v6
                                        ; implicit-def: $vgpr11
                                        ; implicit-def: $vgpr10
	buffer_store_dword v11, off, s[0:3], s33 offset:160 ; 4-byte Folded Spill
	s_nop 0
	buffer_store_dword v12, off, s[0:3], s33 offset:164 ; 4-byte Folded Spill
.LBB6_12901:                            ;   in Loop: Header=BB6_11809 Depth=3
	s_andn2_saveexec_b64 s[36:37], s[36:37]
	s_cbranch_execz .LBB6_12903
; %bb.12902:                            ;   in Loop: Header=BB6_11809 Depth=3
	buffer_load_dword v48, off, s[0:3], s33 offset:160 ; 4-byte Folded Reload
	buffer_load_dword v49, off, s[0:3], s33 offset:164 ; 4-byte Folded Reload
	v_mov_b32_e32 v6, 0xff800000
	v_mov_b32_e32 v11, 0x7f800000
	s_waitcnt vmcnt(1)
	v_cmp_lt_i16_e32 vcc, -1, v48
	v_cndmask_b32_e32 v6, v6, v11, vcc
	v_cmp_eq_u32_e32 vcc, 0, v10
	v_mov_b32_e32 v10, 0x7f800001
	v_cndmask_b32_e32 v6, v10, v6, vcc
.LBB6_12903:                            ;   in Loop: Header=BB6_11809 Depth=3
	s_or_b64 exec, exec, s[36:37]
.LBB6_12904:                            ;   in Loop: Header=BB6_11809 Depth=3
	s_or_b64 exec, exec, s[34:35]
.LBB6_12905:                            ;   in Loop: Header=BB6_11809 Depth=3
	s_or_b64 exec, exec, s[28:29]
	v_mul_f32_e32 v10, v7, v6
	v_and_b32_e32 v48, 0x7f800000, v10
	s_waitcnt vmcnt(0)
	v_mov_b32_e32 v49, v34
	v_cmp_ne_u64_e32 vcc, s[76:77], v[48:49]
	v_and_b32_e32 v6, 0x7fffff, v10
	v_mov_b32_e32 v7, v34
                                        ; implicit-def: $vgpr48
	s_and_saveexec_b64 s[28:29], vcc
	s_xor_b64 s[34:35], exec, s[28:29]
	s_cbranch_execz .LBB6_12923
; %bb.12906:                            ;   in Loop: Header=BB6_11809 Depth=3
	v_and_b32_e32 v48, 0x7fffffff, v10
	v_mov_b32_e32 v49, v34
	v_cmp_gt_u64_e32 vcc, s[78:79], v[48:49]
	v_and_b32_sdwa v49, v10, s44 dst_sel:DWORD dst_unused:UNUSED_PAD src0_sel:BYTE_3 src1_sel:DWORD
                                        ; implicit-def: $vgpr48
	s_and_saveexec_b64 s[28:29], vcc
	s_xor_b64 s[36:37], exec, s[28:29]
	s_cbranch_execz .LBB6_12920
; %bb.12907:                            ;   in Loop: Header=BB6_11809 Depth=3
	v_cmp_ne_u32_e32 vcc, 0, v10
	v_mov_b32_e32 v48, 0
	s_and_saveexec_b64 s[38:39], vcc
	s_cbranch_execz .LBB6_12919
; %bb.12908:                            ;   in Loop: Header=BB6_11809 Depth=3
	v_bfe_u32 v48, v10, 23, 8
	v_cmp_gt_u32_e64 s[28:29], s45, v48
	v_sub_u32_e32 v10, 0x71, v48
	v_cmp_eq_u32_e32 vcc, 0, v48
	v_cndmask_b32_e64 v10, 0, v10, s[28:29]
	v_mov_b32_e32 v50, 0x70
	v_cndmask_b32_e32 v50, v10, v50, vcc
	v_or_b32_e32 v11, 0x800000, v6
	v_add_u32_e32 v10, 21, v50
	v_cndmask_b32_e32 v6, v11, v6, vcc
	v_lshlrev_b64 v[10:11], v10, -1
	v_add_u32_e32 v51, 20, v50
	v_bfi_b32 v10, v10, 0, v6
	v_lshlrev_b64 v[51:52], v51, 1
	v_lshrrev_b64 v[6:7], v50, v[6:7]
	v_bfi_b32 v11, v11, 0, 0
	v_cmp_eq_u64_e64 s[28:29], v[10:11], v[51:52]
	v_mov_b32_e32 v11, v7
	v_mov_b32_e32 v10, v6
	s_and_saveexec_b64 s[48:49], s[28:29]
; %bb.12909:                            ;   in Loop: Header=BB6_11809 Depth=3
	v_bfe_u32 v7, v6, 21, 1
	v_add_co_u32_e64 v7, s[28:29], v6, v7
	v_add_co_u32_e64 v10, s[28:29], -1, v7
; %bb.12910:                            ;   in Loop: Header=BB6_11809 Depth=3
	s_or_b64 exec, exec, s[48:49]
	v_add_u32_e32 v7, 0xffffff81, v48
	v_mov_b32_e32 v11, 0xffffff82
	v_cndmask_b32_e32 v7, v7, v11, vcc
	v_lshrrev_b32_e32 v11, 23, v6
	v_add3_u32 v48, v50, v7, v11
	v_add_u32_e32 v11, 14, v48
	v_and_b32_e32 v7, 0x1fffff, v10
	v_add_u32_e32 v6, v7, v6
	v_mov_b32_e32 v7, v34
	v_cmp_ne_u32_e32 vcc, 0, v11
                                        ; implicit-def: $vgpr10
	s_and_saveexec_b64 s[28:29], vcc
	s_xor_b64 s[28:29], exec, s[28:29]
; %bb.12911:                            ;   in Loop: Header=BB6_11809 Depth=3
	v_cmp_lt_u64_e32 vcc, s[88:89], v[6:7]
	v_add_u32_e32 v10, 15, v48
	v_cndmask_b32_e32 v10, v11, v10, vcc
	v_cndmask_b32_e64 v11, 0, 1, vcc
	v_lshrrev_b64 v[6:7], v11, v[6:7]
; %bb.12912:                            ;   in Loop: Header=BB6_11809 Depth=3
	s_andn2_saveexec_b64 s[28:29], s[28:29]
; %bb.12913:                            ;   in Loop: Header=BB6_11809 Depth=3
	v_bfe_u32 v10, v6, 23, 1
; %bb.12914:                            ;   in Loop: Header=BB6_11809 Depth=3
	s_or_b64 exec, exec, s[28:29]
	v_lshrrev_b64 v[6:7], 21, v[6:7]
	v_cmp_gt_i32_e32 vcc, 32, v10
	v_cndmask_b32_e32 v7, 0, v7, vcc
	v_cndmask_b32_e32 v6, 3, v6, vcc
	v_cmp_ne_u64_e32 vcc, 0, v[6:7]
	v_cmp_ne_u32_e64 s[28:29], 0, v10
	s_or_b64 s[28:29], s[28:29], vcc
                                        ; implicit-def: $vgpr48
	s_and_saveexec_b64 vcc, s[28:29]
	s_xor_b64 s[28:29], exec, vcc
; %bb.12915:                            ;   in Loop: Header=BB6_11809 Depth=3
	v_min_i32_e32 v7, 31, v10
	v_lshl_or_b32 v7, v7, 2, v49
	v_and_or_b32 v48, v6, 3, v7
                                        ; implicit-def: $vgpr49
; %bb.12916:                            ;   in Loop: Header=BB6_11809 Depth=3
	s_andn2_saveexec_b64 s[28:29], s[28:29]
; %bb.12917:                            ;   in Loop: Header=BB6_11809 Depth=3
	v_mov_b32_e32 v48, v49
; %bb.12918:                            ;   in Loop: Header=BB6_11809 Depth=3
	s_or_b64 exec, exec, s[28:29]
.LBB6_12919:                            ;   in Loop: Header=BB6_11809 Depth=3
	s_or_b64 exec, exec, s[38:39]
                                        ; implicit-def: $vgpr49
.LBB6_12920:                            ;   in Loop: Header=BB6_11809 Depth=3
	s_andn2_saveexec_b64 s[28:29], s[36:37]
; %bb.12921:                            ;   in Loop: Header=BB6_11809 Depth=3
	v_or_b32_e32 v48, 0x7b, v49
; %bb.12922:                            ;   in Loop: Header=BB6_11809 Depth=3
	s_or_b64 exec, exec, s[28:29]
                                        ; implicit-def: $vgpr10
                                        ; implicit-def: $vgpr6_vgpr7
.LBB6_12923:                            ;   in Loop: Header=BB6_11809 Depth=3
	s_andn2_saveexec_b64 s[28:29], s[34:35]
	s_cbranch_execz .LBB6_12929
; %bb.12924:                            ;   in Loop: Header=BB6_11809 Depth=3
	v_cmp_ne_u64_e32 vcc, 0, v[6:7]
                                        ; implicit-def: $vgpr48
	s_and_saveexec_b64 s[34:35], vcc
	s_xor_b64 vcc, exec, s[34:35]
; %bb.12925:                            ;   in Loop: Header=BB6_11809 Depth=3
	v_or_b32_sdwa v48, v10, s83 dst_sel:DWORD dst_unused:UNUSED_PAD src0_sel:BYTE_3 src1_sel:DWORD
                                        ; implicit-def: $vgpr10
; %bb.12926:                            ;   in Loop: Header=BB6_11809 Depth=3
	s_andn2_saveexec_b64 s[34:35], vcc
; %bb.12927:                            ;   in Loop: Header=BB6_11809 Depth=3
	v_cmp_lt_i32_e32 vcc, -1, v10
	v_mov_b32_e32 v6, 0x7c
	v_cndmask_b32_e32 v48, -4, v6, vcc
; %bb.12928:                            ;   in Loop: Header=BB6_11809 Depth=3
	s_or_b64 exec, exec, s[34:35]
.LBB6_12929:                            ;   in Loop: Header=BB6_11809 Depth=3
	s_or_b64 exec, exec, s[28:29]
	buffer_load_dword v6, off, s[0:3], s33 offset:152 ; 4-byte Folded Reload
	buffer_load_dword v7, off, s[0:3], s33 offset:156 ; 4-byte Folded Reload
	s_waitcnt vmcnt(0)
	v_mov_b32_e32 v7, 0
	v_mov_b32_e32 v11, v6
	v_cmp_ne_u16_e32 vcc, 0, v11
	v_mov_b32_e32 v6, 0
	s_and_saveexec_b64 s[28:29], vcc
	s_cbranch_execz .LBB6_12937
; %bb.12930:                            ;   in Loop: Header=BB6_11809 Depth=3
	v_cmp_ne_u16_e32 vcc, s80, v11
	v_bfrev_b32_e32 v7, 1
	s_and_saveexec_b64 s[34:35], vcc
	s_cbranch_execz .LBB6_12936
; %bb.12931:                            ;   in Loop: Header=BB6_11809 Depth=3
	v_and_b32_e32 v7, 0x7c, v11
	v_and_b32_e32 v10, 3, v11
	v_cmp_ne_u32_e32 vcc, s81, v7
                                        ; implicit-def: $vgpr7
	s_and_saveexec_b64 s[36:37], vcc
	s_xor_b64 s[36:37], exec, s[36:37]
	s_cbranch_execz .LBB6_12933
; %bb.12932:                            ;   in Loop: Header=BB6_11809 Depth=3
	buffer_load_dword v51, off, s[0:3], s33 offset:152 ; 4-byte Folded Reload
	buffer_load_dword v52, off, s[0:3], s33 offset:156 ; 4-byte Folded Reload
	v_ffbh_u32_e32 v11, v10
	v_min_u32_e32 v11, 32, v11
	s_waitcnt vmcnt(0)
	v_mov_b32_e32 v52, v34
	v_subrev_u32_e32 v49, 29, v11
	v_sub_u32_e32 v11, 30, v11
	v_and_b32_e32 v7, 0xff, v51
	v_bfe_u32 v7, v7, 2, 5
	v_lshlrev_b64 v[49:50], v49, v[51:52]
	v_cmp_eq_u32_e32 vcc, 0, v7
	v_and_b32_e32 v49, 3, v49
	v_cndmask_b32_e32 v7, v7, v11, vcc
	v_and_b32_sdwa v11, sext(v51), s82 dst_sel:DWORD dst_unused:UNUSED_PAD src0_sel:WORD_0 src1_sel:DWORD
	v_cndmask_b32_e32 v10, v10, v49, vcc
	v_lshl_add_u32 v7, v7, 23, v11
	v_lshl_or_b32 v7, v10, 21, v7
	v_add_u32_e32 v7, 0x38000000, v7
                                        ; implicit-def: $vgpr11
                                        ; implicit-def: $vgpr10
	buffer_store_dword v11, off, s[0:3], s33 offset:152 ; 4-byte Folded Spill
	s_nop 0
	buffer_store_dword v12, off, s[0:3], s33 offset:156 ; 4-byte Folded Spill
.LBB6_12933:                            ;   in Loop: Header=BB6_11809 Depth=3
	s_andn2_saveexec_b64 s[36:37], s[36:37]
	s_cbranch_execz .LBB6_12935
; %bb.12934:                            ;   in Loop: Header=BB6_11809 Depth=3
	buffer_load_dword v49, off, s[0:3], s33 offset:152 ; 4-byte Folded Reload
	buffer_load_dword v50, off, s[0:3], s33 offset:156 ; 4-byte Folded Reload
	v_mov_b32_e32 v7, 0xff800000
	v_mov_b32_e32 v11, 0x7f800000
	s_waitcnt vmcnt(1)
	v_cmp_lt_i16_e32 vcc, -1, v49
	v_cndmask_b32_e32 v7, v7, v11, vcc
	v_cmp_eq_u32_e32 vcc, 0, v10
	v_mov_b32_e32 v10, 0x7f800001
	v_cndmask_b32_e32 v7, v10, v7, vcc
.LBB6_12935:                            ;   in Loop: Header=BB6_11809 Depth=3
	s_or_b64 exec, exec, s[36:37]
.LBB6_12936:                            ;   in Loop: Header=BB6_11809 Depth=3
	s_or_b64 exec, exec, s[34:35]
.LBB6_12937:                            ;   in Loop: Header=BB6_11809 Depth=3
	s_or_b64 exec, exec, s[28:29]
	buffer_load_dword v10, off, s[0:3], s33 offset:144 ; 4-byte Folded Reload
	buffer_load_dword v11, off, s[0:3], s33 offset:148 ; 4-byte Folded Reload
	s_waitcnt vmcnt(0)
	v_mov_b32_e32 v11, v10
	v_cmp_ne_u16_e32 vcc, 0, v11
	s_and_saveexec_b64 s[28:29], vcc
	s_cbranch_execz .LBB6_12945
; %bb.12938:                            ;   in Loop: Header=BB6_11809 Depth=3
	v_cmp_ne_u16_e32 vcc, s80, v11
	v_bfrev_b32_e32 v6, 1
	s_and_saveexec_b64 s[34:35], vcc
	s_cbranch_execz .LBB6_12944
; %bb.12939:                            ;   in Loop: Header=BB6_11809 Depth=3
	v_and_b32_e32 v6, 0x7c, v11
	v_and_b32_e32 v10, 3, v11
	v_cmp_ne_u32_e32 vcc, s81, v6
                                        ; implicit-def: $vgpr6
	s_and_saveexec_b64 s[36:37], vcc
	s_xor_b64 s[36:37], exec, s[36:37]
	s_cbranch_execz .LBB6_12941
; %bb.12940:                            ;   in Loop: Header=BB6_11809 Depth=3
	buffer_load_dword v51, off, s[0:3], s33 offset:144 ; 4-byte Folded Reload
	buffer_load_dword v52, off, s[0:3], s33 offset:148 ; 4-byte Folded Reload
	v_ffbh_u32_e32 v11, v10
	v_min_u32_e32 v11, 32, v11
	s_waitcnt vmcnt(0)
	v_mov_b32_e32 v52, v34
	v_subrev_u32_e32 v49, 29, v11
	v_sub_u32_e32 v11, 30, v11
	v_and_b32_e32 v6, 0xff, v51
	v_bfe_u32 v6, v6, 2, 5
	v_lshlrev_b64 v[49:50], v49, v[51:52]
	v_cmp_eq_u32_e32 vcc, 0, v6
	v_and_b32_e32 v49, 3, v49
	v_cndmask_b32_e32 v6, v6, v11, vcc
	v_and_b32_sdwa v11, sext(v51), s82 dst_sel:DWORD dst_unused:UNUSED_PAD src0_sel:WORD_0 src1_sel:DWORD
	v_cndmask_b32_e32 v10, v10, v49, vcc
	v_lshl_add_u32 v6, v6, 23, v11
	v_lshl_or_b32 v6, v10, 21, v6
	v_add_u32_e32 v6, 0x38000000, v6
                                        ; implicit-def: $vgpr11
                                        ; implicit-def: $vgpr10
	buffer_store_dword v11, off, s[0:3], s33 offset:144 ; 4-byte Folded Spill
	s_nop 0
	buffer_store_dword v12, off, s[0:3], s33 offset:148 ; 4-byte Folded Spill
.LBB6_12941:                            ;   in Loop: Header=BB6_11809 Depth=3
	s_andn2_saveexec_b64 s[36:37], s[36:37]
	s_cbranch_execz .LBB6_12943
; %bb.12942:                            ;   in Loop: Header=BB6_11809 Depth=3
	buffer_load_dword v49, off, s[0:3], s33 offset:144 ; 4-byte Folded Reload
	buffer_load_dword v50, off, s[0:3], s33 offset:148 ; 4-byte Folded Reload
	v_mov_b32_e32 v6, 0xff800000
	v_mov_b32_e32 v11, 0x7f800000
	s_waitcnt vmcnt(1)
	v_cmp_lt_i16_e32 vcc, -1, v49
	v_cndmask_b32_e32 v6, v6, v11, vcc
	v_cmp_eq_u32_e32 vcc, 0, v10
	v_mov_b32_e32 v10, 0x7f800001
	v_cndmask_b32_e32 v6, v10, v6, vcc
.LBB6_12943:                            ;   in Loop: Header=BB6_11809 Depth=3
	s_or_b64 exec, exec, s[36:37]
.LBB6_12944:                            ;   in Loop: Header=BB6_11809 Depth=3
	s_or_b64 exec, exec, s[34:35]
.LBB6_12945:                            ;   in Loop: Header=BB6_11809 Depth=3
	s_or_b64 exec, exec, s[28:29]
	v_mul_f32_e32 v10, v7, v6
	v_and_b32_e32 v49, 0x7f800000, v10
	s_waitcnt vmcnt(0)
	v_mov_b32_e32 v50, v34
	v_cmp_ne_u64_e32 vcc, s[76:77], v[49:50]
	v_and_b32_e32 v6, 0x7fffff, v10
	v_mov_b32_e32 v7, v34
                                        ; implicit-def: $vgpr49
	s_and_saveexec_b64 s[28:29], vcc
	s_xor_b64 s[34:35], exec, s[28:29]
	s_cbranch_execz .LBB6_12963
; %bb.12946:                            ;   in Loop: Header=BB6_11809 Depth=3
	v_and_b32_e32 v49, 0x7fffffff, v10
	v_mov_b32_e32 v50, v34
	v_cmp_gt_u64_e32 vcc, s[78:79], v[49:50]
	v_and_b32_sdwa v50, v10, s44 dst_sel:DWORD dst_unused:UNUSED_PAD src0_sel:BYTE_3 src1_sel:DWORD
                                        ; implicit-def: $vgpr49
	s_and_saveexec_b64 s[28:29], vcc
	s_xor_b64 s[36:37], exec, s[28:29]
	s_cbranch_execz .LBB6_12960
; %bb.12947:                            ;   in Loop: Header=BB6_11809 Depth=3
	v_cmp_ne_u32_e32 vcc, 0, v10
	v_mov_b32_e32 v49, 0
	s_and_saveexec_b64 s[38:39], vcc
	s_cbranch_execz .LBB6_12959
; %bb.12948:                            ;   in Loop: Header=BB6_11809 Depth=3
	v_bfe_u32 v49, v10, 23, 8
	v_cmp_gt_u32_e64 s[28:29], s45, v49
	v_sub_u32_e32 v10, 0x71, v49
	v_cmp_eq_u32_e32 vcc, 0, v49
	v_cndmask_b32_e64 v10, 0, v10, s[28:29]
	v_mov_b32_e32 v51, 0x70
	v_cndmask_b32_e32 v51, v10, v51, vcc
	v_or_b32_e32 v11, 0x800000, v6
	v_add_u32_e32 v10, 21, v51
	v_cndmask_b32_e32 v6, v11, v6, vcc
	v_lshlrev_b64 v[10:11], v10, -1
	v_add_u32_e32 v52, 20, v51
	v_bfi_b32 v10, v10, 0, v6
	v_lshlrev_b64 v[52:53], v52, 1
	v_lshrrev_b64 v[6:7], v51, v[6:7]
	v_bfi_b32 v11, v11, 0, 0
	v_cmp_eq_u64_e64 s[28:29], v[10:11], v[52:53]
	v_mov_b32_e32 v11, v7
	v_mov_b32_e32 v10, v6
	s_and_saveexec_b64 s[48:49], s[28:29]
; %bb.12949:                            ;   in Loop: Header=BB6_11809 Depth=3
	v_bfe_u32 v7, v6, 21, 1
	v_add_co_u32_e64 v7, s[28:29], v6, v7
	v_add_co_u32_e64 v10, s[28:29], -1, v7
; %bb.12950:                            ;   in Loop: Header=BB6_11809 Depth=3
	s_or_b64 exec, exec, s[48:49]
	v_add_u32_e32 v7, 0xffffff81, v49
	v_mov_b32_e32 v11, 0xffffff82
	v_cndmask_b32_e32 v7, v7, v11, vcc
	v_lshrrev_b32_e32 v11, 23, v6
	v_add3_u32 v49, v51, v7, v11
	v_add_u32_e32 v11, 14, v49
	v_and_b32_e32 v7, 0x1fffff, v10
	v_add_u32_e32 v6, v7, v6
	v_mov_b32_e32 v7, v34
	v_cmp_ne_u32_e32 vcc, 0, v11
                                        ; implicit-def: $vgpr10
	s_and_saveexec_b64 s[28:29], vcc
	s_xor_b64 s[28:29], exec, s[28:29]
; %bb.12951:                            ;   in Loop: Header=BB6_11809 Depth=3
	v_cmp_lt_u64_e32 vcc, s[88:89], v[6:7]
	v_add_u32_e32 v10, 15, v49
	v_cndmask_b32_e32 v10, v11, v10, vcc
	v_cndmask_b32_e64 v11, 0, 1, vcc
	v_lshrrev_b64 v[6:7], v11, v[6:7]
; %bb.12952:                            ;   in Loop: Header=BB6_11809 Depth=3
	s_andn2_saveexec_b64 s[28:29], s[28:29]
; %bb.12953:                            ;   in Loop: Header=BB6_11809 Depth=3
	v_bfe_u32 v10, v6, 23, 1
; %bb.12954:                            ;   in Loop: Header=BB6_11809 Depth=3
	s_or_b64 exec, exec, s[28:29]
	v_lshrrev_b64 v[6:7], 21, v[6:7]
	v_cmp_gt_i32_e32 vcc, 32, v10
	v_cndmask_b32_e32 v7, 0, v7, vcc
	v_cndmask_b32_e32 v6, 3, v6, vcc
	v_cmp_ne_u64_e32 vcc, 0, v[6:7]
	v_cmp_ne_u32_e64 s[28:29], 0, v10
	s_or_b64 s[28:29], s[28:29], vcc
                                        ; implicit-def: $vgpr49
	s_and_saveexec_b64 vcc, s[28:29]
	s_xor_b64 s[28:29], exec, vcc
; %bb.12955:                            ;   in Loop: Header=BB6_11809 Depth=3
	v_min_i32_e32 v7, 31, v10
	v_lshl_or_b32 v7, v7, 2, v50
	v_and_or_b32 v49, v6, 3, v7
                                        ; implicit-def: $vgpr50
; %bb.12956:                            ;   in Loop: Header=BB6_11809 Depth=3
	s_andn2_saveexec_b64 s[28:29], s[28:29]
; %bb.12957:                            ;   in Loop: Header=BB6_11809 Depth=3
	v_mov_b32_e32 v49, v50
; %bb.12958:                            ;   in Loop: Header=BB6_11809 Depth=3
	s_or_b64 exec, exec, s[28:29]
.LBB6_12959:                            ;   in Loop: Header=BB6_11809 Depth=3
	s_or_b64 exec, exec, s[38:39]
                                        ; implicit-def: $vgpr50
.LBB6_12960:                            ;   in Loop: Header=BB6_11809 Depth=3
	s_andn2_saveexec_b64 s[28:29], s[36:37]
; %bb.12961:                            ;   in Loop: Header=BB6_11809 Depth=3
	v_or_b32_e32 v49, 0x7b, v50
; %bb.12962:                            ;   in Loop: Header=BB6_11809 Depth=3
	s_or_b64 exec, exec, s[28:29]
                                        ; implicit-def: $vgpr10
                                        ; implicit-def: $vgpr6_vgpr7
.LBB6_12963:                            ;   in Loop: Header=BB6_11809 Depth=3
	s_andn2_saveexec_b64 s[28:29], s[34:35]
	s_cbranch_execz .LBB6_12969
; %bb.12964:                            ;   in Loop: Header=BB6_11809 Depth=3
	v_cmp_ne_u64_e32 vcc, 0, v[6:7]
                                        ; implicit-def: $vgpr49
	s_and_saveexec_b64 s[34:35], vcc
	s_xor_b64 vcc, exec, s[34:35]
; %bb.12965:                            ;   in Loop: Header=BB6_11809 Depth=3
	v_or_b32_sdwa v49, v10, s83 dst_sel:DWORD dst_unused:UNUSED_PAD src0_sel:BYTE_3 src1_sel:DWORD
                                        ; implicit-def: $vgpr10
; %bb.12966:                            ;   in Loop: Header=BB6_11809 Depth=3
	s_andn2_saveexec_b64 s[34:35], vcc
; %bb.12967:                            ;   in Loop: Header=BB6_11809 Depth=3
	v_cmp_lt_i32_e32 vcc, -1, v10
	v_mov_b32_e32 v6, 0x7c
	v_cndmask_b32_e32 v49, -4, v6, vcc
; %bb.12968:                            ;   in Loop: Header=BB6_11809 Depth=3
	s_or_b64 exec, exec, s[34:35]
.LBB6_12969:                            ;   in Loop: Header=BB6_11809 Depth=3
	s_or_b64 exec, exec, s[28:29]
	buffer_load_dword v6, off, s[0:3], s33 offset:136 ; 4-byte Folded Reload
	buffer_load_dword v7, off, s[0:3], s33 offset:140 ; 4-byte Folded Reload
	s_waitcnt vmcnt(0)
	v_mov_b32_e32 v7, 0
	v_mov_b32_e32 v11, v6
	v_cmp_ne_u16_e32 vcc, 0, v11
	v_mov_b32_e32 v6, 0
	s_and_saveexec_b64 s[28:29], vcc
	s_cbranch_execz .LBB6_12977
; %bb.12970:                            ;   in Loop: Header=BB6_11809 Depth=3
	v_cmp_ne_u16_e32 vcc, s80, v11
	v_bfrev_b32_e32 v7, 1
	s_and_saveexec_b64 s[34:35], vcc
	s_cbranch_execz .LBB6_12976
; %bb.12971:                            ;   in Loop: Header=BB6_11809 Depth=3
	v_and_b32_e32 v7, 0x7c, v11
	v_and_b32_e32 v10, 3, v11
	v_cmp_ne_u32_e32 vcc, s81, v7
                                        ; implicit-def: $vgpr7
	s_and_saveexec_b64 s[36:37], vcc
	s_xor_b64 s[36:37], exec, s[36:37]
	s_cbranch_execz .LBB6_12973
; %bb.12972:                            ;   in Loop: Header=BB6_11809 Depth=3
	buffer_load_dword v52, off, s[0:3], s33 offset:136 ; 4-byte Folded Reload
	buffer_load_dword v53, off, s[0:3], s33 offset:140 ; 4-byte Folded Reload
	v_ffbh_u32_e32 v11, v10
	v_min_u32_e32 v11, 32, v11
	s_waitcnt vmcnt(0)
	v_mov_b32_e32 v53, v34
	v_subrev_u32_e32 v50, 29, v11
	v_sub_u32_e32 v11, 30, v11
	v_and_b32_e32 v7, 0xff, v52
	v_bfe_u32 v7, v7, 2, 5
	v_lshlrev_b64 v[50:51], v50, v[52:53]
	v_cmp_eq_u32_e32 vcc, 0, v7
	v_and_b32_e32 v50, 3, v50
	v_cndmask_b32_e32 v7, v7, v11, vcc
	v_and_b32_sdwa v11, sext(v52), s82 dst_sel:DWORD dst_unused:UNUSED_PAD src0_sel:WORD_0 src1_sel:DWORD
	v_cndmask_b32_e32 v10, v10, v50, vcc
	v_lshl_add_u32 v7, v7, 23, v11
	v_lshl_or_b32 v7, v10, 21, v7
	v_add_u32_e32 v7, 0x38000000, v7
                                        ; implicit-def: $vgpr11
                                        ; implicit-def: $vgpr10
	buffer_store_dword v11, off, s[0:3], s33 offset:136 ; 4-byte Folded Spill
	s_nop 0
	buffer_store_dword v12, off, s[0:3], s33 offset:140 ; 4-byte Folded Spill
.LBB6_12973:                            ;   in Loop: Header=BB6_11809 Depth=3
	s_andn2_saveexec_b64 s[36:37], s[36:37]
	s_cbranch_execz .LBB6_12975
; %bb.12974:                            ;   in Loop: Header=BB6_11809 Depth=3
	buffer_load_dword v50, off, s[0:3], s33 offset:136 ; 4-byte Folded Reload
	buffer_load_dword v51, off, s[0:3], s33 offset:140 ; 4-byte Folded Reload
	v_mov_b32_e32 v7, 0xff800000
	v_mov_b32_e32 v11, 0x7f800000
	s_waitcnt vmcnt(1)
	v_cmp_lt_i16_e32 vcc, -1, v50
	v_cndmask_b32_e32 v7, v7, v11, vcc
	v_cmp_eq_u32_e32 vcc, 0, v10
	v_mov_b32_e32 v10, 0x7f800001
	v_cndmask_b32_e32 v7, v10, v7, vcc
.LBB6_12975:                            ;   in Loop: Header=BB6_11809 Depth=3
	s_or_b64 exec, exec, s[36:37]
.LBB6_12976:                            ;   in Loop: Header=BB6_11809 Depth=3
	s_or_b64 exec, exec, s[34:35]
.LBB6_12977:                            ;   in Loop: Header=BB6_11809 Depth=3
	s_or_b64 exec, exec, s[28:29]
	buffer_load_dword v10, off, s[0:3], s33 offset:128 ; 4-byte Folded Reload
	buffer_load_dword v11, off, s[0:3], s33 offset:132 ; 4-byte Folded Reload
	s_waitcnt vmcnt(0)
	v_mov_b32_e32 v11, v10
	v_cmp_ne_u16_e32 vcc, 0, v11
	s_and_saveexec_b64 s[28:29], vcc
	s_cbranch_execz .LBB6_12985
; %bb.12978:                            ;   in Loop: Header=BB6_11809 Depth=3
	v_cmp_ne_u16_e32 vcc, s80, v11
	v_bfrev_b32_e32 v6, 1
	s_and_saveexec_b64 s[34:35], vcc
	s_cbranch_execz .LBB6_12984
; %bb.12979:                            ;   in Loop: Header=BB6_11809 Depth=3
	v_and_b32_e32 v6, 0x7c, v11
	v_and_b32_e32 v10, 3, v11
	v_cmp_ne_u32_e32 vcc, s81, v6
                                        ; implicit-def: $vgpr6
	s_and_saveexec_b64 s[36:37], vcc
	s_xor_b64 s[36:37], exec, s[36:37]
	s_cbranch_execz .LBB6_12981
; %bb.12980:                            ;   in Loop: Header=BB6_11809 Depth=3
	buffer_load_dword v52, off, s[0:3], s33 offset:128 ; 4-byte Folded Reload
	buffer_load_dword v53, off, s[0:3], s33 offset:132 ; 4-byte Folded Reload
	v_ffbh_u32_e32 v11, v10
	v_min_u32_e32 v11, 32, v11
	s_waitcnt vmcnt(0)
	v_mov_b32_e32 v53, v34
	v_subrev_u32_e32 v50, 29, v11
	v_sub_u32_e32 v11, 30, v11
	v_and_b32_e32 v6, 0xff, v52
	v_bfe_u32 v6, v6, 2, 5
	v_lshlrev_b64 v[50:51], v50, v[52:53]
	v_cmp_eq_u32_e32 vcc, 0, v6
	v_and_b32_e32 v50, 3, v50
	v_cndmask_b32_e32 v6, v6, v11, vcc
	v_and_b32_sdwa v11, sext(v52), s82 dst_sel:DWORD dst_unused:UNUSED_PAD src0_sel:WORD_0 src1_sel:DWORD
	v_cndmask_b32_e32 v10, v10, v50, vcc
	v_lshl_add_u32 v6, v6, 23, v11
	v_lshl_or_b32 v6, v10, 21, v6
	v_add_u32_e32 v6, 0x38000000, v6
                                        ; implicit-def: $vgpr11
                                        ; implicit-def: $vgpr10
	buffer_store_dword v11, off, s[0:3], s33 offset:128 ; 4-byte Folded Spill
	s_nop 0
	buffer_store_dword v12, off, s[0:3], s33 offset:132 ; 4-byte Folded Spill
.LBB6_12981:                            ;   in Loop: Header=BB6_11809 Depth=3
	s_andn2_saveexec_b64 s[36:37], s[36:37]
	s_cbranch_execz .LBB6_12983
; %bb.12982:                            ;   in Loop: Header=BB6_11809 Depth=3
	buffer_load_dword v50, off, s[0:3], s33 offset:128 ; 4-byte Folded Reload
	buffer_load_dword v51, off, s[0:3], s33 offset:132 ; 4-byte Folded Reload
	v_mov_b32_e32 v6, 0xff800000
	v_mov_b32_e32 v11, 0x7f800000
	s_waitcnt vmcnt(1)
	v_cmp_lt_i16_e32 vcc, -1, v50
	v_cndmask_b32_e32 v6, v6, v11, vcc
	v_cmp_eq_u32_e32 vcc, 0, v10
	v_mov_b32_e32 v10, 0x7f800001
	v_cndmask_b32_e32 v6, v10, v6, vcc
.LBB6_12983:                            ;   in Loop: Header=BB6_11809 Depth=3
	s_or_b64 exec, exec, s[36:37]
.LBB6_12984:                            ;   in Loop: Header=BB6_11809 Depth=3
	s_or_b64 exec, exec, s[34:35]
.LBB6_12985:                            ;   in Loop: Header=BB6_11809 Depth=3
	s_or_b64 exec, exec, s[28:29]
	v_mul_f32_e32 v10, v7, v6
	v_and_b32_e32 v50, 0x7f800000, v10
	s_waitcnt vmcnt(0)
	v_mov_b32_e32 v51, v34
	v_cmp_ne_u64_e32 vcc, s[76:77], v[50:51]
	v_and_b32_e32 v6, 0x7fffff, v10
	v_mov_b32_e32 v7, v34
                                        ; implicit-def: $vgpr50
	s_and_saveexec_b64 s[28:29], vcc
	s_xor_b64 s[34:35], exec, s[28:29]
	s_cbranch_execz .LBB6_13003
; %bb.12986:                            ;   in Loop: Header=BB6_11809 Depth=3
	v_and_b32_e32 v50, 0x7fffffff, v10
	v_mov_b32_e32 v51, v34
	v_cmp_gt_u64_e32 vcc, s[78:79], v[50:51]
	v_and_b32_sdwa v51, v10, s44 dst_sel:DWORD dst_unused:UNUSED_PAD src0_sel:BYTE_3 src1_sel:DWORD
                                        ; implicit-def: $vgpr50
	s_and_saveexec_b64 s[28:29], vcc
	s_xor_b64 s[36:37], exec, s[28:29]
	s_cbranch_execz .LBB6_13000
; %bb.12987:                            ;   in Loop: Header=BB6_11809 Depth=3
	v_cmp_ne_u32_e32 vcc, 0, v10
	v_mov_b32_e32 v50, 0
	s_and_saveexec_b64 s[38:39], vcc
	s_cbranch_execz .LBB6_12999
; %bb.12988:                            ;   in Loop: Header=BB6_11809 Depth=3
	v_bfe_u32 v50, v10, 23, 8
	v_cmp_gt_u32_e64 s[28:29], s45, v50
	v_sub_u32_e32 v10, 0x71, v50
	v_cmp_eq_u32_e32 vcc, 0, v50
	v_cndmask_b32_e64 v10, 0, v10, s[28:29]
	v_mov_b32_e32 v52, 0x70
	v_cndmask_b32_e32 v52, v10, v52, vcc
	v_or_b32_e32 v11, 0x800000, v6
	v_add_u32_e32 v10, 21, v52
	v_cndmask_b32_e32 v6, v11, v6, vcc
	v_lshlrev_b64 v[10:11], v10, -1
	v_add_u32_e32 v53, 20, v52
	v_bfi_b32 v10, v10, 0, v6
	v_lshlrev_b64 v[53:54], v53, 1
	v_lshrrev_b64 v[6:7], v52, v[6:7]
	v_bfi_b32 v11, v11, 0, 0
	v_cmp_eq_u64_e64 s[28:29], v[10:11], v[53:54]
	v_mov_b32_e32 v11, v7
	v_mov_b32_e32 v10, v6
	s_and_saveexec_b64 s[48:49], s[28:29]
; %bb.12989:                            ;   in Loop: Header=BB6_11809 Depth=3
	v_bfe_u32 v7, v6, 21, 1
	v_add_co_u32_e64 v7, s[28:29], v6, v7
	v_add_co_u32_e64 v10, s[28:29], -1, v7
; %bb.12990:                            ;   in Loop: Header=BB6_11809 Depth=3
	s_or_b64 exec, exec, s[48:49]
	v_add_u32_e32 v7, 0xffffff81, v50
	v_mov_b32_e32 v11, 0xffffff82
	v_cndmask_b32_e32 v7, v7, v11, vcc
	v_lshrrev_b32_e32 v11, 23, v6
	v_add3_u32 v50, v52, v7, v11
	v_add_u32_e32 v11, 14, v50
	v_and_b32_e32 v7, 0x1fffff, v10
	v_add_u32_e32 v6, v7, v6
	v_mov_b32_e32 v7, v34
	v_cmp_ne_u32_e32 vcc, 0, v11
                                        ; implicit-def: $vgpr10
	s_and_saveexec_b64 s[28:29], vcc
	s_xor_b64 s[28:29], exec, s[28:29]
; %bb.12991:                            ;   in Loop: Header=BB6_11809 Depth=3
	v_cmp_lt_u64_e32 vcc, s[88:89], v[6:7]
	v_add_u32_e32 v10, 15, v50
	v_cndmask_b32_e32 v10, v11, v10, vcc
	v_cndmask_b32_e64 v11, 0, 1, vcc
	v_lshrrev_b64 v[6:7], v11, v[6:7]
; %bb.12992:                            ;   in Loop: Header=BB6_11809 Depth=3
	s_andn2_saveexec_b64 s[28:29], s[28:29]
; %bb.12993:                            ;   in Loop: Header=BB6_11809 Depth=3
	v_bfe_u32 v10, v6, 23, 1
; %bb.12994:                            ;   in Loop: Header=BB6_11809 Depth=3
	s_or_b64 exec, exec, s[28:29]
	v_lshrrev_b64 v[6:7], 21, v[6:7]
	v_cmp_gt_i32_e32 vcc, 32, v10
	v_cndmask_b32_e32 v7, 0, v7, vcc
	v_cndmask_b32_e32 v6, 3, v6, vcc
	v_cmp_ne_u64_e32 vcc, 0, v[6:7]
	v_cmp_ne_u32_e64 s[28:29], 0, v10
	s_or_b64 s[28:29], s[28:29], vcc
                                        ; implicit-def: $vgpr50
	s_and_saveexec_b64 vcc, s[28:29]
	s_xor_b64 s[28:29], exec, vcc
; %bb.12995:                            ;   in Loop: Header=BB6_11809 Depth=3
	v_min_i32_e32 v7, 31, v10
	v_lshl_or_b32 v7, v7, 2, v51
	v_and_or_b32 v50, v6, 3, v7
                                        ; implicit-def: $vgpr51
; %bb.12996:                            ;   in Loop: Header=BB6_11809 Depth=3
	s_andn2_saveexec_b64 s[28:29], s[28:29]
; %bb.12997:                            ;   in Loop: Header=BB6_11809 Depth=3
	v_mov_b32_e32 v50, v51
; %bb.12998:                            ;   in Loop: Header=BB6_11809 Depth=3
	s_or_b64 exec, exec, s[28:29]
.LBB6_12999:                            ;   in Loop: Header=BB6_11809 Depth=3
	s_or_b64 exec, exec, s[38:39]
                                        ; implicit-def: $vgpr51
.LBB6_13000:                            ;   in Loop: Header=BB6_11809 Depth=3
	s_andn2_saveexec_b64 s[28:29], s[36:37]
; %bb.13001:                            ;   in Loop: Header=BB6_11809 Depth=3
	v_or_b32_e32 v50, 0x7b, v51
; %bb.13002:                            ;   in Loop: Header=BB6_11809 Depth=3
	s_or_b64 exec, exec, s[28:29]
                                        ; implicit-def: $vgpr10
                                        ; implicit-def: $vgpr6_vgpr7
.LBB6_13003:                            ;   in Loop: Header=BB6_11809 Depth=3
	s_andn2_saveexec_b64 s[28:29], s[34:35]
	s_cbranch_execz .LBB6_13009
; %bb.13004:                            ;   in Loop: Header=BB6_11809 Depth=3
	v_cmp_ne_u64_e32 vcc, 0, v[6:7]
                                        ; implicit-def: $vgpr50
	s_and_saveexec_b64 s[34:35], vcc
	s_xor_b64 vcc, exec, s[34:35]
; %bb.13005:                            ;   in Loop: Header=BB6_11809 Depth=3
	v_or_b32_sdwa v50, v10, s83 dst_sel:DWORD dst_unused:UNUSED_PAD src0_sel:BYTE_3 src1_sel:DWORD
                                        ; implicit-def: $vgpr10
; %bb.13006:                            ;   in Loop: Header=BB6_11809 Depth=3
	s_andn2_saveexec_b64 s[34:35], vcc
; %bb.13007:                            ;   in Loop: Header=BB6_11809 Depth=3
	v_cmp_lt_i32_e32 vcc, -1, v10
	v_mov_b32_e32 v6, 0x7c
	v_cndmask_b32_e32 v50, -4, v6, vcc
; %bb.13008:                            ;   in Loop: Header=BB6_11809 Depth=3
	s_or_b64 exec, exec, s[34:35]
.LBB6_13009:                            ;   in Loop: Header=BB6_11809 Depth=3
	s_or_b64 exec, exec, s[28:29]
	buffer_load_dword v6, off, s[0:3], s33 offset:120 ; 4-byte Folded Reload
	buffer_load_dword v7, off, s[0:3], s33 offset:124 ; 4-byte Folded Reload
	s_waitcnt vmcnt(0)
	v_mov_b32_e32 v7, 0
	v_mov_b32_e32 v11, v6
	v_cmp_ne_u16_e32 vcc, 0, v11
	v_mov_b32_e32 v6, 0
	s_and_saveexec_b64 s[28:29], vcc
	s_cbranch_execz .LBB6_13017
; %bb.13010:                            ;   in Loop: Header=BB6_11809 Depth=3
	v_cmp_ne_u16_e32 vcc, s80, v11
	v_bfrev_b32_e32 v7, 1
	s_and_saveexec_b64 s[34:35], vcc
	s_cbranch_execz .LBB6_13016
; %bb.13011:                            ;   in Loop: Header=BB6_11809 Depth=3
	v_and_b32_e32 v7, 0x7c, v11
	v_and_b32_e32 v10, 3, v11
	v_cmp_ne_u32_e32 vcc, s81, v7
                                        ; implicit-def: $vgpr7
	s_and_saveexec_b64 s[36:37], vcc
	s_xor_b64 s[36:37], exec, s[36:37]
	s_cbranch_execz .LBB6_13013
; %bb.13012:                            ;   in Loop: Header=BB6_11809 Depth=3
	buffer_load_dword v53, off, s[0:3], s33 offset:120 ; 4-byte Folded Reload
	buffer_load_dword v54, off, s[0:3], s33 offset:124 ; 4-byte Folded Reload
	v_ffbh_u32_e32 v11, v10
	v_min_u32_e32 v11, 32, v11
	s_waitcnt vmcnt(0)
	v_mov_b32_e32 v54, v34
	v_subrev_u32_e32 v51, 29, v11
	v_sub_u32_e32 v11, 30, v11
	v_and_b32_e32 v7, 0xff, v53
	v_bfe_u32 v7, v7, 2, 5
	v_lshlrev_b64 v[51:52], v51, v[53:54]
	v_cmp_eq_u32_e32 vcc, 0, v7
	v_and_b32_e32 v51, 3, v51
	v_cndmask_b32_e32 v7, v7, v11, vcc
	v_and_b32_sdwa v11, sext(v53), s82 dst_sel:DWORD dst_unused:UNUSED_PAD src0_sel:WORD_0 src1_sel:DWORD
	v_cndmask_b32_e32 v10, v10, v51, vcc
	v_lshl_add_u32 v7, v7, 23, v11
	v_lshl_or_b32 v7, v10, 21, v7
	v_add_u32_e32 v7, 0x38000000, v7
                                        ; implicit-def: $vgpr11
                                        ; implicit-def: $vgpr10
	buffer_store_dword v11, off, s[0:3], s33 offset:120 ; 4-byte Folded Spill
	s_nop 0
	buffer_store_dword v12, off, s[0:3], s33 offset:124 ; 4-byte Folded Spill
.LBB6_13013:                            ;   in Loop: Header=BB6_11809 Depth=3
	s_andn2_saveexec_b64 s[36:37], s[36:37]
	s_cbranch_execz .LBB6_13015
; %bb.13014:                            ;   in Loop: Header=BB6_11809 Depth=3
	buffer_load_dword v51, off, s[0:3], s33 offset:120 ; 4-byte Folded Reload
	buffer_load_dword v52, off, s[0:3], s33 offset:124 ; 4-byte Folded Reload
	v_mov_b32_e32 v7, 0xff800000
	v_mov_b32_e32 v11, 0x7f800000
	s_waitcnt vmcnt(1)
	v_cmp_lt_i16_e32 vcc, -1, v51
	v_cndmask_b32_e32 v7, v7, v11, vcc
	v_cmp_eq_u32_e32 vcc, 0, v10
	v_mov_b32_e32 v10, 0x7f800001
	v_cndmask_b32_e32 v7, v10, v7, vcc
.LBB6_13015:                            ;   in Loop: Header=BB6_11809 Depth=3
	s_or_b64 exec, exec, s[36:37]
.LBB6_13016:                            ;   in Loop: Header=BB6_11809 Depth=3
	s_or_b64 exec, exec, s[34:35]
.LBB6_13017:                            ;   in Loop: Header=BB6_11809 Depth=3
	s_or_b64 exec, exec, s[28:29]
	buffer_load_dword v10, off, s[0:3], s33 offset:112 ; 4-byte Folded Reload
	buffer_load_dword v11, off, s[0:3], s33 offset:116 ; 4-byte Folded Reload
	s_waitcnt vmcnt(0)
	v_mov_b32_e32 v11, v10
	v_cmp_ne_u16_e32 vcc, 0, v11
	s_and_saveexec_b64 s[28:29], vcc
	s_cbranch_execz .LBB6_13025
; %bb.13018:                            ;   in Loop: Header=BB6_11809 Depth=3
	v_cmp_ne_u16_e32 vcc, s80, v11
	v_bfrev_b32_e32 v6, 1
	s_and_saveexec_b64 s[34:35], vcc
	s_cbranch_execz .LBB6_13024
; %bb.13019:                            ;   in Loop: Header=BB6_11809 Depth=3
	v_and_b32_e32 v6, 0x7c, v11
	v_and_b32_e32 v10, 3, v11
	v_cmp_ne_u32_e32 vcc, s81, v6
                                        ; implicit-def: $vgpr6
	s_and_saveexec_b64 s[36:37], vcc
	s_xor_b64 s[36:37], exec, s[36:37]
	s_cbranch_execz .LBB6_13021
; %bb.13020:                            ;   in Loop: Header=BB6_11809 Depth=3
	buffer_load_dword v53, off, s[0:3], s33 offset:112 ; 4-byte Folded Reload
	buffer_load_dword v54, off, s[0:3], s33 offset:116 ; 4-byte Folded Reload
	v_ffbh_u32_e32 v11, v10
	v_min_u32_e32 v11, 32, v11
	s_waitcnt vmcnt(0)
	v_mov_b32_e32 v54, v34
	v_subrev_u32_e32 v51, 29, v11
	v_sub_u32_e32 v11, 30, v11
	v_and_b32_e32 v6, 0xff, v53
	v_bfe_u32 v6, v6, 2, 5
	v_lshlrev_b64 v[51:52], v51, v[53:54]
	v_cmp_eq_u32_e32 vcc, 0, v6
	v_and_b32_e32 v51, 3, v51
	v_cndmask_b32_e32 v6, v6, v11, vcc
	v_and_b32_sdwa v11, sext(v53), s82 dst_sel:DWORD dst_unused:UNUSED_PAD src0_sel:WORD_0 src1_sel:DWORD
	v_cndmask_b32_e32 v10, v10, v51, vcc
	v_lshl_add_u32 v6, v6, 23, v11
	v_lshl_or_b32 v6, v10, 21, v6
	v_add_u32_e32 v6, 0x38000000, v6
                                        ; implicit-def: $vgpr11
                                        ; implicit-def: $vgpr10
	buffer_store_dword v11, off, s[0:3], s33 offset:112 ; 4-byte Folded Spill
	s_nop 0
	buffer_store_dword v12, off, s[0:3], s33 offset:116 ; 4-byte Folded Spill
.LBB6_13021:                            ;   in Loop: Header=BB6_11809 Depth=3
	s_andn2_saveexec_b64 s[36:37], s[36:37]
	s_cbranch_execz .LBB6_13023
; %bb.13022:                            ;   in Loop: Header=BB6_11809 Depth=3
	buffer_load_dword v51, off, s[0:3], s33 offset:112 ; 4-byte Folded Reload
	buffer_load_dword v52, off, s[0:3], s33 offset:116 ; 4-byte Folded Reload
	v_mov_b32_e32 v6, 0xff800000
	v_mov_b32_e32 v11, 0x7f800000
	s_waitcnt vmcnt(1)
	v_cmp_lt_i16_e32 vcc, -1, v51
	v_cndmask_b32_e32 v6, v6, v11, vcc
	v_cmp_eq_u32_e32 vcc, 0, v10
	v_mov_b32_e32 v10, 0x7f800001
	v_cndmask_b32_e32 v6, v10, v6, vcc
.LBB6_13023:                            ;   in Loop: Header=BB6_11809 Depth=3
	s_or_b64 exec, exec, s[36:37]
.LBB6_13024:                            ;   in Loop: Header=BB6_11809 Depth=3
	s_or_b64 exec, exec, s[34:35]
.LBB6_13025:                            ;   in Loop: Header=BB6_11809 Depth=3
	s_or_b64 exec, exec, s[28:29]
	v_mul_f32_e32 v10, v7, v6
	v_and_b32_e32 v51, 0x7f800000, v10
	s_waitcnt vmcnt(0)
	v_mov_b32_e32 v52, v34
	v_cmp_ne_u64_e32 vcc, s[76:77], v[51:52]
	v_and_b32_e32 v6, 0x7fffff, v10
	v_mov_b32_e32 v7, v34
                                        ; implicit-def: $vgpr51
	s_and_saveexec_b64 s[28:29], vcc
	s_xor_b64 s[34:35], exec, s[28:29]
	s_cbranch_execz .LBB6_13043
; %bb.13026:                            ;   in Loop: Header=BB6_11809 Depth=3
	v_and_b32_e32 v51, 0x7fffffff, v10
	v_mov_b32_e32 v52, v34
	v_cmp_gt_u64_e32 vcc, s[78:79], v[51:52]
	v_and_b32_sdwa v52, v10, s44 dst_sel:DWORD dst_unused:UNUSED_PAD src0_sel:BYTE_3 src1_sel:DWORD
                                        ; implicit-def: $vgpr51
	s_and_saveexec_b64 s[28:29], vcc
	s_xor_b64 s[36:37], exec, s[28:29]
	s_cbranch_execz .LBB6_13040
; %bb.13027:                            ;   in Loop: Header=BB6_11809 Depth=3
	v_cmp_ne_u32_e32 vcc, 0, v10
	v_mov_b32_e32 v51, 0
	s_and_saveexec_b64 s[38:39], vcc
	s_cbranch_execz .LBB6_13039
; %bb.13028:                            ;   in Loop: Header=BB6_11809 Depth=3
	v_bfe_u32 v51, v10, 23, 8
	v_cmp_gt_u32_e64 s[28:29], s45, v51
	v_sub_u32_e32 v10, 0x71, v51
	v_cmp_eq_u32_e32 vcc, 0, v51
	v_cndmask_b32_e64 v10, 0, v10, s[28:29]
	v_mov_b32_e32 v53, 0x70
	v_cndmask_b32_e32 v53, v10, v53, vcc
	v_or_b32_e32 v11, 0x800000, v6
	v_add_u32_e32 v10, 21, v53
	v_cndmask_b32_e32 v6, v11, v6, vcc
	v_lshlrev_b64 v[10:11], v10, -1
	v_add_u32_e32 v54, 20, v53
	v_bfi_b32 v10, v10, 0, v6
	v_lshlrev_b64 v[54:55], v54, 1
	v_lshrrev_b64 v[6:7], v53, v[6:7]
	v_bfi_b32 v11, v11, 0, 0
	v_cmp_eq_u64_e64 s[28:29], v[10:11], v[54:55]
	v_mov_b32_e32 v11, v7
	v_mov_b32_e32 v10, v6
	s_and_saveexec_b64 s[48:49], s[28:29]
; %bb.13029:                            ;   in Loop: Header=BB6_11809 Depth=3
	v_bfe_u32 v7, v6, 21, 1
	v_add_co_u32_e64 v7, s[28:29], v6, v7
	v_add_co_u32_e64 v10, s[28:29], -1, v7
; %bb.13030:                            ;   in Loop: Header=BB6_11809 Depth=3
	s_or_b64 exec, exec, s[48:49]
	v_add_u32_e32 v7, 0xffffff81, v51
	v_mov_b32_e32 v11, 0xffffff82
	v_cndmask_b32_e32 v7, v7, v11, vcc
	v_lshrrev_b32_e32 v11, 23, v6
	v_add3_u32 v51, v53, v7, v11
	v_add_u32_e32 v11, 14, v51
	v_and_b32_e32 v7, 0x1fffff, v10
	v_add_u32_e32 v6, v7, v6
	v_mov_b32_e32 v7, v34
	v_cmp_ne_u32_e32 vcc, 0, v11
                                        ; implicit-def: $vgpr10
	s_and_saveexec_b64 s[28:29], vcc
	s_xor_b64 s[28:29], exec, s[28:29]
; %bb.13031:                            ;   in Loop: Header=BB6_11809 Depth=3
	v_cmp_lt_u64_e32 vcc, s[88:89], v[6:7]
	v_add_u32_e32 v10, 15, v51
	v_cndmask_b32_e32 v10, v11, v10, vcc
	v_cndmask_b32_e64 v11, 0, 1, vcc
	v_lshrrev_b64 v[6:7], v11, v[6:7]
; %bb.13032:                            ;   in Loop: Header=BB6_11809 Depth=3
	s_andn2_saveexec_b64 s[28:29], s[28:29]
; %bb.13033:                            ;   in Loop: Header=BB6_11809 Depth=3
	v_bfe_u32 v10, v6, 23, 1
; %bb.13034:                            ;   in Loop: Header=BB6_11809 Depth=3
	s_or_b64 exec, exec, s[28:29]
	v_lshrrev_b64 v[6:7], 21, v[6:7]
	v_cmp_gt_i32_e32 vcc, 32, v10
	v_cndmask_b32_e32 v7, 0, v7, vcc
	v_cndmask_b32_e32 v6, 3, v6, vcc
	v_cmp_ne_u64_e32 vcc, 0, v[6:7]
	v_cmp_ne_u32_e64 s[28:29], 0, v10
	s_or_b64 s[28:29], s[28:29], vcc
                                        ; implicit-def: $vgpr51
	s_and_saveexec_b64 vcc, s[28:29]
	s_xor_b64 s[28:29], exec, vcc
; %bb.13035:                            ;   in Loop: Header=BB6_11809 Depth=3
	v_min_i32_e32 v7, 31, v10
	v_lshl_or_b32 v7, v7, 2, v52
	v_and_or_b32 v51, v6, 3, v7
                                        ; implicit-def: $vgpr52
; %bb.13036:                            ;   in Loop: Header=BB6_11809 Depth=3
	s_andn2_saveexec_b64 s[28:29], s[28:29]
; %bb.13037:                            ;   in Loop: Header=BB6_11809 Depth=3
	v_mov_b32_e32 v51, v52
; %bb.13038:                            ;   in Loop: Header=BB6_11809 Depth=3
	s_or_b64 exec, exec, s[28:29]
.LBB6_13039:                            ;   in Loop: Header=BB6_11809 Depth=3
	s_or_b64 exec, exec, s[38:39]
                                        ; implicit-def: $vgpr52
.LBB6_13040:                            ;   in Loop: Header=BB6_11809 Depth=3
	s_andn2_saveexec_b64 s[28:29], s[36:37]
; %bb.13041:                            ;   in Loop: Header=BB6_11809 Depth=3
	v_or_b32_e32 v51, 0x7b, v52
; %bb.13042:                            ;   in Loop: Header=BB6_11809 Depth=3
	s_or_b64 exec, exec, s[28:29]
                                        ; implicit-def: $vgpr10
                                        ; implicit-def: $vgpr6_vgpr7
.LBB6_13043:                            ;   in Loop: Header=BB6_11809 Depth=3
	s_andn2_saveexec_b64 s[28:29], s[34:35]
	s_cbranch_execz .LBB6_13049
; %bb.13044:                            ;   in Loop: Header=BB6_11809 Depth=3
	v_cmp_ne_u64_e32 vcc, 0, v[6:7]
                                        ; implicit-def: $vgpr51
	s_and_saveexec_b64 s[34:35], vcc
	s_xor_b64 vcc, exec, s[34:35]
; %bb.13045:                            ;   in Loop: Header=BB6_11809 Depth=3
	v_or_b32_sdwa v51, v10, s83 dst_sel:DWORD dst_unused:UNUSED_PAD src0_sel:BYTE_3 src1_sel:DWORD
                                        ; implicit-def: $vgpr10
; %bb.13046:                            ;   in Loop: Header=BB6_11809 Depth=3
	s_andn2_saveexec_b64 s[34:35], vcc
; %bb.13047:                            ;   in Loop: Header=BB6_11809 Depth=3
	v_cmp_lt_i32_e32 vcc, -1, v10
	v_mov_b32_e32 v6, 0x7c
	v_cndmask_b32_e32 v51, -4, v6, vcc
; %bb.13048:                            ;   in Loop: Header=BB6_11809 Depth=3
	s_or_b64 exec, exec, s[34:35]
.LBB6_13049:                            ;   in Loop: Header=BB6_11809 Depth=3
	s_or_b64 exec, exec, s[28:29]
	buffer_load_dword v6, off, s[0:3], s33 offset:104 ; 4-byte Folded Reload
	buffer_load_dword v7, off, s[0:3], s33 offset:108 ; 4-byte Folded Reload
	s_waitcnt vmcnt(0)
	v_mov_b32_e32 v7, 0
	v_mov_b32_e32 v11, v6
	v_cmp_ne_u16_e32 vcc, 0, v11
	v_mov_b32_e32 v6, 0
	s_and_saveexec_b64 s[28:29], vcc
	s_cbranch_execz .LBB6_13057
; %bb.13050:                            ;   in Loop: Header=BB6_11809 Depth=3
	v_cmp_ne_u16_e32 vcc, s80, v11
	v_bfrev_b32_e32 v7, 1
	s_and_saveexec_b64 s[34:35], vcc
	s_cbranch_execz .LBB6_13056
; %bb.13051:                            ;   in Loop: Header=BB6_11809 Depth=3
	v_and_b32_e32 v7, 0x7c, v11
	v_and_b32_e32 v10, 3, v11
	v_cmp_ne_u32_e32 vcc, s81, v7
                                        ; implicit-def: $vgpr7
	s_and_saveexec_b64 s[36:37], vcc
	s_xor_b64 s[36:37], exec, s[36:37]
	s_cbranch_execz .LBB6_13053
; %bb.13052:                            ;   in Loop: Header=BB6_11809 Depth=3
	buffer_load_dword v54, off, s[0:3], s33 offset:104 ; 4-byte Folded Reload
	buffer_load_dword v55, off, s[0:3], s33 offset:108 ; 4-byte Folded Reload
	v_ffbh_u32_e32 v11, v10
	v_min_u32_e32 v11, 32, v11
	s_waitcnt vmcnt(0)
	v_mov_b32_e32 v55, v34
	v_subrev_u32_e32 v52, 29, v11
	v_sub_u32_e32 v11, 30, v11
	v_and_b32_e32 v7, 0xff, v54
	v_bfe_u32 v7, v7, 2, 5
	v_lshlrev_b64 v[52:53], v52, v[54:55]
	v_cmp_eq_u32_e32 vcc, 0, v7
	v_and_b32_e32 v52, 3, v52
	v_cndmask_b32_e32 v7, v7, v11, vcc
	v_and_b32_sdwa v11, sext(v54), s82 dst_sel:DWORD dst_unused:UNUSED_PAD src0_sel:WORD_0 src1_sel:DWORD
	v_cndmask_b32_e32 v10, v10, v52, vcc
	v_lshl_add_u32 v7, v7, 23, v11
	v_lshl_or_b32 v7, v10, 21, v7
	v_add_u32_e32 v7, 0x38000000, v7
                                        ; implicit-def: $vgpr11
                                        ; implicit-def: $vgpr10
	buffer_store_dword v11, off, s[0:3], s33 offset:104 ; 4-byte Folded Spill
	s_nop 0
	buffer_store_dword v12, off, s[0:3], s33 offset:108 ; 4-byte Folded Spill
.LBB6_13053:                            ;   in Loop: Header=BB6_11809 Depth=3
	s_andn2_saveexec_b64 s[36:37], s[36:37]
	s_cbranch_execz .LBB6_13055
; %bb.13054:                            ;   in Loop: Header=BB6_11809 Depth=3
	buffer_load_dword v52, off, s[0:3], s33 offset:104 ; 4-byte Folded Reload
	buffer_load_dword v53, off, s[0:3], s33 offset:108 ; 4-byte Folded Reload
	v_mov_b32_e32 v7, 0xff800000
	v_mov_b32_e32 v11, 0x7f800000
	s_waitcnt vmcnt(1)
	v_cmp_lt_i16_e32 vcc, -1, v52
	v_cndmask_b32_e32 v7, v7, v11, vcc
	v_cmp_eq_u32_e32 vcc, 0, v10
	v_mov_b32_e32 v10, 0x7f800001
	v_cndmask_b32_e32 v7, v10, v7, vcc
.LBB6_13055:                            ;   in Loop: Header=BB6_11809 Depth=3
	s_or_b64 exec, exec, s[36:37]
.LBB6_13056:                            ;   in Loop: Header=BB6_11809 Depth=3
	s_or_b64 exec, exec, s[34:35]
.LBB6_13057:                            ;   in Loop: Header=BB6_11809 Depth=3
	s_or_b64 exec, exec, s[28:29]
	buffer_load_dword v10, off, s[0:3], s33 offset:92 ; 4-byte Folded Reload
	buffer_load_dword v11, off, s[0:3], s33 offset:96 ; 4-byte Folded Reload
	s_waitcnt vmcnt(0)
	v_mov_b32_e32 v11, v10
	v_cmp_ne_u16_e32 vcc, 0, v11
	s_and_saveexec_b64 s[28:29], vcc
	s_cbranch_execz .LBB6_13065
; %bb.13058:                            ;   in Loop: Header=BB6_11809 Depth=3
	v_cmp_ne_u16_e32 vcc, s80, v11
	v_bfrev_b32_e32 v6, 1
	s_and_saveexec_b64 s[34:35], vcc
	s_cbranch_execz .LBB6_13064
; %bb.13059:                            ;   in Loop: Header=BB6_11809 Depth=3
	v_and_b32_e32 v6, 0x7c, v11
	v_and_b32_e32 v10, 3, v11
	v_cmp_ne_u32_e32 vcc, s81, v6
                                        ; implicit-def: $vgpr6
	s_and_saveexec_b64 s[36:37], vcc
	s_xor_b64 s[36:37], exec, s[36:37]
	s_cbranch_execz .LBB6_13061
; %bb.13060:                            ;   in Loop: Header=BB6_11809 Depth=3
	buffer_load_dword v54, off, s[0:3], s33 offset:92 ; 4-byte Folded Reload
	buffer_load_dword v55, off, s[0:3], s33 offset:96 ; 4-byte Folded Reload
	v_ffbh_u32_e32 v11, v10
	v_min_u32_e32 v11, 32, v11
	s_waitcnt vmcnt(0)
	v_mov_b32_e32 v55, v34
	v_subrev_u32_e32 v52, 29, v11
	v_sub_u32_e32 v11, 30, v11
	v_and_b32_e32 v6, 0xff, v54
	v_bfe_u32 v6, v6, 2, 5
	v_lshlrev_b64 v[52:53], v52, v[54:55]
	v_cmp_eq_u32_e32 vcc, 0, v6
	v_and_b32_e32 v52, 3, v52
	v_cndmask_b32_e32 v6, v6, v11, vcc
	v_and_b32_sdwa v11, sext(v54), s82 dst_sel:DWORD dst_unused:UNUSED_PAD src0_sel:WORD_0 src1_sel:DWORD
	v_cndmask_b32_e32 v10, v10, v52, vcc
	v_lshl_add_u32 v6, v6, 23, v11
	v_lshl_or_b32 v6, v10, 21, v6
	v_add_u32_e32 v6, 0x38000000, v6
                                        ; implicit-def: $vgpr11
                                        ; implicit-def: $vgpr10
	buffer_store_dword v11, off, s[0:3], s33 offset:92 ; 4-byte Folded Spill
	s_nop 0
	buffer_store_dword v12, off, s[0:3], s33 offset:96 ; 4-byte Folded Spill
.LBB6_13061:                            ;   in Loop: Header=BB6_11809 Depth=3
	s_andn2_saveexec_b64 s[36:37], s[36:37]
	s_cbranch_execz .LBB6_13063
; %bb.13062:                            ;   in Loop: Header=BB6_11809 Depth=3
	buffer_load_dword v52, off, s[0:3], s33 offset:92 ; 4-byte Folded Reload
	buffer_load_dword v53, off, s[0:3], s33 offset:96 ; 4-byte Folded Reload
	v_mov_b32_e32 v6, 0xff800000
	v_mov_b32_e32 v11, 0x7f800000
	s_waitcnt vmcnt(1)
	v_cmp_lt_i16_e32 vcc, -1, v52
	v_cndmask_b32_e32 v6, v6, v11, vcc
	v_cmp_eq_u32_e32 vcc, 0, v10
	v_mov_b32_e32 v10, 0x7f800001
	v_cndmask_b32_e32 v6, v10, v6, vcc
.LBB6_13063:                            ;   in Loop: Header=BB6_11809 Depth=3
	s_or_b64 exec, exec, s[36:37]
.LBB6_13064:                            ;   in Loop: Header=BB6_11809 Depth=3
	s_or_b64 exec, exec, s[34:35]
.LBB6_13065:                            ;   in Loop: Header=BB6_11809 Depth=3
	s_or_b64 exec, exec, s[28:29]
	v_mul_f32_e32 v11, v7, v6
	v_and_b32_e32 v52, 0x7f800000, v11
	s_waitcnt vmcnt(0)
	v_mov_b32_e32 v53, v34
	v_cmp_ne_u64_e32 vcc, s[76:77], v[52:53]
	v_and_b32_e32 v6, 0x7fffff, v11
	v_mov_b32_e32 v7, v34
                                        ; implicit-def: $vgpr10
	s_and_saveexec_b64 s[28:29], vcc
	s_xor_b64 s[34:35], exec, s[28:29]
	s_cbranch_execz .LBB6_13083
; %bb.13066:                            ;   in Loop: Header=BB6_11809 Depth=3
	v_and_b32_e32 v52, 0x7fffffff, v11
	v_mov_b32_e32 v53, v34
	v_cmp_gt_u64_e32 vcc, s[78:79], v[52:53]
	v_and_b32_sdwa v52, v11, s44 dst_sel:DWORD dst_unused:UNUSED_PAD src0_sel:BYTE_3 src1_sel:DWORD
                                        ; implicit-def: $vgpr10
	s_and_saveexec_b64 s[28:29], vcc
	s_xor_b64 s[36:37], exec, s[28:29]
	s_cbranch_execz .LBB6_13080
; %bb.13067:                            ;   in Loop: Header=BB6_11809 Depth=3
	v_cmp_ne_u32_e32 vcc, 0, v11
	v_mov_b32_e32 v10, 0
	s_and_saveexec_b64 s[38:39], vcc
	s_cbranch_execz .LBB6_13079
; %bb.13068:                            ;   in Loop: Header=BB6_11809 Depth=3
	v_bfe_u32 v53, v11, 23, 8
	v_cmp_gt_u32_e64 s[28:29], s45, v53
	v_sub_u32_e32 v10, 0x71, v53
	v_cmp_eq_u32_e32 vcc, 0, v53
	v_cndmask_b32_e64 v10, 0, v10, s[28:29]
	v_mov_b32_e32 v54, 0x70
	v_cndmask_b32_e32 v54, v10, v54, vcc
	v_or_b32_e32 v11, 0x800000, v6
	v_add_u32_e32 v10, 21, v54
	v_cndmask_b32_e32 v6, v11, v6, vcc
	v_lshlrev_b64 v[10:11], v10, -1
	v_add_u32_e32 v55, 20, v54
	v_bfi_b32 v10, v10, 0, v6
	v_lshlrev_b64 v[40:41], v55, 1
	v_lshrrev_b64 v[6:7], v54, v[6:7]
	v_bfi_b32 v11, v11, 0, 0
	v_cmp_eq_u64_e64 s[28:29], v[10:11], v[40:41]
	v_mov_b32_e32 v11, v7
	v_mov_b32_e32 v10, v6
	s_and_saveexec_b64 s[48:49], s[28:29]
; %bb.13069:                            ;   in Loop: Header=BB6_11809 Depth=3
	v_bfe_u32 v7, v6, 21, 1
	v_add_co_u32_e64 v7, s[28:29], v6, v7
	v_add_co_u32_e64 v10, s[28:29], -1, v7
; %bb.13070:                            ;   in Loop: Header=BB6_11809 Depth=3
	s_or_b64 exec, exec, s[48:49]
	v_add_u32_e32 v7, 0xffffff81, v53
	v_mov_b32_e32 v11, 0xffffff82
	v_cndmask_b32_e32 v7, v7, v11, vcc
	v_lshrrev_b32_e32 v11, 23, v6
	v_add3_u32 v54, v54, v7, v11
	v_add_u32_e32 v53, 14, v54
	v_and_b32_e32 v7, 0x1fffff, v10
	v_add_u32_e32 v6, v7, v6
	v_mov_b32_e32 v7, v34
	v_cmp_ne_u32_e32 vcc, 0, v53
                                        ; implicit-def: $vgpr11
	s_and_saveexec_b64 s[28:29], vcc
	s_xor_b64 s[28:29], exec, s[28:29]
; %bb.13071:                            ;   in Loop: Header=BB6_11809 Depth=3
	v_cmp_lt_u64_e32 vcc, s[88:89], v[6:7]
	v_add_u32_e32 v10, 15, v54
	v_cndmask_b32_e32 v11, v53, v10, vcc
	v_cndmask_b32_e64 v10, 0, 1, vcc
	v_lshrrev_b64 v[6:7], v10, v[6:7]
; %bb.13072:                            ;   in Loop: Header=BB6_11809 Depth=3
	s_andn2_saveexec_b64 s[28:29], s[28:29]
; %bb.13073:                            ;   in Loop: Header=BB6_11809 Depth=3
	v_bfe_u32 v11, v6, 23, 1
; %bb.13074:                            ;   in Loop: Header=BB6_11809 Depth=3
	s_or_b64 exec, exec, s[28:29]
	v_lshrrev_b64 v[6:7], 21, v[6:7]
	v_cmp_gt_i32_e32 vcc, 32, v11
	v_cndmask_b32_e32 v7, 0, v7, vcc
	v_cndmask_b32_e32 v6, 3, v6, vcc
	v_cmp_ne_u64_e32 vcc, 0, v[6:7]
	v_cmp_ne_u32_e64 s[28:29], 0, v11
	s_or_b64 s[28:29], s[28:29], vcc
                                        ; implicit-def: $vgpr10
	s_and_saveexec_b64 vcc, s[28:29]
	s_xor_b64 s[28:29], exec, vcc
; %bb.13075:                            ;   in Loop: Header=BB6_11809 Depth=3
	v_min_i32_e32 v7, 31, v11
	v_lshl_or_b32 v7, v7, 2, v52
	v_and_or_b32 v10, v6, 3, v7
                                        ; implicit-def: $vgpr52
; %bb.13076:                            ;   in Loop: Header=BB6_11809 Depth=3
	s_andn2_saveexec_b64 s[28:29], s[28:29]
; %bb.13077:                            ;   in Loop: Header=BB6_11809 Depth=3
	v_mov_b32_e32 v10, v52
; %bb.13078:                            ;   in Loop: Header=BB6_11809 Depth=3
	s_or_b64 exec, exec, s[28:29]
.LBB6_13079:                            ;   in Loop: Header=BB6_11809 Depth=3
	s_or_b64 exec, exec, s[38:39]
                                        ; implicit-def: $vgpr52
.LBB6_13080:                            ;   in Loop: Header=BB6_11809 Depth=3
	s_andn2_saveexec_b64 s[28:29], s[36:37]
; %bb.13081:                            ;   in Loop: Header=BB6_11809 Depth=3
	v_or_b32_e32 v10, 0x7b, v52
; %bb.13082:                            ;   in Loop: Header=BB6_11809 Depth=3
	s_or_b64 exec, exec, s[28:29]
                                        ; implicit-def: $vgpr11
                                        ; implicit-def: $vgpr6_vgpr7
.LBB6_13083:                            ;   in Loop: Header=BB6_11809 Depth=3
	s_andn2_saveexec_b64 s[28:29], s[34:35]
	s_cbranch_execz .LBB6_11808
; %bb.13084:                            ;   in Loop: Header=BB6_11809 Depth=3
	v_cmp_ne_u64_e32 vcc, 0, v[6:7]
                                        ; implicit-def: $vgpr10
	s_and_saveexec_b64 s[34:35], vcc
	s_xor_b64 vcc, exec, s[34:35]
; %bb.13085:                            ;   in Loop: Header=BB6_11809 Depth=3
	v_or_b32_sdwa v10, v11, s83 dst_sel:DWORD dst_unused:UNUSED_PAD src0_sel:BYTE_3 src1_sel:DWORD
                                        ; implicit-def: $vgpr11
; %bb.13086:                            ;   in Loop: Header=BB6_11809 Depth=3
	s_andn2_saveexec_b64 s[34:35], vcc
	s_cbranch_execz .LBB6_11807
; %bb.13087:                            ;   in Loop: Header=BB6_11809 Depth=3
	v_cmp_lt_i32_e32 vcc, -1, v11
	v_mov_b32_e32 v6, 0x7c
	v_cndmask_b32_e32 v10, -4, v6, vcc
	s_branch .LBB6_11807
.LBB6_13088:                            ;   in Loop: Header=BB6_4663 Depth=2
	s_or_b64 exec, exec, s[30:31]
	buffer_load_dword v58, off, s[0:3], s33 offset:440 ; 4-byte Folded Reload
	buffer_load_dword v4, off, s[0:3], s33 offset:384 ; 4-byte Folded Reload
	;; [unrolled: 1-line block ×4, first 2 shown]
.LBB6_13089:                            ;   in Loop: Header=BB6_4663 Depth=2
	s_or_b64 exec, exec, s[42:43]
	s_waitcnt vmcnt(0)
	v_lshlrev_b32_e32 v1, 11, v2
	v_cmp_ne_u32_e32 vcc, v3, v1
	s_and_b64 exec, exec, vcc
	s_cbranch_execz .LBB6_13133
; %bb.13090:                            ;   in Loop: Header=BB6_4663 Depth=2
	v_ashrrev_i32_e32 v2, 31, v5
	v_lshrrev_b32_e32 v2, 26, v2
	v_add_u32_e32 v2, v5, v2
	v_and_b32_e32 v2, 0xffffffc0, v2
	v_sub_u32_e32 v2, v5, v2
	v_lshlrev_b32_e32 v0, 6, v0
	v_sub_u32_e32 v0, v2, v0
	v_add_u32_e32 v0, v1, v0
	v_sub_u32_e32 v9, v3, v0
	v_cmp_lt_i32_e32 vcc, 0, v9
	s_and_b64 exec, exec, vcc
	s_cbranch_execz .LBB6_13133
; %bb.13091:                            ;   in Loop: Header=BB6_4663 Depth=2
	v_add_u32_e32 v6, v0, v4
	s_trap 2
	ds_read_b128 v[0:3], v0
	v_ashrrev_i32_e32 v7, 31, v6
	s_mov_b64 s[42:43], 0
	s_waitcnt lgkmcnt(0)
	v_add_co_u32_e32 v0, vcc, v0, v6
	ds_read_b64 v[4:5], v0
	v_addc_co_u32_e32 v1, vcc, v1, v7, vcc
	v_add_co_u32_e32 v2, vcc, v2, v6
	v_addc_co_u32_e32 v3, vcc, v3, v7, vcc
	s_waitcnt lgkmcnt(0)
	v_add_co_u32_e32 v4, vcc, v4, v6
	v_addc_co_u32_e32 v5, vcc, v5, v7, vcc
	s_branch .LBB6_13094
.LBB6_13092:                            ;   in Loop: Header=BB6_13094 Depth=3
	s_or_b64 exec, exec, s[30:31]
.LBB6_13093:                            ;   in Loop: Header=BB6_13094 Depth=3
	s_or_b64 exec, exec, s[28:29]
	buffer_load_dword v6, off, s[0:3], s33 offset:276 ; 4-byte Folded Reload
	s_waitcnt vmcnt(0)
	v_add_co_u32_e32 v0, vcc, v0, v6
	v_addc_co_u32_e32 v1, vcc, 0, v1, vcc
	v_add_co_u32_e32 v2, vcc, v2, v6
	v_addc_co_u32_e32 v3, vcc, 0, v3, vcc
	v_sub_u32_e32 v9, v9, v6
	v_cmp_gt_i32_e32 vcc, 1, v9
	flat_store_byte v[4:5], v8 glc slc
	s_or_b64 s[42:43], vcc, s[42:43]
	v_add_co_u32_e32 v4, vcc, v4, v6
	v_addc_co_u32_e32 v5, vcc, 0, v5, vcc
	s_andn2_b64 exec, exec, s[42:43]
	s_cbranch_execz .LBB6_13133
.LBB6_13094:                            ;   Parent Loop BB6_47 Depth=1
                                        ;     Parent Loop BB6_4663 Depth=2
                                        ; =>    This Inner Loop Header: Depth=3
	flat_load_sbyte v7, v[0:1] glc slc
	flat_load_sbyte v6, v[2:3] glc slc
	v_mov_b32_e32 v10, 0
	v_mov_b32_e32 v8, 0
	s_waitcnt vmcnt(0) lgkmcnt(0)
	v_cmp_ne_u16_e32 vcc, 0, v7
	s_and_saveexec_b64 s[28:29], vcc
	s_cbranch_execz .LBB6_13102
; %bb.13095:                            ;   in Loop: Header=BB6_13094 Depth=3
	v_cmp_ne_u16_e32 vcc, s80, v7
	v_bfrev_b32_e32 v8, 1
	s_and_saveexec_b64 s[30:31], vcc
	s_cbranch_execz .LBB6_13101
; %bb.13096:                            ;   in Loop: Header=BB6_13094 Depth=3
	v_and_b32_e32 v8, 0x7c, v7
	v_and_b32_e32 v11, 3, v7
	v_cmp_ne_u32_e32 vcc, s81, v8
                                        ; implicit-def: $vgpr8
	s_and_saveexec_b64 s[34:35], vcc
	s_xor_b64 s[34:35], exec, s[34:35]
	s_cbranch_execz .LBB6_13098
; %bb.13097:                            ;   in Loop: Header=BB6_13094 Depth=3
	v_and_b32_e32 v12, 0xff, v7
	v_bfe_u32 v14, v12, 2, 5
	v_ffbh_u32_e32 v12, v11
	v_min_u32_e32 v15, 32, v12
	v_mov_b32_e32 v8, v34
	v_subrev_u32_e32 v12, 29, v15
	v_lshlrev_b64 v[12:13], v12, v[7:8]
	v_sub_u32_e32 v8, 30, v15
	v_cmp_eq_u32_e32 vcc, 0, v14
	v_and_b32_e32 v12, 3, v12
	v_cndmask_b32_e32 v8, v14, v8, vcc
	v_and_b32_sdwa v7, sext(v7), s82 dst_sel:DWORD dst_unused:UNUSED_PAD src0_sel:WORD_0 src1_sel:DWORD
	v_cndmask_b32_e32 v11, v11, v12, vcc
	v_lshl_add_u32 v7, v8, 23, v7
	v_lshl_or_b32 v7, v11, 21, v7
	v_add_u32_e32 v8, 0x38000000, v7
                                        ; implicit-def: $vgpr11
                                        ; implicit-def: $vgpr7
.LBB6_13098:                            ;   in Loop: Header=BB6_13094 Depth=3
	s_andn2_saveexec_b64 s[34:35], s[34:35]
; %bb.13099:                            ;   in Loop: Header=BB6_13094 Depth=3
	v_cmp_lt_i16_e32 vcc, -1, v7
	v_mov_b32_e32 v7, 0xff800000
	v_mov_b32_e32 v8, 0x7f800000
	v_cndmask_b32_e32 v7, v7, v8, vcc
	v_cmp_eq_u32_e32 vcc, 0, v11
	v_mov_b32_e32 v8, 0x7f800001
	v_cndmask_b32_e32 v8, v8, v7, vcc
; %bb.13100:                            ;   in Loop: Header=BB6_13094 Depth=3
	s_or_b64 exec, exec, s[34:35]
.LBB6_13101:                            ;   in Loop: Header=BB6_13094 Depth=3
	s_or_b64 exec, exec, s[30:31]
.LBB6_13102:                            ;   in Loop: Header=BB6_13094 Depth=3
	s_or_b64 exec, exec, s[28:29]
	v_cmp_ne_u16_e32 vcc, 0, v6
	s_and_saveexec_b64 s[28:29], vcc
	s_cbranch_execz .LBB6_13110
; %bb.13103:                            ;   in Loop: Header=BB6_13094 Depth=3
	v_cmp_ne_u16_e32 vcc, s80, v6
	v_bfrev_b32_e32 v10, 1
	s_and_saveexec_b64 s[30:31], vcc
	s_cbranch_execz .LBB6_13109
; %bb.13104:                            ;   in Loop: Header=BB6_13094 Depth=3
	v_and_b32_e32 v7, 0x7c, v6
	v_and_b32_e32 v11, 3, v6
	v_cmp_ne_u32_e32 vcc, s81, v7
                                        ; implicit-def: $vgpr10
	s_and_saveexec_b64 s[34:35], vcc
	s_xor_b64 s[34:35], exec, s[34:35]
	s_cbranch_execz .LBB6_13106
; %bb.13105:                            ;   in Loop: Header=BB6_13094 Depth=3
	v_ffbh_u32_e32 v13, v11
	v_and_b32_e32 v7, 0xff, v6
	v_min_u32_e32 v13, 32, v13
	v_bfe_u32 v10, v7, 2, 5
	v_mov_b32_e32 v7, v34
	v_subrev_u32_e32 v14, 29, v13
	v_and_b32_sdwa v12, sext(v6), s82 dst_sel:DWORD dst_unused:UNUSED_PAD src0_sel:WORD_0 src1_sel:DWORD
	v_lshlrev_b64 v[6:7], v14, v[6:7]
	v_sub_u32_e32 v7, 30, v13
	v_cmp_eq_u32_e32 vcc, 0, v10
	v_and_b32_e32 v6, 3, v6
	v_cndmask_b32_e32 v7, v10, v7, vcc
	v_cndmask_b32_e32 v6, v11, v6, vcc
	v_lshl_add_u32 v7, v7, 23, v12
	v_lshl_or_b32 v6, v6, 21, v7
	v_add_u32_e32 v10, 0x38000000, v6
                                        ; implicit-def: $vgpr6
                                        ; implicit-def: $vgpr11
.LBB6_13106:                            ;   in Loop: Header=BB6_13094 Depth=3
	s_andn2_saveexec_b64 s[34:35], s[34:35]
; %bb.13107:                            ;   in Loop: Header=BB6_13094 Depth=3
	v_cmp_lt_i16_e32 vcc, -1, v6
	v_mov_b32_e32 v6, 0xff800000
	v_mov_b32_e32 v7, 0x7f800000
	v_cndmask_b32_e32 v6, v6, v7, vcc
	v_cmp_eq_u32_e32 vcc, 0, v11
	v_mov_b32_e32 v7, 0x7f800001
	v_cndmask_b32_e32 v10, v7, v6, vcc
; %bb.13108:                            ;   in Loop: Header=BB6_13094 Depth=3
	s_or_b64 exec, exec, s[34:35]
.LBB6_13109:                            ;   in Loop: Header=BB6_13094 Depth=3
	s_or_b64 exec, exec, s[30:31]
.LBB6_13110:                            ;   in Loop: Header=BB6_13094 Depth=3
	s_or_b64 exec, exec, s[28:29]
	v_mul_f32_e32 v11, v8, v10
	v_and_b32_e32 v7, 0x7f800000, v11
	v_mov_b32_e32 v8, v34
	v_cmp_ne_u64_e32 vcc, s[76:77], v[7:8]
	v_and_b32_e32 v6, 0x7fffff, v11
	v_mov_b32_e32 v7, v34
                                        ; implicit-def: $vgpr8
	s_and_saveexec_b64 s[28:29], vcc
	s_xor_b64 s[30:31], exec, s[28:29]
	s_cbranch_execz .LBB6_13128
; %bb.13111:                            ;   in Loop: Header=BB6_13094 Depth=3
	v_and_b32_e32 v12, 0x7fffffff, v11
	v_mov_b32_e32 v13, v34
	v_cmp_gt_u64_e32 vcc, s[78:79], v[12:13]
	v_and_b32_sdwa v10, v11, s44 dst_sel:DWORD dst_unused:UNUSED_PAD src0_sel:BYTE_3 src1_sel:DWORD
                                        ; implicit-def: $vgpr8
	s_and_saveexec_b64 s[28:29], vcc
	s_xor_b64 s[34:35], exec, s[28:29]
	s_cbranch_execz .LBB6_13125
; %bb.13112:                            ;   in Loop: Header=BB6_13094 Depth=3
	v_cmp_ne_u32_e32 vcc, 0, v11
	v_mov_b32_e32 v8, 0
	s_and_saveexec_b64 s[36:37], vcc
	s_cbranch_execz .LBB6_13124
; %bb.13113:                            ;   in Loop: Header=BB6_13094 Depth=3
	v_bfe_u32 v11, v11, 23, 8
	v_cmp_gt_u32_e64 s[28:29], s45, v11
	v_sub_u32_e32 v8, 0x71, v11
	v_cmp_eq_u32_e32 vcc, 0, v11
	v_cndmask_b32_e64 v8, 0, v8, s[28:29]
	v_mov_b32_e32 v12, 0x70
	v_cndmask_b32_e32 v12, v8, v12, vcc
	v_or_b32_e32 v13, 0x800000, v6
	v_add_u32_e32 v8, 21, v12
	v_cndmask_b32_e32 v6, v13, v6, vcc
	v_lshlrev_b64 v[13:14], v8, -1
	v_add_u32_e32 v8, 20, v12
	v_bfi_b32 v13, v13, 0, v6
	v_lshlrev_b64 v[15:16], v8, 1
	v_lshrrev_b64 v[6:7], v12, v[6:7]
	v_bfi_b32 v14, v14, 0, 0
	v_cmp_eq_u64_e64 s[28:29], v[13:14], v[15:16]
	v_mov_b32_e32 v8, v7
	v_mov_b32_e32 v7, v6
	s_and_saveexec_b64 s[38:39], s[28:29]
; %bb.13114:                            ;   in Loop: Header=BB6_13094 Depth=3
	v_bfe_u32 v7, v6, 21, 1
	v_add_co_u32_e64 v7, s[28:29], v6, v7
	v_add_co_u32_e64 v7, s[28:29], -1, v7
; %bb.13115:                            ;   in Loop: Header=BB6_13094 Depth=3
	s_or_b64 exec, exec, s[38:39]
	v_add_u32_e32 v8, 0xffffff81, v11
	v_mov_b32_e32 v11, 0xffffff82
	v_cndmask_b32_e32 v8, v8, v11, vcc
	v_lshrrev_b32_e32 v11, 23, v6
	v_add3_u32 v12, v12, v8, v11
	v_add_u32_e32 v8, 14, v12
	v_and_b32_e32 v7, 0x1fffff, v7
	v_add_u32_e32 v6, v7, v6
	v_mov_b32_e32 v7, v34
	v_cmp_ne_u32_e32 vcc, 0, v8
                                        ; implicit-def: $vgpr11
	s_and_saveexec_b64 s[28:29], vcc
	s_xor_b64 s[28:29], exec, s[28:29]
; %bb.13116:                            ;   in Loop: Header=BB6_13094 Depth=3
	v_cmp_lt_u64_e32 vcc, s[88:89], v[6:7]
	v_add_u32_e32 v11, 15, v12
	v_cndmask_b32_e32 v11, v8, v11, vcc
	v_cndmask_b32_e64 v8, 0, 1, vcc
	v_lshrrev_b64 v[6:7], v8, v[6:7]
; %bb.13117:                            ;   in Loop: Header=BB6_13094 Depth=3
	s_andn2_saveexec_b64 s[28:29], s[28:29]
; %bb.13118:                            ;   in Loop: Header=BB6_13094 Depth=3
	v_bfe_u32 v11, v6, 23, 1
; %bb.13119:                            ;   in Loop: Header=BB6_13094 Depth=3
	s_or_b64 exec, exec, s[28:29]
	v_lshrrev_b64 v[6:7], 21, v[6:7]
	v_cmp_gt_i32_e32 vcc, 32, v11
	v_cndmask_b32_e32 v7, 0, v7, vcc
	v_cndmask_b32_e32 v6, 3, v6, vcc
	v_cmp_ne_u64_e32 vcc, 0, v[6:7]
	v_cmp_ne_u32_e64 s[28:29], 0, v11
	s_or_b64 s[28:29], s[28:29], vcc
                                        ; implicit-def: $vgpr8
	s_and_saveexec_b64 vcc, s[28:29]
	s_xor_b64 s[28:29], exec, vcc
; %bb.13120:                            ;   in Loop: Header=BB6_13094 Depth=3
	v_min_i32_e32 v7, 31, v11
	v_lshl_or_b32 v7, v7, 2, v10
	v_and_or_b32 v8, v6, 3, v7
                                        ; implicit-def: $vgpr10
; %bb.13121:                            ;   in Loop: Header=BB6_13094 Depth=3
	s_andn2_saveexec_b64 s[28:29], s[28:29]
; %bb.13122:                            ;   in Loop: Header=BB6_13094 Depth=3
	v_mov_b32_e32 v8, v10
; %bb.13123:                            ;   in Loop: Header=BB6_13094 Depth=3
	s_or_b64 exec, exec, s[28:29]
.LBB6_13124:                            ;   in Loop: Header=BB6_13094 Depth=3
	s_or_b64 exec, exec, s[36:37]
                                        ; implicit-def: $vgpr10
.LBB6_13125:                            ;   in Loop: Header=BB6_13094 Depth=3
	s_andn2_saveexec_b64 s[28:29], s[34:35]
; %bb.13126:                            ;   in Loop: Header=BB6_13094 Depth=3
	v_or_b32_e32 v8, 0x7b, v10
; %bb.13127:                            ;   in Loop: Header=BB6_13094 Depth=3
	s_or_b64 exec, exec, s[28:29]
                                        ; implicit-def: $vgpr11
                                        ; implicit-def: $vgpr6_vgpr7
.LBB6_13128:                            ;   in Loop: Header=BB6_13094 Depth=3
	s_andn2_saveexec_b64 s[28:29], s[30:31]
	s_cbranch_execz .LBB6_13093
; %bb.13129:                            ;   in Loop: Header=BB6_13094 Depth=3
	v_cmp_ne_u64_e32 vcc, 0, v[6:7]
                                        ; implicit-def: $vgpr8
	s_and_saveexec_b64 s[30:31], vcc
	s_xor_b64 vcc, exec, s[30:31]
; %bb.13130:                            ;   in Loop: Header=BB6_13094 Depth=3
	v_or_b32_sdwa v8, v11, s83 dst_sel:DWORD dst_unused:UNUSED_PAD src0_sel:BYTE_3 src1_sel:DWORD
                                        ; implicit-def: $vgpr11
; %bb.13131:                            ;   in Loop: Header=BB6_13094 Depth=3
	s_andn2_saveexec_b64 s[30:31], vcc
	s_cbranch_execz .LBB6_13092
; %bb.13132:                            ;   in Loop: Header=BB6_13094 Depth=3
	v_cmp_lt_i32_e32 vcc, -1, v11
	v_mov_b32_e32 v6, 0x7c
	v_cndmask_b32_e32 v8, -4, v6, vcc
	s_branch .LBB6_13092
.LBB6_13133:                            ;   in Loop: Header=BB6_4663 Depth=2
	s_or_b64 exec, exec, s[40:41]
.LBB6_13134:                            ;   in Loop: Header=BB6_4663 Depth=2
	buffer_load_dword v0, off, s[0:3], s33 offset:432 ; 4-byte Folded Reload
	s_waitcnt vmcnt(0)
	v_cmp_lt_i32_e64 s[28:29], 0, v0
	s_and_saveexec_b64 s[40:41], s[10:11]
	s_cbranch_execnz .LBB6_13135
; %bb.13783:                            ;   in Loop: Header=BB6_4663 Depth=2
	s_getpc_b64 s[98:99]
.Lpost_getpc25:
	s_add_u32 s98, s98, (.LBB6_4739-.Lpost_getpc25)&4294967295
	s_addc_u32 s99, s99, (.LBB6_4739-.Lpost_getpc25)>>32
	s_setpc_b64 s[98:99]
.LBB6_13135:                            ;   in Loop: Header=BB6_4663 Depth=2
	s_and_saveexec_b64 s[42:43], s[58:59]
	s_xor_b64 s[42:43], exec, s[42:43]
	s_cbranch_execz .LBB6_13150
; %bb.13136:                            ;   in Loop: Header=BB6_4663 Depth=2
	s_and_saveexec_b64 s[30:31], s[16:17]
	s_cbranch_execz .LBB6_13149
; %bb.13137:                            ;   in Loop: Header=BB6_4663 Depth=2
	s_mov_b64 s[36:37], exec
	v_mbcnt_lo_u32_b32 v0, s36, 0
	v_mbcnt_hi_u32_b32 v0, s37, v0
	v_cmp_eq_u32_e32 vcc, 0, v0
	s_waitcnt vmcnt(0) lgkmcnt(0)
	buffer_wbinvl1_vol
	s_and_saveexec_b64 s[34:35], vcc
	s_cbranch_execz .LBB6_13139
; %bb.13138:                            ;   in Loop: Header=BB6_4663 Depth=2
	s_bcnt1_i32_b64 s47, s[36:37]
	v_mov_b32_e32 v0, s47
	v_mov_b32_e32 v1, v34
	ds_add_u64 v0, v[0:1]
	s_trap 2
.LBB6_13139:                            ;   in Loop: Header=BB6_4663 Depth=2
	s_or_b64 exec, exec, s[34:35]
	s_trap 2
	ds_read_b64 v[0:1], v0
	s_waitcnt lgkmcnt(0)
	buffer_load_dword v2, off, s[0:3], s33 offset:76 ; 4-byte Folded Reload
	buffer_load_dword v3, off, s[0:3], s33 offset:80 ; 4-byte Folded Reload
	s_waitcnt vmcnt(1)
	v_add_co_u32_e32 v2, vcc, v2, v39
	s_waitcnt vmcnt(0)
	v_addc_co_u32_e32 v3, vcc, 0, v3, vcc
	buffer_store_dword v2, off, s[0:3], s33 offset:76 ; 4-byte Folded Spill
	s_nop 0
	buffer_store_dword v3, off, s[0:3], s33 offset:80 ; 4-byte Folded Spill
	v_cmp_lt_u64_e32 vcc, v[0:1], v[2:3]
	s_and_saveexec_b64 s[34:35], vcc
	s_cbranch_execz .LBB6_13148
; %bb.13140:                            ;   in Loop: Header=BB6_4663 Depth=2
	s_mov_b32 s47, 0
	s_mov_b64 s[36:37], 0
                                        ; implicit-def: $sgpr38_sgpr39
                                        ; implicit-def: $sgpr48_sgpr49
	s_branch .LBB6_13142
.LBB6_13141:                            ;   in Loop: Header=BB6_13142 Depth=3
	s_or_b64 exec, exec, s[52:53]
	s_and_b64 vcc, exec, vcc
	s_or_b64 s[36:37], vcc, s[36:37]
	s_andn2_b64 vcc, s[38:39], exec
	s_and_b64 s[38:39], s[48:49], exec
	s_or_b64 s[38:39], vcc, s[38:39]
	s_andn2_b64 exec, exec, s[36:37]
	s_cbranch_execz .LBB6_13146
.LBB6_13142:                            ;   Parent Loop BB6_47 Depth=1
                                        ;     Parent Loop BB6_4663 Depth=2
                                        ; =>    This Inner Loop Header: Depth=3
	s_add_i32 s47, s47, 1
	s_cmpk_lg_i32 s47, 0x2710
	s_cselect_b64 s[50:51], -1, 0
	s_and_b64 vcc, exec, s[50:51]
	s_cbranch_vccz .LBB6_13144
; %bb.13143:                            ;   in Loop: Header=BB6_13142 Depth=3
	s_mov_b64 vcc, -1
	s_or_b64 s[48:49], s[48:49], exec
	s_and_saveexec_b64 s[52:53], s[50:51]
	s_cbranch_execz .LBB6_13141
	s_branch .LBB6_13145
.LBB6_13144:                            ;   in Loop: Header=BB6_13142 Depth=3
	s_trap 2
	ds_read_b64 v[0:1], v0
	s_andn2_b64 s[50:51], s[50:51], exec
	s_mov_b32 s47, 0
	s_waitcnt vmcnt(0) lgkmcnt(0)
	flat_load_dword v0, v[0:1] glc
	s_waitcnt vmcnt(0) lgkmcnt(0)
	buffer_wbinvl1_vol
	v_cmp_eq_u32_e32 vcc, 0, v0
	s_and_b64 vcc, vcc, exec
	s_or_b64 s[50:51], s[50:51], vcc
	s_mov_b64 vcc, -1
	s_or_b64 s[48:49], s[48:49], exec
	s_and_saveexec_b64 s[52:53], s[50:51]
	s_cbranch_execz .LBB6_13141
.LBB6_13145:                            ;   in Loop: Header=BB6_13142 Depth=3
	s_sleep 1
	s_trap 2
	ds_read_b64 v[0:1], v0
	s_waitcnt lgkmcnt(0)
	buffer_load_dword v2, off, s[0:3], s33 offset:76 ; 4-byte Folded Reload
	buffer_load_dword v3, off, s[0:3], s33 offset:80 ; 4-byte Folded Reload
	s_andn2_b64 s[48:49], s[48:49], exec
	s_waitcnt vmcnt(0)
	v_cmp_ge_u64_e32 vcc, v[0:1], v[2:3]
	s_orn2_b64 vcc, vcc, exec
	s_branch .LBB6_13141
.LBB6_13146:                            ;   in Loop: Header=BB6_4663 Depth=2
	s_or_b64 exec, exec, s[36:37]
	s_and_saveexec_b64 vcc, s[38:39]
	s_xor_b64 vcc, exec, vcc
	s_cbranch_execz .LBB6_13148
; %bb.13147:                            ;   in Loop: Header=BB6_4663 Depth=2
	v_mov_b32_e32 v0, 1
	ds_write_b32 v0, v0
	s_trap 2
.LBB6_13148:                            ;   in Loop: Header=BB6_4663 Depth=2
	s_or_b64 exec, exec, s[34:35]
	;;#ASMSTART
	s_wakeup
	;;#ASMEND
.LBB6_13149:                            ;   in Loop: Header=BB6_4663 Depth=2
	s_or_b64 exec, exec, s[30:31]
.LBB6_13150:                            ;   in Loop: Header=BB6_4663 Depth=2
	s_andn2_saveexec_b64 s[42:43], s[42:43]
	s_cbranch_execz .LBB6_13152
; %bb.13151:                            ;   in Loop: Header=BB6_4663 Depth=2
	s_waitcnt vmcnt(0) lgkmcnt(0)
	buffer_wbinvl1_vol
	s_barrier
.LBB6_13152:                            ;   in Loop: Header=BB6_4663 Depth=2
	s_or_b64 exec, exec, s[42:43]
	s_or_b64 exec, exec, s[40:41]
                                        ; implicit-def: $vgpr0
	s_and_saveexec_b64 s[40:41], s[24:25]
	s_xor_b64 s[40:41], exec, s[40:41]
	s_cbranch_execz .LBB6_13153
; %bb.13785:                            ;   in Loop: Header=BB6_4663 Depth=2
	s_getpc_b64 s[98:99]
.Lpost_getpc26:
	s_add_u32 s98, s98, (.LBB6_4740-.Lpost_getpc26)&4294967295
	s_addc_u32 s99, s99, (.LBB6_4740-.Lpost_getpc26)>>32
	s_setpc_b64 s[98:99]
.LBB6_13153:                            ;   in Loop: Header=BB6_4663 Depth=2
	s_andn2_saveexec_b64 s[28:29], s[40:41]
	s_cbranch_execz .LBB6_13172
.LBB6_13154:                            ;   in Loop: Header=BB6_4663 Depth=2
	s_and_saveexec_b64 s[40:41], s[58:59]
	s_xor_b64 s[40:41], exec, s[40:41]
	s_cbranch_execz .LBB6_13169
; %bb.13155:                            ;   in Loop: Header=BB6_4663 Depth=2
	s_and_saveexec_b64 s[42:43], s[16:17]
	s_cbranch_execz .LBB6_13168
; %bb.13156:                            ;   in Loop: Header=BB6_4663 Depth=2
	s_mov_b64 s[34:35], exec
	v_mbcnt_lo_u32_b32 v0, s34, 0
	v_mbcnt_hi_u32_b32 v0, s35, v0
	v_cmp_eq_u32_e32 vcc, 0, v0
	;;#ASMSTART
	s_waitcnt lgkmcnt(0) vmcnt(0)
	;;#ASMEND
	s_and_saveexec_b64 s[30:31], vcc
	s_cbranch_execz .LBB6_13158
; %bb.13157:                            ;   in Loop: Header=BB6_4663 Depth=2
	s_bcnt1_i32_b64 s47, s[34:35]
	v_mov_b32_e32 v0, s47
	v_mov_b32_e32 v1, v34
	s_waitcnt lgkmcnt(0)
	ds_add_u64 v0, v[0:1]
	s_trap 2
.LBB6_13158:                            ;   in Loop: Header=BB6_4663 Depth=2
	s_or_b64 exec, exec, s[30:31]
	s_trap 2
	ds_read_b64 v[0:1], v0
	s_waitcnt lgkmcnt(0)
	buffer_load_dword v2, off, s[0:3], s33 offset:76 ; 4-byte Folded Reload
	buffer_load_dword v3, off, s[0:3], s33 offset:80 ; 4-byte Folded Reload
	s_waitcnt vmcnt(1)
	v_add_co_u32_e32 v2, vcc, v2, v39
	s_waitcnt vmcnt(0)
	v_addc_co_u32_e32 v3, vcc, 0, v3, vcc
	buffer_store_dword v2, off, s[0:3], s33 offset:76 ; 4-byte Folded Spill
	s_nop 0
	buffer_store_dword v3, off, s[0:3], s33 offset:80 ; 4-byte Folded Spill
	v_cmp_lt_u64_e32 vcc, v[0:1], v[2:3]
	s_and_saveexec_b64 s[30:31], vcc
	s_cbranch_execz .LBB6_13167
; %bb.13159:                            ;   in Loop: Header=BB6_4663 Depth=2
	s_mov_b32 s47, 0
	s_mov_b64 s[34:35], 0
                                        ; implicit-def: $sgpr36_sgpr37
                                        ; implicit-def: $sgpr38_sgpr39
	s_branch .LBB6_13161
.LBB6_13160:                            ;   in Loop: Header=BB6_13161 Depth=3
	s_or_b64 exec, exec, s[50:51]
	s_and_b64 vcc, exec, vcc
	s_or_b64 s[34:35], vcc, s[34:35]
	s_andn2_b64 vcc, s[36:37], exec
	s_and_b64 s[36:37], s[38:39], exec
	s_or_b64 s[36:37], vcc, s[36:37]
	s_andn2_b64 exec, exec, s[34:35]
	s_cbranch_execz .LBB6_13165
.LBB6_13161:                            ;   Parent Loop BB6_47 Depth=1
                                        ;     Parent Loop BB6_4663 Depth=2
                                        ; =>    This Inner Loop Header: Depth=3
	s_add_i32 s47, s47, 1
	s_cmpk_lg_i32 s47, 0x2710
	s_cselect_b64 s[48:49], -1, 0
	s_and_b64 vcc, exec, s[48:49]
	s_cbranch_vccz .LBB6_13163
; %bb.13162:                            ;   in Loop: Header=BB6_13161 Depth=3
	s_mov_b64 vcc, -1
	s_or_b64 s[38:39], s[38:39], exec
	s_and_saveexec_b64 s[50:51], s[48:49]
	s_cbranch_execz .LBB6_13160
	s_branch .LBB6_13164
.LBB6_13163:                            ;   in Loop: Header=BB6_13161 Depth=3
	s_trap 2
	ds_read_b64 v[0:1], v0
	s_andn2_b64 s[48:49], s[48:49], exec
	s_mov_b32 s47, 0
	s_waitcnt vmcnt(0) lgkmcnt(0)
	flat_load_dword v0, v[0:1] glc
	s_waitcnt vmcnt(0) lgkmcnt(0)
	buffer_wbinvl1_vol
	v_cmp_eq_u32_e32 vcc, 0, v0
	s_and_b64 vcc, vcc, exec
	s_or_b64 s[48:49], s[48:49], vcc
	s_mov_b64 vcc, -1
	s_or_b64 s[38:39], s[38:39], exec
	s_and_saveexec_b64 s[50:51], s[48:49]
	s_cbranch_execz .LBB6_13160
.LBB6_13164:                            ;   in Loop: Header=BB6_13161 Depth=3
	s_sleep 1
	s_trap 2
	ds_read_b64 v[0:1], v0
	s_waitcnt lgkmcnt(0)
	buffer_load_dword v2, off, s[0:3], s33 offset:76 ; 4-byte Folded Reload
	buffer_load_dword v3, off, s[0:3], s33 offset:80 ; 4-byte Folded Reload
	s_andn2_b64 s[38:39], s[38:39], exec
	s_waitcnt vmcnt(0)
	v_cmp_ge_u64_e32 vcc, v[0:1], v[2:3]
	s_orn2_b64 vcc, vcc, exec
	s_branch .LBB6_13160
.LBB6_13165:                            ;   in Loop: Header=BB6_4663 Depth=2
	s_or_b64 exec, exec, s[34:35]
	s_and_saveexec_b64 vcc, s[36:37]
	s_xor_b64 vcc, exec, vcc
	s_cbranch_execz .LBB6_13167
; %bb.13166:                            ;   in Loop: Header=BB6_4663 Depth=2
	v_mov_b32_e32 v0, 1
	ds_write_b32 v0, v0
	s_trap 2
.LBB6_13167:                            ;   in Loop: Header=BB6_4663 Depth=2
	s_or_b64 exec, exec, s[30:31]
	;;#ASMSTART
	s_wakeup
	;;#ASMEND
.LBB6_13168:                            ;   in Loop: Header=BB6_4663 Depth=2
	s_or_b64 exec, exec, s[42:43]
.LBB6_13169:                            ;   in Loop: Header=BB6_4663 Depth=2
	s_andn2_saveexec_b64 s[40:41], s[40:41]
	s_cbranch_execz .LBB6_13171
; %bb.13170:                            ;   in Loop: Header=BB6_4663 Depth=2
	;;#ASMSTART
	s_waitcnt lgkmcnt(0) vmcnt(0)
	;;#ASMEND
	s_waitcnt vmcnt(0) lgkmcnt(0)
	s_barrier
.LBB6_13171:                            ;   in Loop: Header=BB6_4663 Depth=2
	s_or_b64 exec, exec, s[40:41]
	buffer_load_dword v0, off, s[0:3], s33 offset:72 ; 4-byte Folded Reload
	s_waitcnt vmcnt(0)
	v_and_b32_e32 v0, 16, v0
.LBB6_13172:                            ;   in Loop: Header=BB6_4663 Depth=2
	s_or_b64 exec, exec, s[28:29]
	v_cmp_ne_u32_e32 vcc, 0, v0
	s_xor_b64 s[28:29], s[12:13], -1
	s_and_b64 s[40:41], vcc, s[28:29]
	s_and_saveexec_b64 s[28:29], s[40:41]
	s_cbranch_execz .LBB6_13174
; %bb.13173:                            ;   in Loop: Header=BB6_4663 Depth=2
	buffer_load_dword v0, off, s[0:3], s33 offset:308 ; 4-byte Folded Reload
	buffer_load_dword v1, off, s[0:3], s33 offset:312 ; 4-byte Folded Reload
	v_mov_b32_e32 v2, 1
	s_waitcnt vmcnt(0)
	flat_store_dword v[0:1], v2
.LBB6_13174:                            ;   in Loop: Header=BB6_4663 Depth=2
	s_or_b64 exec, exec, s[28:29]
	buffer_load_dword v0, off, s[0:3], s33 offset:72 ; 4-byte Folded Reload
	s_waitcnt vmcnt(0)
	v_and_b32_e32 v0, 48, v0
	v_cmp_ne_u32_e32 vcc, 0, v0
	s_and_saveexec_b64 s[28:29], vcc
	s_cbranch_execnz .LBB6_13175
; %bb.13787:                            ;   in Loop: Header=BB6_4663 Depth=2
	s_getpc_b64 s[98:99]
.Lpost_getpc27:
	s_add_u32 s98, s98, (.LBB6_4662-.Lpost_getpc27)&4294967295
	s_addc_u32 s99, s99, (.LBB6_4662-.Lpost_getpc27)>>32
	s_setpc_b64 s[98:99]
.LBB6_13175:                            ;   in Loop: Header=BB6_4663 Depth=2
	buffer_load_dword v2, off, s[0:3], s33 offset:84 ; 4-byte Folded Reload
	buffer_load_dword v3, off, s[0:3], s33 offset:88 ; 4-byte Folded Reload
	;; [unrolled: 1-line block ×4, first 2 shown]
	s_waitcnt vmcnt(0)
	v_add_co_u32_e32 v2, vcc, 2, v2
	v_addc_co_u32_e32 v3, vcc, 0, v3, vcc
	buffer_store_dword v2, off, s[0:3], s33 offset:84 ; 4-byte Folded Spill
	s_nop 0
	buffer_store_dword v3, off, s[0:3], s33 offset:88 ; 4-byte Folded Spill
	flat_store_dwordx2 v[0:1], v[2:3]
; %bb.13765:                            ;   in Loop: Header=BB6_4663 Depth=2
	s_getpc_b64 s[98:99]
.Lpost_getpc16:
	s_add_u32 s98, s98, (.LBB6_4662-.Lpost_getpc16)&4294967295
	s_addc_u32 s99, s99, (.LBB6_4662-.Lpost_getpc16)>>32
	s_setpc_b64 s[98:99]
.LBB6_13176:                            ;   in Loop: Header=BB6_47 Depth=1
	s_or_b64 exec, exec, s[90:91]
	v_cmp_gt_i32_e32 vcc, 2, v2
	s_and_saveexec_b64 s[40:41], vcc
	s_cbranch_execz .LBB6_13252
.LBB6_13177:                            ;   in Loop: Header=BB6_47 Depth=1
	buffer_load_dword v9, off, s[0:3], s33 offset:408 ; 4-byte Folded Reload
	buffer_load_dword v10, off, s[0:3], s33 offset:412 ; 4-byte Folded Reload
	;; [unrolled: 1-line block ×3, first 2 shown]
	v_cmp_eq_u32_e64 s[90:91], 0, v2
	s_mov_b64 s[42:43], 0
	s_branch .LBB6_13179
.LBB6_13178:                            ;   in Loop: Header=BB6_13179 Depth=2
	s_or_b64 exec, exec, s[28:29]
	v_mov_b32_e32 v0, v10
	v_add_u32_e32 v0, v9, v0
	s_mov_b64 s[90:91], 0
	s_andn2_b64 exec, exec, s[42:43]
	s_cbranch_execz .LBB6_13253
.LBB6_13179:                            ;   Parent Loop BB6_47 Depth=1
                                        ; =>  This Loop Header: Depth=2
                                        ;       Child Loop BB6_13185 Depth 3
                                        ;       Child Loop BB6_13213 Depth 3
	;; [unrolled: 1-line block ×3, first 2 shown]
	s_waitcnt vmcnt(0)
	v_mov_b32_e32 v10, v0
	v_sub_u32_e32 v0, v58, v0
	v_min_i32_e32 v9, v9, v0
	buffer_load_dword v0, off, s[0:3], s33 offset:72 ; 4-byte Folded Reload
	s_waitcnt vmcnt(0)
	v_and_b32_e32 v0, 12, v0
	v_cmp_ne_u32_e32 vcc, 0, v0
	s_and_saveexec_b64 s[92:93], vcc
	s_cbranch_execz .LBB6_13205
; %bb.13180:                            ;   in Loop: Header=BB6_13179 Depth=2
	buffer_load_dword v0, off, s[0:3], s33 offset:72 ; 4-byte Folded Reload
	s_waitcnt vmcnt(0)
	v_and_b32_e32 v8, 8, v0
	buffer_load_dword v0, off, s[0:3], s33 offset:56 ; 4-byte Folded Reload
	buffer_load_dword v1, off, s[0:3], s33 offset:60 ; 4-byte Folded Reload
	s_waitcnt vmcnt(0)
	v_add_co_u32_e32 v2, vcc, v0, v8
	v_addc_co_u32_e32 v3, vcc, 0, v1, vcc
	buffer_load_dword v0, off, s[0:3], s33 offset:84 ; 4-byte Folded Reload
	buffer_load_dword v1, off, s[0:3], s33 offset:88 ; 4-byte Folded Reload
	s_waitcnt vmcnt(0)
	v_add_co_u32_e32 v0, vcc, 2, v0
	v_addc_co_u32_e32 v1, vcc, 0, v1, vcc
	v_cmp_lt_u64_e32 vcc, v[2:3], v[0:1]
	s_and_saveexec_b64 s[94:95], vcc
	s_cbranch_execz .LBB6_13192
; %bb.13181:                            ;   in Loop: Header=BB6_13179 Depth=2
	buffer_load_dword v2, off, s[0:3], s33 offset:72 ; 4-byte Folded Reload
	s_mov_b32 s84, 0
	s_mov_b64 s[30:31], 0
                                        ; implicit-def: $sgpr34_sgpr35
                                        ; implicit-def: $sgpr36_sgpr37
                                        ; implicit-def: $sgpr38_sgpr39
	s_waitcnt vmcnt(0)
	v_and_b32_e32 v2, 64, v2
	v_cmp_eq_u32_e32 vcc, 0, v2
	s_branch .LBB6_13185
.LBB6_13182:                            ;   in Loop: Header=BB6_13185 Depth=3
	buffer_load_dword v3, off, s[0:3], s33 offset:56 ; 4-byte Folded Reload
	buffer_load_dword v4, off, s[0:3], s33 offset:60 ; 4-byte Folded Reload
	s_or_b64 s[52:53], s[52:53], exec
	s_waitcnt vmcnt(1)
	v_add_co_u32_e64 v3, s[28:29], v3, v8
	s_waitcnt vmcnt(0)
	v_addc_co_u32_e64 v4, s[28:29], 0, v4, s[28:29]
	v_cmp_ge_u64_e64 s[28:29], v[3:4], v[0:1]
	s_orn2_b64 s[50:51], s[28:29], exec
.LBB6_13183:                            ;   in Loop: Header=BB6_13185 Depth=3
	s_or_b64 exec, exec, s[64:65]
	s_andn2_b64 s[28:29], s[38:39], exec
	s_and_b64 s[38:39], s[52:53], exec
	s_or_b64 s[38:39], s[28:29], s[38:39]
	s_andn2_b64 s[28:29], s[36:37], exec
	s_and_b64 s[36:37], s[50:51], exec
	s_or_b64 s[36:37], s[28:29], s[36:37]
.LBB6_13184:                            ;   in Loop: Header=BB6_13185 Depth=3
	s_or_b64 exec, exec, s[48:49]
	s_and_b64 s[28:29], exec, s[36:37]
	s_or_b64 s[30:31], s[28:29], s[30:31]
	s_andn2_b64 s[28:29], s[34:35], exec
	s_and_b64 s[34:35], s[38:39], exec
	s_or_b64 s[34:35], s[28:29], s[34:35]
	s_andn2_b64 exec, exec, s[30:31]
	s_cbranch_execz .LBB6_13189
.LBB6_13185:                            ;   Parent Loop BB6_47 Depth=1
                                        ;     Parent Loop BB6_13179 Depth=2
                                        ; =>    This Inner Loop Header: Depth=3
	s_sleep 1
	buffer_load_dword v2, off, s[0:3], s33 offset:64 ; 4-byte Folded Reload
	buffer_load_dword v3, off, s[0:3], s33 offset:68 ; 4-byte Folded Reload
	s_or_b64 s[38:39], s[38:39], exec
	s_or_b64 s[36:37], s[36:37], exec
	s_waitcnt vmcnt(0)
	flat_load_dwordx2 v[2:3], v[2:3] glc
	s_waitcnt vmcnt(0) lgkmcnt(0)
	buffer_store_dword v2, off, s[0:3], s33 offset:56 ; 4-byte Folded Spill
	s_nop 0
	buffer_store_dword v3, off, s[0:3], s33 offset:60 ; 4-byte Folded Spill
                                        ; implicit-def: $vgpr2
	s_and_saveexec_b64 s[48:49], vcc
	s_cbranch_execz .LBB6_13184
; %bb.13186:                            ;   in Loop: Header=BB6_13185 Depth=3
	s_cmpk_lt_i32 s84, 0x270f
	s_cselect_b64 s[54:55], -1, 0
	s_cmpk_gt_i32 s84, 0x270e
	s_mov_b64 s[50:51], -1
	s_cbranch_scc0 .LBB6_13188
; %bb.13187:                            ;   in Loop: Header=BB6_13185 Depth=3
	s_trap 2
	ds_read_b64 v[2:3], v0
	s_andn2_b64 s[54:55], s[54:55], exec
	s_mov_b32 s84, 0
	s_mov_b64 s[52:53], 0
	s_waitcnt vmcnt(0) lgkmcnt(0)
	flat_load_dword v2, v[2:3] glc
	s_waitcnt vmcnt(0) lgkmcnt(0)
	buffer_wbinvl1_vol
	v_cmp_eq_u32_e64 s[28:29], 0, v2
	s_and_b64 s[28:29], s[28:29], exec
	s_or_b64 s[54:55], s[54:55], s[28:29]
	s_and_saveexec_b64 s[64:65], s[54:55]
	s_cbranch_execz .LBB6_13183
	s_branch .LBB6_13182
.LBB6_13188:                            ;   in Loop: Header=BB6_13185 Depth=3
	s_add_i32 s84, s84, 1
	s_mov_b64 s[52:53], -1
                                        ; implicit-def: $vgpr2
	s_and_saveexec_b64 s[64:65], s[54:55]
	s_cbranch_execz .LBB6_13183
	s_branch .LBB6_13182
.LBB6_13189:                            ;   in Loop: Header=BB6_13179 Depth=2
	s_or_b64 exec, exec, s[30:31]
	s_xor_b64 s[28:29], s[34:35], -1
	s_and_saveexec_b64 vcc, s[28:29]
	s_xor_b64 s[28:29], exec, vcc
	s_cbranch_execz .LBB6_13191
; %bb.13190:                            ;   in Loop: Header=BB6_13179 Depth=2
	ds_write_b32 v0, v2
	s_trap 2
	buffer_load_dword v2, off, s[0:3], s33 offset:72 ; 4-byte Folded Reload
	s_waitcnt vmcnt(0)
	v_or_b32_e32 v2, 64, v2
	buffer_store_dword v2, off, s[0:3], s33 offset:72 ; 4-byte Folded Spill
.LBB6_13191:                            ;   in Loop: Header=BB6_13179 Depth=2
	s_or_b64 exec, exec, s[28:29]
.LBB6_13192:                            ;   in Loop: Header=BB6_13179 Depth=2
	s_or_b64 exec, exec, s[94:95]
	;;#ASMSTART
	s_wakeup
	;;#ASMEND
	buffer_load_dword v2, off, s[0:3], s33 offset:72 ; 4-byte Folded Reload
	s_waitcnt vmcnt(0)
	v_and_b32_e32 v2, 0x108, v2
	v_cmp_ne_u32_e32 vcc, s71, v2
                                        ; implicit-def: $vgpr2_vgpr3
	s_and_saveexec_b64 s[28:29], vcc
	s_xor_b64 s[28:29], exec, s[28:29]
	s_cbranch_execz .LBB6_13194
; %bb.13193:                            ;   in Loop: Header=BB6_13179 Depth=2
	buffer_load_dword v2, off, s[0:3], s33 offset:84 ; 4-byte Folded Reload
	buffer_load_dword v3, off, s[0:3], s33 offset:88 ; 4-byte Folded Reload
	s_waitcnt vmcnt(0)
	v_mov_b32_e32 v3, v34
                                        ; implicit-def: $vgpr4_vgpr5
                                        ; kill: killed $vgpr4_vgpr5
	v_and_b32_e32 v2, 7, v2
.LBB6_13194:                            ;   in Loop: Header=BB6_13179 Depth=2
	s_andn2_saveexec_b64 s[28:29], s[28:29]
	s_cbranch_execz .LBB6_13196
; %bb.13195:                            ;   in Loop: Header=BB6_13179 Depth=2
	buffer_load_dword v2, off, s[0:3], s33 offset:84 ; 4-byte Folded Reload
	buffer_load_dword v3, off, s[0:3], s33 offset:88 ; 4-byte Folded Reload
	;; [unrolled: 1-line block ×6, first 2 shown]
	s_waitcnt vmcnt(0)
	v_mov_b32_e32 v6, v9
	v_ashrrev_i32_e32 v7, 31, v6
	v_and_b32_e32 v2, 7, v2
	v_mad_u64_u32 v[4:5], s[94:95], v2, 24, v[3:4]
	v_mov_b32_e32 v3, v34
	flat_store_dwordx2 v[4:5], v[6:7] offset:8
.LBB6_13196:                            ;   in Loop: Header=BB6_13179 Depth=2
	s_or_b64 exec, exec, s[28:29]
	buffer_load_dword v4, off, s[0:3], s33 offset:72 ; 4-byte Folded Reload
	s_mov_b64 s[28:29], -1
	s_waitcnt vmcnt(0)
	v_and_b32_e32 v4, 0x100, v4
	v_cmp_ne_u32_e32 vcc, 0, v4
                                        ; implicit-def: $vgpr4_vgpr5
	s_and_saveexec_b64 s[94:95], vcc
	s_cbranch_execz .LBB6_13200
; %bb.13197:                            ;   in Loop: Header=BB6_13179 Depth=2
	buffer_load_dword v4, off, s[0:3], s33 offset:292 ; 4-byte Folded Reload
	buffer_load_dword v5, off, s[0:3], s33 offset:296 ; 4-byte Folded Reload
	;; [unrolled: 1-line block ×4, first 2 shown]
	s_waitcnt vmcnt(0)
	v_mad_u64_u32 v[6:7], s[28:29], v2, 24, v[4:5]
	v_mov_b32_e32 v4, v7
	v_mad_u64_u32 v[4:5], s[28:29], v3, 24, v[4:5]
	v_mov_b32_e32 v7, v4
	flat_load_dword v4, v[6:7]
	s_waitcnt vmcnt(0) lgkmcnt(0)
	v_cmp_ne_u32_e32 vcc, 1, v4
	v_cmp_eq_u32_e64 s[28:29], 1, v4
                                        ; implicit-def: $vgpr4_vgpr5
	s_and_saveexec_b64 s[30:31], s[28:29]
	s_cbranch_execz .LBB6_13199
; %bb.13198:                            ;   in Loop: Header=BB6_13179 Depth=2
	flat_load_dword v4, v[6:7] offset:4 glc
	s_waitcnt vmcnt(0) lgkmcnt(0)
	v_ashrrev_i32_e32 v5, 31, v4
.LBB6_13199:                            ;   in Loop: Header=BB6_13179 Depth=2
	s_or_b64 exec, exec, s[30:31]
	s_orn2_b64 s[28:29], vcc, exec
.LBB6_13200:                            ;   in Loop: Header=BB6_13179 Depth=2
	s_or_b64 exec, exec, s[94:95]
	s_and_saveexec_b64 s[94:95], s[28:29]
	s_cbranch_execz .LBB6_13202
; %bb.13201:                            ;   in Loop: Header=BB6_13179 Depth=2
	buffer_load_dword v4, off, s[0:3], s33 offset:324 ; 4-byte Folded Reload
	buffer_load_dword v5, off, s[0:3], s33 offset:344 ; 4-byte Folded Reload
	s_waitcnt vmcnt(0)
	v_mul_lo_u32 v3, v3, v4
	v_mul_lo_u32 v6, v2, v5
	v_mad_u64_u32 v[4:5], s[28:29], v2, v4, 0
	v_add3_u32 v5, v5, v6, v3
.LBB6_13202:                            ;   in Loop: Header=BB6_13179 Depth=2
	s_or_b64 exec, exec, s[94:95]
	v_cmp_eq_u32_e32 vcc, 0, v8
	v_mov_b32_e32 v2, 0x90
	v_mov_b32_e32 v3, 0xd0
	v_cndmask_b32_e32 v6, v3, v2, vcc
	buffer_load_dword v2, off, s[0:3], s33 offset:284 ; 4-byte Folded Reload
	buffer_load_dword v3, off, s[0:3], s33 offset:288 ; 4-byte Folded Reload
	s_waitcnt vmcnt(0)
	v_add_co_u32_e32 v2, vcc, v2, v4
	v_addc_co_u32_e32 v3, vcc, v3, v5, vcc
	v_add_u32_e32 v4, v0, v6
	ds_write_b64 v4, v[2:3] offset:584
	buffer_load_dword v2, off, s[0:3], s33 offset:72 ; 4-byte Folded Reload
	s_waitcnt vmcnt(0)
	v_and_b32_e32 v2, 0x2000, v2
	v_cmp_ne_u32_e32 vcc, 0, v2
	s_and_saveexec_b64 s[28:29], vcc
	s_cbranch_execz .LBB6_13204
; %bb.13203:                            ;   in Loop: Header=BB6_13179 Depth=2
	ds_read_b64 v[2:3], v0 offset:872
	s_waitcnt lgkmcnt(0)
	v_add_co_u32_e32 v2, vcc, 1, v2
	v_addc_co_u32_e32 v3, vcc, 0, v3, vcc
	ds_write_b64 v0, v[2:3] offset:872
.LBB6_13204:                            ;   in Loop: Header=BB6_13179 Depth=2
	s_or_b64 exec, exec, s[28:29]
	buffer_store_dword v0, off, s[0:3], s33 offset:84 ; 4-byte Folded Spill
	s_nop 0
	buffer_store_dword v1, off, s[0:3], s33 offset:88 ; 4-byte Folded Spill
.LBB6_13205:                            ;   in Loop: Header=BB6_13179 Depth=2
	s_or_b64 exec, exec, s[92:93]
	s_xor_b64 s[28:29], s[90:91], -1
	s_and_b64 s[28:29], exec, s[28:29]
	s_or_b64 s[42:43], s[28:29], s[42:43]
	s_and_saveexec_b64 s[28:29], s[10:11]
	s_cbranch_execz .LBB6_13224
; %bb.13206:                            ;   in Loop: Header=BB6_13179 Depth=2
	s_and_saveexec_b64 s[90:91], s[58:59]
	s_xor_b64 s[90:91], exec, s[90:91]
	s_cbranch_execz .LBB6_13221
; %bb.13207:                            ;   in Loop: Header=BB6_13179 Depth=2
	s_and_saveexec_b64 s[92:93], s[16:17]
	s_cbranch_execz .LBB6_13220
; %bb.13208:                            ;   in Loop: Header=BB6_13179 Depth=2
	s_mov_b64 s[30:31], exec
	v_mbcnt_lo_u32_b32 v0, s30, 0
	v_mbcnt_hi_u32_b32 v0, s31, v0
	v_cmp_eq_u32_e32 vcc, 0, v0
	s_waitcnt vmcnt(0) lgkmcnt(0)
	buffer_wbinvl1_vol
	s_and_saveexec_b64 s[94:95], vcc
	s_cbranch_execz .LBB6_13210
; %bb.13209:                            ;   in Loop: Header=BB6_13179 Depth=2
	s_bcnt1_i32_b64 s47, s[30:31]
	v_mov_b32_e32 v0, s47
	v_mov_b32_e32 v1, v34
	ds_add_u64 v0, v[0:1]
	s_trap 2
.LBB6_13210:                            ;   in Loop: Header=BB6_13179 Depth=2
	s_or_b64 exec, exec, s[94:95]
	s_trap 2
	ds_read_b64 v[0:1], v0
	s_waitcnt lgkmcnt(0)
	buffer_load_dword v2, off, s[0:3], s33 offset:76 ; 4-byte Folded Reload
	buffer_load_dword v3, off, s[0:3], s33 offset:80 ; 4-byte Folded Reload
	s_waitcnt vmcnt(1)
	v_add_co_u32_e32 v2, vcc, v2, v39
	s_waitcnt vmcnt(0)
	v_addc_co_u32_e32 v3, vcc, 0, v3, vcc
	buffer_store_dword v2, off, s[0:3], s33 offset:76 ; 4-byte Folded Spill
	s_nop 0
	buffer_store_dword v3, off, s[0:3], s33 offset:80 ; 4-byte Folded Spill
	v_cmp_lt_u64_e32 vcc, v[0:1], v[2:3]
	s_and_saveexec_b64 s[94:95], vcc
	s_cbranch_execz .LBB6_13219
; %bb.13211:                            ;   in Loop: Header=BB6_13179 Depth=2
	s_mov_b32 s47, 0
	s_mov_b64 s[30:31], 0
                                        ; implicit-def: $sgpr34_sgpr35
                                        ; implicit-def: $sgpr36_sgpr37
	s_branch .LBB6_13213
.LBB6_13212:                            ;   in Loop: Header=BB6_13213 Depth=3
	s_or_b64 exec, exec, s[48:49]
	s_and_b64 vcc, exec, vcc
	s_or_b64 s[30:31], vcc, s[30:31]
	s_andn2_b64 vcc, s[34:35], exec
	s_and_b64 s[34:35], s[36:37], exec
	s_or_b64 s[34:35], vcc, s[34:35]
	s_andn2_b64 exec, exec, s[30:31]
	s_cbranch_execz .LBB6_13217
.LBB6_13213:                            ;   Parent Loop BB6_47 Depth=1
                                        ;     Parent Loop BB6_13179 Depth=2
                                        ; =>    This Inner Loop Header: Depth=3
	s_add_i32 s47, s47, 1
	s_cmpk_lg_i32 s47, 0x2710
	s_cselect_b64 s[38:39], -1, 0
	s_and_b64 vcc, exec, s[38:39]
	s_cbranch_vccz .LBB6_13215
; %bb.13214:                            ;   in Loop: Header=BB6_13213 Depth=3
	s_mov_b64 vcc, -1
	s_or_b64 s[36:37], s[36:37], exec
	s_and_saveexec_b64 s[48:49], s[38:39]
	s_cbranch_execz .LBB6_13212
	s_branch .LBB6_13216
.LBB6_13215:                            ;   in Loop: Header=BB6_13213 Depth=3
	s_trap 2
	ds_read_b64 v[0:1], v0
	s_andn2_b64 s[38:39], s[38:39], exec
	s_mov_b32 s47, 0
	s_waitcnt vmcnt(0) lgkmcnt(0)
	flat_load_dword v0, v[0:1] glc
	s_waitcnt vmcnt(0) lgkmcnt(0)
	buffer_wbinvl1_vol
	v_cmp_eq_u32_e32 vcc, 0, v0
	s_and_b64 vcc, vcc, exec
	s_or_b64 s[38:39], s[38:39], vcc
	s_mov_b64 vcc, -1
	s_or_b64 s[36:37], s[36:37], exec
	s_and_saveexec_b64 s[48:49], s[38:39]
	s_cbranch_execz .LBB6_13212
.LBB6_13216:                            ;   in Loop: Header=BB6_13213 Depth=3
	s_sleep 1
	s_trap 2
	ds_read_b64 v[0:1], v0
	s_waitcnt lgkmcnt(0)
	buffer_load_dword v2, off, s[0:3], s33 offset:76 ; 4-byte Folded Reload
	buffer_load_dword v3, off, s[0:3], s33 offset:80 ; 4-byte Folded Reload
	s_andn2_b64 s[36:37], s[36:37], exec
	s_waitcnt vmcnt(0)
	v_cmp_ge_u64_e32 vcc, v[0:1], v[2:3]
	s_orn2_b64 vcc, vcc, exec
	s_branch .LBB6_13212
.LBB6_13217:                            ;   in Loop: Header=BB6_13179 Depth=2
	s_or_b64 exec, exec, s[30:31]
	s_and_saveexec_b64 vcc, s[34:35]
	s_xor_b64 vcc, exec, vcc
	s_cbranch_execz .LBB6_13219
; %bb.13218:                            ;   in Loop: Header=BB6_13179 Depth=2
	v_mov_b32_e32 v0, 1
	ds_write_b32 v0, v0
	s_trap 2
.LBB6_13219:                            ;   in Loop: Header=BB6_13179 Depth=2
	s_or_b64 exec, exec, s[94:95]
	;;#ASMSTART
	s_wakeup
	;;#ASMEND
.LBB6_13220:                            ;   in Loop: Header=BB6_13179 Depth=2
	s_or_b64 exec, exec, s[92:93]
.LBB6_13221:                            ;   in Loop: Header=BB6_13179 Depth=2
	s_andn2_saveexec_b64 s[90:91], s[90:91]
	s_cbranch_execz .LBB6_13223
; %bb.13222:                            ;   in Loop: Header=BB6_13179 Depth=2
	s_waitcnt vmcnt(0) lgkmcnt(0)
	buffer_wbinvl1_vol
	s_barrier
.LBB6_13223:                            ;   in Loop: Header=BB6_13179 Depth=2
	s_or_b64 exec, exec, s[90:91]
.LBB6_13224:                            ;   in Loop: Header=BB6_13179 Depth=2
	s_or_b64 exec, exec, s[28:29]
                                        ; implicit-def: $vgpr0
	s_and_saveexec_b64 s[28:29], s[24:25]
	s_xor_b64 s[28:29], exec, s[28:29]
	s_cbranch_execz .LBB6_13228
; %bb.13225:                            ;   in Loop: Header=BB6_13179 Depth=2
	s_trap 2
	buffer_load_dword v1, off, s[0:3], s33 offset:72 ; 4-byte Folded Reload
	ds_read_b32 v0, v0
	v_cmp_lt_i32_e32 vcc, 0, v9
	s_waitcnt lgkmcnt(0)
	v_readfirstlane_b32 s47, v0
	s_cmp_eq_u32 s47, 0
	s_cselect_b64 s[90:91], -1, 0
	s_and_b64 s[90:91], vcc, s[90:91]
	s_waitcnt vmcnt(0)
	v_and_b32_e32 v0, 16, v1
	v_and_b32_e32 v1, 16, v1
	v_cmp_ne_u32_e32 vcc, 0, v1
	s_and_b64 s[92:93], vcc, s[90:91]
	s_and_saveexec_b64 s[90:91], s[92:93]
	s_cbranch_execz .LBB6_13227
; %bb.13226:                            ;   in Loop: Header=BB6_13179 Depth=2
	v_mov_b32_e32 v0, 1
	buffer_wbinvl1_vol
.LBB6_13227:                            ;   in Loop: Header=BB6_13179 Depth=2
	s_or_b64 exec, exec, s[90:91]
	s_andn2_saveexec_b64 s[28:29], s[28:29]
	s_cbranch_execz .LBB6_13247
	s_branch .LBB6_13229
.LBB6_13228:                            ;   in Loop: Header=BB6_13179 Depth=2
	s_andn2_saveexec_b64 s[28:29], s[28:29]
	s_cbranch_execz .LBB6_13247
.LBB6_13229:                            ;   in Loop: Header=BB6_13179 Depth=2
	s_and_saveexec_b64 s[90:91], s[58:59]
	s_xor_b64 s[90:91], exec, s[90:91]
	s_cbranch_execz .LBB6_13244
; %bb.13230:                            ;   in Loop: Header=BB6_13179 Depth=2
	s_and_saveexec_b64 s[92:93], s[16:17]
	s_cbranch_execz .LBB6_13243
; %bb.13231:                            ;   in Loop: Header=BB6_13179 Depth=2
	s_mov_b64 s[30:31], exec
	v_mbcnt_lo_u32_b32 v0, s30, 0
	v_mbcnt_hi_u32_b32 v0, s31, v0
	v_cmp_eq_u32_e32 vcc, 0, v0
	;;#ASMSTART
	s_waitcnt lgkmcnt(0) vmcnt(0)
	;;#ASMEND
	s_and_saveexec_b64 s[94:95], vcc
	s_cbranch_execz .LBB6_13233
; %bb.13232:                            ;   in Loop: Header=BB6_13179 Depth=2
	s_bcnt1_i32_b64 s47, s[30:31]
	v_mov_b32_e32 v0, s47
	v_mov_b32_e32 v1, v34
	s_waitcnt lgkmcnt(0)
	ds_add_u64 v0, v[0:1]
	s_trap 2
.LBB6_13233:                            ;   in Loop: Header=BB6_13179 Depth=2
	s_or_b64 exec, exec, s[94:95]
	s_trap 2
	ds_read_b64 v[0:1], v0
	s_waitcnt lgkmcnt(0)
	buffer_load_dword v2, off, s[0:3], s33 offset:76 ; 4-byte Folded Reload
	buffer_load_dword v3, off, s[0:3], s33 offset:80 ; 4-byte Folded Reload
	s_waitcnt vmcnt(1)
	v_add_co_u32_e32 v2, vcc, v2, v39
	s_waitcnt vmcnt(0)
	v_addc_co_u32_e32 v3, vcc, 0, v3, vcc
	buffer_store_dword v2, off, s[0:3], s33 offset:76 ; 4-byte Folded Spill
	s_nop 0
	buffer_store_dword v3, off, s[0:3], s33 offset:80 ; 4-byte Folded Spill
	v_cmp_lt_u64_e32 vcc, v[0:1], v[2:3]
	s_and_saveexec_b64 s[94:95], vcc
	s_cbranch_execz .LBB6_13242
; %bb.13234:                            ;   in Loop: Header=BB6_13179 Depth=2
	s_mov_b32 s47, 0
	s_mov_b64 s[30:31], 0
                                        ; implicit-def: $sgpr34_sgpr35
                                        ; implicit-def: $sgpr36_sgpr37
	s_branch .LBB6_13236
.LBB6_13235:                            ;   in Loop: Header=BB6_13236 Depth=3
	s_or_b64 exec, exec, s[48:49]
	s_and_b64 vcc, exec, vcc
	s_or_b64 s[30:31], vcc, s[30:31]
	s_andn2_b64 vcc, s[34:35], exec
	s_and_b64 s[34:35], s[36:37], exec
	s_or_b64 s[34:35], vcc, s[34:35]
	s_andn2_b64 exec, exec, s[30:31]
	s_cbranch_execz .LBB6_13240
.LBB6_13236:                            ;   Parent Loop BB6_47 Depth=1
                                        ;     Parent Loop BB6_13179 Depth=2
                                        ; =>    This Inner Loop Header: Depth=3
	s_add_i32 s47, s47, 1
	s_cmpk_lg_i32 s47, 0x2710
	s_cselect_b64 s[38:39], -1, 0
	s_and_b64 vcc, exec, s[38:39]
	s_cbranch_vccz .LBB6_13238
; %bb.13237:                            ;   in Loop: Header=BB6_13236 Depth=3
	s_mov_b64 vcc, -1
	s_or_b64 s[36:37], s[36:37], exec
	s_and_saveexec_b64 s[48:49], s[38:39]
	s_cbranch_execz .LBB6_13235
	s_branch .LBB6_13239
.LBB6_13238:                            ;   in Loop: Header=BB6_13236 Depth=3
	s_trap 2
	ds_read_b64 v[0:1], v0
	s_andn2_b64 s[38:39], s[38:39], exec
	s_mov_b32 s47, 0
	s_waitcnt vmcnt(0) lgkmcnt(0)
	flat_load_dword v0, v[0:1] glc
	s_waitcnt vmcnt(0) lgkmcnt(0)
	buffer_wbinvl1_vol
	v_cmp_eq_u32_e32 vcc, 0, v0
	s_and_b64 vcc, vcc, exec
	s_or_b64 s[38:39], s[38:39], vcc
	s_mov_b64 vcc, -1
	s_or_b64 s[36:37], s[36:37], exec
	s_and_saveexec_b64 s[48:49], s[38:39]
	s_cbranch_execz .LBB6_13235
.LBB6_13239:                            ;   in Loop: Header=BB6_13236 Depth=3
	s_sleep 1
	s_trap 2
	ds_read_b64 v[0:1], v0
	s_waitcnt lgkmcnt(0)
	buffer_load_dword v2, off, s[0:3], s33 offset:76 ; 4-byte Folded Reload
	buffer_load_dword v3, off, s[0:3], s33 offset:80 ; 4-byte Folded Reload
	s_andn2_b64 s[36:37], s[36:37], exec
	s_waitcnt vmcnt(0)
	v_cmp_ge_u64_e32 vcc, v[0:1], v[2:3]
	s_orn2_b64 vcc, vcc, exec
	s_branch .LBB6_13235
.LBB6_13240:                            ;   in Loop: Header=BB6_13179 Depth=2
	s_or_b64 exec, exec, s[30:31]
	s_and_saveexec_b64 vcc, s[34:35]
	s_xor_b64 vcc, exec, vcc
	s_cbranch_execz .LBB6_13242
; %bb.13241:                            ;   in Loop: Header=BB6_13179 Depth=2
	v_mov_b32_e32 v0, 1
	ds_write_b32 v0, v0
	s_trap 2
.LBB6_13242:                            ;   in Loop: Header=BB6_13179 Depth=2
	s_or_b64 exec, exec, s[94:95]
	;;#ASMSTART
	s_wakeup
	;;#ASMEND
.LBB6_13243:                            ;   in Loop: Header=BB6_13179 Depth=2
	s_or_b64 exec, exec, s[92:93]
.LBB6_13244:                            ;   in Loop: Header=BB6_13179 Depth=2
	s_andn2_saveexec_b64 s[90:91], s[90:91]
	s_cbranch_execz .LBB6_13246
; %bb.13245:                            ;   in Loop: Header=BB6_13179 Depth=2
	;;#ASMSTART
	s_waitcnt lgkmcnt(0) vmcnt(0)
	;;#ASMEND
	s_waitcnt vmcnt(0) lgkmcnt(0)
	s_barrier
.LBB6_13246:                            ;   in Loop: Header=BB6_13179 Depth=2
	s_or_b64 exec, exec, s[90:91]
	buffer_load_dword v0, off, s[0:3], s33 offset:72 ; 4-byte Folded Reload
	s_waitcnt vmcnt(0)
	v_and_b32_e32 v0, 16, v0
.LBB6_13247:                            ;   in Loop: Header=BB6_13179 Depth=2
	s_or_b64 exec, exec, s[28:29]
	v_cmp_ne_u32_e32 vcc, 0, v0
	s_xor_b64 s[28:29], s[12:13], -1
	s_and_b64 s[90:91], vcc, s[28:29]
	s_and_saveexec_b64 s[28:29], s[90:91]
	s_cbranch_execz .LBB6_13249
; %bb.13248:                            ;   in Loop: Header=BB6_13179 Depth=2
	buffer_load_dword v0, off, s[0:3], s33 offset:308 ; 4-byte Folded Reload
	buffer_load_dword v1, off, s[0:3], s33 offset:312 ; 4-byte Folded Reload
	v_mov_b32_e32 v2, 1
	s_waitcnt vmcnt(0)
	flat_store_dword v[0:1], v2
.LBB6_13249:                            ;   in Loop: Header=BB6_13179 Depth=2
	s_or_b64 exec, exec, s[28:29]
	buffer_load_dword v0, off, s[0:3], s33 offset:72 ; 4-byte Folded Reload
	s_waitcnt vmcnt(0)
	v_and_b32_e32 v0, 48, v0
	v_cmp_ne_u32_e32 vcc, 0, v0
	s_and_saveexec_b64 s[28:29], vcc
	s_cbranch_execz .LBB6_13178
; %bb.13250:                            ;   in Loop: Header=BB6_13179 Depth=2
	buffer_load_dword v2, off, s[0:3], s33 offset:84 ; 4-byte Folded Reload
	buffer_load_dword v3, off, s[0:3], s33 offset:88 ; 4-byte Folded Reload
	;; [unrolled: 1-line block ×4, first 2 shown]
	s_waitcnt vmcnt(0)
	v_add_co_u32_e32 v2, vcc, 2, v2
	v_addc_co_u32_e32 v3, vcc, 0, v3, vcc
	buffer_store_dword v2, off, s[0:3], s33 offset:84 ; 4-byte Folded Spill
	s_nop 0
	buffer_store_dword v3, off, s[0:3], s33 offset:88 ; 4-byte Folded Spill
	flat_store_dwordx2 v[0:1], v[2:3]
	s_branch .LBB6_13178
.LBB6_13251:                            ;   in Loop: Header=BB6_47 Depth=1
	s_or_b64 exec, exec, s[92:93]
	s_or_b64 exec, exec, s[90:91]
	v_cmp_gt_i32_e32 vcc, 2, v2
	s_and_saveexec_b64 s[40:41], vcc
	s_cbranch_execnz .LBB6_13177
.LBB6_13252:                            ;   in Loop: Header=BB6_47 Depth=1
	s_or_b64 exec, exec, s[40:41]
	s_and_b64 vcc, exec, s[26:27]
	s_cbranch_vccz .LBB6_13254
	s_branch .LBB6_13514
.LBB6_13253:                            ;   in Loop: Header=BB6_47 Depth=1
	s_or_b64 exec, exec, s[42:43]
	s_or_b64 exec, exec, s[40:41]
	s_and_b64 vcc, exec, s[26:27]
	s_cbranch_vccnz .LBB6_13514
.LBB6_13254:                            ;   in Loop: Header=BB6_47 Depth=1
	s_mov_b32 s64, 1
.LBB6_13255:                            ;   Parent Loop BB6_47 Depth=1
                                        ; =>  This Loop Header: Depth=2
                                        ;       Child Loop BB6_13258 Depth 3
                                        ;         Child Loop BB6_13266 Depth 4
                                        ;         Child Loop BB6_13294 Depth 4
	;; [unrolled: 1-line block ×9, first 2 shown]
                                        ;           Child Loop BB6_13348 Depth 5
                                        ;         Child Loop BB6_13357 Depth 4
                                        ;         Child Loop BB6_13362 Depth 4
                                        ;           Child Loop BB6_13363 Depth 5
                                        ;         Child Loop BB6_13401 Depth 4
                                        ;         Child Loop BB6_13420 Depth 4
                                        ;       Child Loop BB6_13438 Depth 3
                                        ;         Child Loop BB6_13444 Depth 4
                                        ;         Child Loop BB6_13472 Depth 4
	;; [unrolled: 1-line block ×3, first 2 shown]
	buffer_load_dword v4, off, s[0:3], s33 offset:472 ; 4-byte Folded Reload
	buffer_load_dword v5, off, s[0:3], s33 offset:476 ; 4-byte Folded Reload
	s_sub_i32 s26, s85, s64
	s_cmp_ge_i32 s26, s66
	s_cselect_b32 s27, s66, 0
	s_sub_i32 s26, s26, s27
	s_ashr_i32 s28, s26, 31
	v_mov_b32_e32 v14, 0
	s_waitcnt vmcnt(0)
	v_mul_lo_u32 v1, v4, s28
	v_mul_lo_u32 v0, v5, s26
	v_mad_u64_u32 v[2:3], s[26:27], v4, s26, 0
	v_add3_u32 v3, v3, v1, v0
	buffer_load_dword v0, off, s[0:3], s33 offset:464 ; 4-byte Folded Reload
	buffer_load_dword v1, off, s[0:3], s33 offset:468 ; 4-byte Folded Reload
	s_waitcnt vmcnt(0)
	v_sub_co_u32_e32 v0, vcc, v0, v2
	v_subb_co_u32_e32 v1, vcc, v1, v3, vcc
	v_cmp_lt_i64_e32 vcc, v[4:5], v[0:1]
	v_cndmask_b32_e32 v4, v0, v4, vcc
	v_max_i32_e32 v0, 0, v4
	v_add_u32_e32 v1, 31, v0
	v_lshrrev_b32_e32 v1, 1, v1
	v_and_b32_e32 v1, 0x3ffffff0, v1
	v_cmp_lt_i32_e32 vcc, 0, v4
	v_max_i32_e32 v1, s96, v1
	s_and_b64 s[26:27], s[74:75], vcc
	v_mov_b32_e32 v4, 0
	s_and_saveexec_b64 s[42:43], s[26:27]
	s_cbranch_execz .LBB6_13435
; %bb.13256:                            ;   in Loop: Header=BB6_13255 Depth=2
	buffer_load_dword v4, off, s[0:3], s33 offset:368 ; 4-byte Folded Reload
	s_mov_b32 s65, 1
	s_mov_b64 s[92:93], -1
	v_mov_b32_e32 v14, 0
	s_mov_b64 s[90:91], 0
	s_waitcnt vmcnt(0)
	v_add_co_u32_e32 v15, vcc, v2, v4
	buffer_load_dword v2, off, s[0:3], s33 offset:372 ; 4-byte Folded Reload
	s_waitcnt vmcnt(0)
	v_addc_co_u32_e32 v16, vcc, v3, v2, vcc
	s_branch .LBB6_13258
.LBB6_13257:                            ;   in Loop: Header=BB6_13258 Depth=3
	s_or_b64 exec, exec, s[26:27]
	v_add_u32_e32 v14, v1, v14
	v_cmp_ge_i32_e32 vcc, v14, v0
	s_xor_b64 s[26:27], s[92:93], -1
	s_or_b64 s[26:27], s[26:27], vcc
	s_and_b64 s[26:27], exec, s[26:27]
	s_or_b64 s[90:91], s[26:27], s[90:91]
	s_mov_b64 s[92:93], 0
	v_mov_b32_e32 v4, s65
	s_mov_b32 s65, 2
	s_andn2_b64 exec, exec, s[90:91]
	s_cbranch_execz .LBB6_13510
.LBB6_13258:                            ;   Parent Loop BB6_47 Depth=1
                                        ;     Parent Loop BB6_13255 Depth=2
                                        ; =>    This Loop Header: Depth=3
                                        ;         Child Loop BB6_13266 Depth 4
                                        ;         Child Loop BB6_13294 Depth 4
	;; [unrolled: 1-line block ×9, first 2 shown]
                                        ;           Child Loop BB6_13348 Depth 5
                                        ;         Child Loop BB6_13357 Depth 4
                                        ;         Child Loop BB6_13362 Depth 4
                                        ;           Child Loop BB6_13363 Depth 5
                                        ;         Child Loop BB6_13401 Depth 4
                                        ;         Child Loop BB6_13420 Depth 4
	s_and_saveexec_b64 s[26:27], s[4:5]
	s_cbranch_execz .LBB6_13260
; %bb.13259:                            ;   in Loop: Header=BB6_13258 Depth=3
	s_trap 2
	ds_read_b128 v[2:5], v0
	v_ashrrev_i32_e32 v6, 31, v14
	s_waitcnt lgkmcnt(0)
	v_add_co_u32_e32 v2, vcc, v2, v15
	v_addc_co_u32_e32 v3, vcc, v3, v16, vcc
	v_add_co_u32_e32 v2, vcc, v2, v14
	v_addc_co_u32_e32 v3, vcc, v3, v6, vcc
	ds_write_b64 v0, v[2:3]
	v_add_co_u32_e32 v2, vcc, v4, v15
	v_addc_co_u32_e32 v3, vcc, v5, v16, vcc
	v_add_co_u32_e32 v2, vcc, v2, v14
	v_addc_co_u32_e32 v3, vcc, v3, v6, vcc
	v_cmp_ne_u64_e32 vcc, 0, v[4:5]
	v_cndmask_b32_e32 v3, 0, v3, vcc
	v_cndmask_b32_e32 v2, 0, v2, vcc
	ds_write_b64 v0, v[2:3]
.LBB6_13260:                            ;   in Loop: Header=BB6_13258 Depth=3
	s_or_b64 exec, exec, s[26:27]
	v_sub_u32_e32 v2, v0, v14
	v_min_i32_e32 v1, v1, v2
	buffer_load_dword v2, off, s[0:3], s33 offset:72 ; 4-byte Folded Reload
	s_waitcnt vmcnt(0)
	v_and_b32_e32 v2, 12, v2
	v_cmp_ne_u32_e32 vcc, 0, v2
	s_and_saveexec_b64 s[28:29], vcc
	s_cbranch_execz .LBB6_13286
; %bb.13261:                            ;   in Loop: Header=BB6_13258 Depth=3
	buffer_load_dword v2, off, s[0:3], s33 offset:72 ; 4-byte Folded Reload
	s_waitcnt vmcnt(0)
	v_and_b32_e32 v11, 8, v2
	buffer_load_dword v2, off, s[0:3], s33 offset:56 ; 4-byte Folded Reload
	buffer_load_dword v3, off, s[0:3], s33 offset:60 ; 4-byte Folded Reload
	s_waitcnt vmcnt(0)
	v_add_co_u32_e32 v5, vcc, v2, v11
	v_addc_co_u32_e32 v6, vcc, 0, v3, vcc
	buffer_load_dword v3, off, s[0:3], s33 offset:84 ; 4-byte Folded Reload
	buffer_load_dword v4, off, s[0:3], s33 offset:88 ; 4-byte Folded Reload
	s_waitcnt vmcnt(0)
	v_add_co_u32_e32 v3, vcc, 2, v3
	v_addc_co_u32_e32 v4, vcc, 0, v4, vcc
	v_cmp_lt_u64_e32 vcc, v[5:6], v[3:4]
	s_and_saveexec_b64 s[40:41], vcc
	s_cbranch_execz .LBB6_13273
; %bb.13262:                            ;   in Loop: Header=BB6_13258 Depth=3
	buffer_load_dword v2, off, s[0:3], s33 offset:72 ; 4-byte Folded Reload
	s_mov_b32 s47, 0
	s_mov_b64 s[94:95], 0
                                        ; implicit-def: $sgpr30_sgpr31
                                        ; implicit-def: $sgpr34_sgpr35
                                        ; implicit-def: $sgpr36_sgpr37
	s_waitcnt vmcnt(0)
	v_and_b32_e32 v2, 64, v2
	v_cmp_eq_u32_e32 vcc, 0, v2
	s_branch .LBB6_13266
.LBB6_13263:                            ;   in Loop: Header=BB6_13266 Depth=4
	buffer_load_dword v5, off, s[0:3], s33 offset:56 ; 4-byte Folded Reload
	buffer_load_dword v6, off, s[0:3], s33 offset:60 ; 4-byte Folded Reload
	s_or_b64 s[50:51], s[50:51], exec
	s_waitcnt vmcnt(1)
	v_add_co_u32_e64 v5, s[26:27], v5, v11
	s_waitcnt vmcnt(0)
	v_addc_co_u32_e64 v6, s[26:27], 0, v6, s[26:27]
	v_cmp_ge_u64_e64 s[26:27], v[5:6], v[3:4]
	s_orn2_b64 s[48:49], s[26:27], exec
.LBB6_13264:                            ;   in Loop: Header=BB6_13266 Depth=4
	s_or_b64 exec, exec, s[54:55]
	s_andn2_b64 s[26:27], s[36:37], exec
	s_and_b64 s[36:37], s[50:51], exec
	s_or_b64 s[36:37], s[26:27], s[36:37]
	s_andn2_b64 s[26:27], s[34:35], exec
	s_and_b64 s[34:35], s[48:49], exec
	s_or_b64 s[34:35], s[26:27], s[34:35]
.LBB6_13265:                            ;   in Loop: Header=BB6_13266 Depth=4
	s_or_b64 exec, exec, s[38:39]
	s_and_b64 s[26:27], exec, s[34:35]
	s_or_b64 s[94:95], s[26:27], s[94:95]
	s_andn2_b64 s[26:27], s[30:31], exec
	s_and_b64 s[30:31], s[36:37], exec
	s_or_b64 s[30:31], s[26:27], s[30:31]
	s_andn2_b64 exec, exec, s[94:95]
	s_cbranch_execz .LBB6_13270
.LBB6_13266:                            ;   Parent Loop BB6_47 Depth=1
                                        ;     Parent Loop BB6_13255 Depth=2
                                        ;       Parent Loop BB6_13258 Depth=3
                                        ; =>      This Inner Loop Header: Depth=4
	s_sleep 1
	buffer_load_dword v5, off, s[0:3], s33 offset:64 ; 4-byte Folded Reload
	buffer_load_dword v6, off, s[0:3], s33 offset:68 ; 4-byte Folded Reload
	s_or_b64 s[36:37], s[36:37], exec
	s_or_b64 s[34:35], s[34:35], exec
                                        ; implicit-def: $vgpr2
	s_waitcnt vmcnt(0)
	flat_load_dwordx2 v[5:6], v[5:6] glc
	s_waitcnt vmcnt(0) lgkmcnt(0)
	buffer_store_dword v5, off, s[0:3], s33 offset:56 ; 4-byte Folded Spill
	s_nop 0
	buffer_store_dword v6, off, s[0:3], s33 offset:60 ; 4-byte Folded Spill
	s_and_saveexec_b64 s[38:39], vcc
	s_cbranch_execz .LBB6_13265
; %bb.13267:                            ;   in Loop: Header=BB6_13266 Depth=4
	s_cmpk_lt_i32 s47, 0x270f
	s_cselect_b64 s[52:53], -1, 0
	s_cmpk_gt_i32 s47, 0x270e
	s_mov_b64 s[48:49], -1
	s_cbranch_scc0 .LBB6_13269
; %bb.13268:                            ;   in Loop: Header=BB6_13266 Depth=4
	s_trap 2
	ds_read_b64 v[5:6], v0
	s_andn2_b64 s[52:53], s[52:53], exec
	s_mov_b32 s47, 0
	s_mov_b64 s[50:51], 0
	s_waitcnt vmcnt(0) lgkmcnt(0)
	flat_load_dword v2, v[5:6] glc
	s_waitcnt vmcnt(0) lgkmcnt(0)
	buffer_wbinvl1_vol
	v_cmp_eq_u32_e64 s[26:27], 0, v2
	s_and_b64 s[26:27], s[26:27], exec
	s_or_b64 s[52:53], s[52:53], s[26:27]
	s_and_saveexec_b64 s[54:55], s[52:53]
	s_cbranch_execz .LBB6_13264
	s_branch .LBB6_13263
.LBB6_13269:                            ;   in Loop: Header=BB6_13266 Depth=4
	s_add_i32 s47, s47, 1
	s_mov_b64 s[50:51], -1
                                        ; implicit-def: $vgpr2
	s_and_saveexec_b64 s[54:55], s[52:53]
	s_cbranch_execz .LBB6_13264
	s_branch .LBB6_13263
.LBB6_13270:                            ;   in Loop: Header=BB6_13258 Depth=3
	s_or_b64 exec, exec, s[94:95]
	s_xor_b64 s[26:27], s[30:31], -1
	s_and_saveexec_b64 s[94:95], s[26:27]
	s_xor_b64 s[26:27], exec, s[94:95]
	s_cbranch_execz .LBB6_13272
; %bb.13271:                            ;   in Loop: Header=BB6_13258 Depth=3
	ds_write_b32 v0, v2
	s_trap 2
	buffer_load_dword v2, off, s[0:3], s33 offset:72 ; 4-byte Folded Reload
	s_waitcnt vmcnt(0)
	v_or_b32_e32 v2, 64, v2
	buffer_store_dword v2, off, s[0:3], s33 offset:72 ; 4-byte Folded Spill
.LBB6_13272:                            ;   in Loop: Header=BB6_13258 Depth=3
	s_or_b64 exec, exec, s[26:27]
.LBB6_13273:                            ;   in Loop: Header=BB6_13258 Depth=3
	s_or_b64 exec, exec, s[40:41]
	;;#ASMSTART
	s_wakeup
	;;#ASMEND
	buffer_load_dword v2, off, s[0:3], s33 offset:72 ; 4-byte Folded Reload
                                        ; implicit-def: $vgpr5_vgpr6
	s_waitcnt vmcnt(0)
	v_and_b32_e32 v2, 0x108, v2
	v_cmp_ne_u32_e32 vcc, s71, v2
	s_and_saveexec_b64 s[26:27], vcc
	s_xor_b64 s[26:27], exec, s[26:27]
	s_cbranch_execz .LBB6_13275
; %bb.13274:                            ;   in Loop: Header=BB6_13258 Depth=3
	buffer_load_dword v5, off, s[0:3], s33 offset:84 ; 4-byte Folded Reload
	buffer_load_dword v6, off, s[0:3], s33 offset:88 ; 4-byte Folded Reload
	s_waitcnt vmcnt(0)
	v_mov_b32_e32 v6, v34
                                        ; implicit-def: $vgpr7_vgpr8
                                        ; kill: killed $vgpr7_vgpr8
	v_and_b32_e32 v5, 7, v5
.LBB6_13275:                            ;   in Loop: Header=BB6_13258 Depth=3
	s_andn2_saveexec_b64 s[26:27], s[26:27]
	s_cbranch_execz .LBB6_13277
; %bb.13276:                            ;   in Loop: Header=BB6_13258 Depth=3
	buffer_load_dword v5, off, s[0:3], s33 offset:84 ; 4-byte Folded Reload
	buffer_load_dword v6, off, s[0:3], s33 offset:88 ; 4-byte Folded Reload
	;; [unrolled: 1-line block ×6, first 2 shown]
	v_ashrrev_i32_e32 v2, 31, v1
	s_waitcnt vmcnt(0)
	v_and_b32_e32 v5, 7, v5
	v_mad_u64_u32 v[7:8], s[40:41], v5, 24, v[6:7]
	v_mov_b32_e32 v6, v34
	flat_store_dwordx2 v[7:8], v[1:2] offset:8
.LBB6_13277:                            ;   in Loop: Header=BB6_13258 Depth=3
	s_or_b64 exec, exec, s[26:27]
	buffer_load_dword v2, off, s[0:3], s33 offset:72 ; 4-byte Folded Reload
	s_mov_b64 s[26:27], -1
                                        ; implicit-def: $vgpr7_vgpr8
	s_waitcnt vmcnt(0)
	v_and_b32_e32 v2, 0x100, v2
	v_cmp_ne_u32_e32 vcc, 0, v2
	s_and_saveexec_b64 s[40:41], vcc
	s_cbranch_execz .LBB6_13281
; %bb.13278:                            ;   in Loop: Header=BB6_13258 Depth=3
	buffer_load_dword v7, off, s[0:3], s33 offset:292 ; 4-byte Folded Reload
	buffer_load_dword v8, off, s[0:3], s33 offset:296 ; 4-byte Folded Reload
	;; [unrolled: 1-line block ×4, first 2 shown]
	s_waitcnt vmcnt(0)
	v_mad_u64_u32 v[9:10], s[26:27], v5, 24, v[7:8]
	v_mov_b32_e32 v2, v10
	v_mad_u64_u32 v[7:8], s[26:27], v6, 24, v[2:3]
	v_mov_b32_e32 v10, v7
	flat_load_dword v2, v[9:10]
                                        ; implicit-def: $vgpr7_vgpr8
	s_waitcnt vmcnt(0) lgkmcnt(0)
	v_cmp_ne_u32_e32 vcc, 1, v2
	v_cmp_eq_u32_e64 s[26:27], 1, v2
	s_and_saveexec_b64 s[94:95], s[26:27]
	s_cbranch_execz .LBB6_13280
; %bb.13279:                            ;   in Loop: Header=BB6_13258 Depth=3
	flat_load_dword v7, v[9:10] offset:4 glc
	s_waitcnt vmcnt(0) lgkmcnt(0)
	v_ashrrev_i32_e32 v8, 31, v7
.LBB6_13280:                            ;   in Loop: Header=BB6_13258 Depth=3
	s_or_b64 exec, exec, s[94:95]
	s_orn2_b64 s[26:27], vcc, exec
.LBB6_13281:                            ;   in Loop: Header=BB6_13258 Depth=3
	s_or_b64 exec, exec, s[40:41]
	s_and_saveexec_b64 s[40:41], s[26:27]
	s_cbranch_execz .LBB6_13283
; %bb.13282:                            ;   in Loop: Header=BB6_13258 Depth=3
	buffer_load_dword v7, off, s[0:3], s33 offset:324 ; 4-byte Folded Reload
	s_waitcnt vmcnt(0)
	v_mul_lo_u32 v2, v6, v7
	buffer_load_dword v6, off, s[0:3], s33 offset:344 ; 4-byte Folded Reload
	v_mad_u64_u32 v[7:8], s[26:27], v5, v7, 0
	s_waitcnt vmcnt(0)
	v_mul_lo_u32 v6, v5, v6
	v_add3_u32 v8, v8, v6, v2
.LBB6_13283:                            ;   in Loop: Header=BB6_13258 Depth=3
	s_or_b64 exec, exec, s[40:41]
	v_cmp_eq_u32_e32 vcc, 0, v11
	v_mov_b32_e32 v2, 0xd0
	v_mov_b32_e32 v5, 0x88
	v_cndmask_b32_e32 v2, v2, v5, vcc
	buffer_load_dword v5, off, s[0:3], s33 offset:284 ; 4-byte Folded Reload
	buffer_load_dword v6, off, s[0:3], s33 offset:288 ; 4-byte Folded Reload
	v_add_u32_e32 v2, v0, v2
	s_waitcnt vmcnt(0)
	v_add_co_u32_e32 v5, vcc, v5, v7
	v_addc_co_u32_e32 v6, vcc, v6, v8, vcc
	ds_write_b64 v2, v[5:6] offset:584
	buffer_load_dword v2, off, s[0:3], s33 offset:72 ; 4-byte Folded Reload
	s_waitcnt vmcnt(0)
	v_and_b32_e32 v2, 0x2000, v2
	v_cmp_ne_u32_e32 vcc, 0, v2
	s_and_saveexec_b64 s[26:27], vcc
	s_cbranch_execz .LBB6_13285
; %bb.13284:                            ;   in Loop: Header=BB6_13258 Depth=3
	ds_read_b64 v[5:6], v0 offset:872
	s_waitcnt lgkmcnt(0)
	v_add_co_u32_e32 v5, vcc, 1, v5
	v_addc_co_u32_e32 v6, vcc, 0, v6, vcc
	ds_write_b64 v0, v[5:6] offset:872
.LBB6_13285:                            ;   in Loop: Header=BB6_13258 Depth=3
	s_or_b64 exec, exec, s[26:27]
	buffer_store_dword v3, off, s[0:3], s33 offset:84 ; 4-byte Folded Spill
	s_nop 0
	buffer_store_dword v4, off, s[0:3], s33 offset:88 ; 4-byte Folded Spill
.LBB6_13286:                            ;   in Loop: Header=BB6_13258 Depth=3
	s_or_b64 exec, exec, s[28:29]
	s_and_saveexec_b64 s[26:27], s[10:11]
	s_cbranch_execz .LBB6_13305
; %bb.13287:                            ;   in Loop: Header=BB6_13258 Depth=3
	s_and_saveexec_b64 s[28:29], s[58:59]
	s_xor_b64 s[28:29], exec, s[28:29]
	s_cbranch_execz .LBB6_13302
; %bb.13288:                            ;   in Loop: Header=BB6_13258 Depth=3
	s_and_saveexec_b64 s[40:41], s[16:17]
	s_cbranch_execz .LBB6_13301
; %bb.13289:                            ;   in Loop: Header=BB6_13258 Depth=3
	s_mov_b64 s[30:31], exec
	v_mbcnt_lo_u32_b32 v2, s30, 0
	v_mbcnt_hi_u32_b32 v2, s31, v2
	v_cmp_eq_u32_e32 vcc, 0, v2
	s_waitcnt vmcnt(0) lgkmcnt(0)
	buffer_wbinvl1_vol
	s_and_saveexec_b64 s[94:95], vcc
	s_cbranch_execz .LBB6_13291
; %bb.13290:                            ;   in Loop: Header=BB6_13258 Depth=3
	s_bcnt1_i32_b64 s47, s[30:31]
	v_mov_b32_e32 v2, s47
	v_mov_b32_e32 v3, v34
	ds_add_u64 v0, v[2:3]
	s_trap 2
.LBB6_13291:                            ;   in Loop: Header=BB6_13258 Depth=3
	s_or_b64 exec, exec, s[94:95]
	s_trap 2
	ds_read_b64 v[2:3], v0
	s_waitcnt lgkmcnt(0)
	buffer_load_dword v4, off, s[0:3], s33 offset:76 ; 4-byte Folded Reload
	buffer_load_dword v5, off, s[0:3], s33 offset:80 ; 4-byte Folded Reload
	s_waitcnt vmcnt(1)
	v_add_co_u32_e32 v4, vcc, v4, v39
	s_waitcnt vmcnt(0)
	v_addc_co_u32_e32 v5, vcc, 0, v5, vcc
	buffer_store_dword v4, off, s[0:3], s33 offset:76 ; 4-byte Folded Spill
	s_nop 0
	buffer_store_dword v5, off, s[0:3], s33 offset:80 ; 4-byte Folded Spill
	v_cmp_lt_u64_e32 vcc, v[2:3], v[4:5]
	s_and_saveexec_b64 s[94:95], vcc
	s_cbranch_execz .LBB6_13300
; %bb.13292:                            ;   in Loop: Header=BB6_13258 Depth=3
	s_mov_b32 s47, 0
	s_mov_b64 s[30:31], 0
                                        ; implicit-def: $sgpr34_sgpr35
                                        ; implicit-def: $sgpr36_sgpr37
	s_branch .LBB6_13294
.LBB6_13293:                            ;   in Loop: Header=BB6_13294 Depth=4
	s_or_b64 exec, exec, s[48:49]
	s_and_b64 vcc, exec, vcc
	s_or_b64 s[30:31], vcc, s[30:31]
	s_andn2_b64 vcc, s[34:35], exec
	s_and_b64 s[34:35], s[36:37], exec
	s_or_b64 s[34:35], vcc, s[34:35]
	s_andn2_b64 exec, exec, s[30:31]
	s_cbranch_execz .LBB6_13298
.LBB6_13294:                            ;   Parent Loop BB6_47 Depth=1
                                        ;     Parent Loop BB6_13255 Depth=2
                                        ;       Parent Loop BB6_13258 Depth=3
                                        ; =>      This Inner Loop Header: Depth=4
	s_add_i32 s47, s47, 1
	s_cmpk_lg_i32 s47, 0x2710
	s_cselect_b64 s[38:39], -1, 0
	s_and_b64 vcc, exec, s[38:39]
	s_cbranch_vccz .LBB6_13296
; %bb.13295:                            ;   in Loop: Header=BB6_13294 Depth=4
	s_mov_b64 vcc, -1
	s_or_b64 s[36:37], s[36:37], exec
	s_and_saveexec_b64 s[48:49], s[38:39]
	s_cbranch_execz .LBB6_13293
	s_branch .LBB6_13297
.LBB6_13296:                            ;   in Loop: Header=BB6_13294 Depth=4
	s_trap 2
	ds_read_b64 v[2:3], v0
	s_andn2_b64 s[38:39], s[38:39], exec
	s_mov_b32 s47, 0
	s_waitcnt vmcnt(0) lgkmcnt(0)
	flat_load_dword v2, v[2:3] glc
	s_waitcnt vmcnt(0) lgkmcnt(0)
	buffer_wbinvl1_vol
	v_cmp_eq_u32_e32 vcc, 0, v2
	s_and_b64 vcc, vcc, exec
	s_or_b64 s[38:39], s[38:39], vcc
	s_mov_b64 vcc, -1
	s_or_b64 s[36:37], s[36:37], exec
	s_and_saveexec_b64 s[48:49], s[38:39]
	s_cbranch_execz .LBB6_13293
.LBB6_13297:                            ;   in Loop: Header=BB6_13294 Depth=4
	s_sleep 1
	s_trap 2
	ds_read_b64 v[2:3], v0
	s_waitcnt lgkmcnt(0)
	buffer_load_dword v4, off, s[0:3], s33 offset:76 ; 4-byte Folded Reload
	buffer_load_dword v5, off, s[0:3], s33 offset:80 ; 4-byte Folded Reload
	s_andn2_b64 s[36:37], s[36:37], exec
	s_waitcnt vmcnt(0)
	v_cmp_ge_u64_e32 vcc, v[2:3], v[4:5]
	s_orn2_b64 vcc, vcc, exec
	s_branch .LBB6_13293
.LBB6_13298:                            ;   in Loop: Header=BB6_13258 Depth=3
	s_or_b64 exec, exec, s[30:31]
	s_and_saveexec_b64 vcc, s[34:35]
	s_xor_b64 vcc, exec, vcc
	s_cbranch_execz .LBB6_13300
; %bb.13299:                            ;   in Loop: Header=BB6_13258 Depth=3
	v_mov_b32_e32 v2, 1
	ds_write_b32 v0, v2
	s_trap 2
.LBB6_13300:                            ;   in Loop: Header=BB6_13258 Depth=3
	s_or_b64 exec, exec, s[94:95]
	;;#ASMSTART
	s_wakeup
	;;#ASMEND
.LBB6_13301:                            ;   in Loop: Header=BB6_13258 Depth=3
	s_or_b64 exec, exec, s[40:41]
.LBB6_13302:                            ;   in Loop: Header=BB6_13258 Depth=3
	s_andn2_saveexec_b64 s[28:29], s[28:29]
	s_cbranch_execz .LBB6_13304
; %bb.13303:                            ;   in Loop: Header=BB6_13258 Depth=3
	s_waitcnt vmcnt(0) lgkmcnt(0)
	buffer_wbinvl1_vol
	s_barrier
.LBB6_13304:                            ;   in Loop: Header=BB6_13258 Depth=3
	s_or_b64 exec, exec, s[28:29]
.LBB6_13305:                            ;   in Loop: Header=BB6_13258 Depth=3
	s_or_b64 exec, exec, s[26:27]
	s_trap 2
	buffer_load_dword v2, off, s[0:3], s33 offset:72 ; 4-byte Folded Reload
	ds_read_b32 v8, v0
	s_xor_b64 s[26:27], s[6:7], -1
	s_waitcnt vmcnt(0)
	v_and_b32_e32 v2, 0x4000, v2
	v_cmp_ne_u32_e32 vcc, 0, v2
	s_and_b64 s[28:29], s[26:27], vcc
	s_and_saveexec_b64 s[26:27], s[28:29]
	s_cbranch_execz .LBB6_13324
; %bb.13306:                            ;   in Loop: Header=BB6_13258 Depth=3
	s_and_saveexec_b64 s[28:29], s[58:59]
	s_xor_b64 s[28:29], exec, s[28:29]
	s_cbranch_execz .LBB6_13321
; %bb.13307:                            ;   in Loop: Header=BB6_13258 Depth=3
	s_and_saveexec_b64 s[40:41], s[16:17]
	s_cbranch_execz .LBB6_13320
; %bb.13308:                            ;   in Loop: Header=BB6_13258 Depth=3
	s_mov_b64 s[30:31], exec
	v_mbcnt_lo_u32_b32 v2, s30, 0
	v_mbcnt_hi_u32_b32 v2, s31, v2
	v_cmp_eq_u32_e32 vcc, 0, v2
	s_waitcnt lgkmcnt(0)
	buffer_wbinvl1_vol
	s_and_saveexec_b64 s[94:95], vcc
	s_cbranch_execz .LBB6_13310
; %bb.13309:                            ;   in Loop: Header=BB6_13258 Depth=3
	s_bcnt1_i32_b64 s47, s[30:31]
	v_mov_b32_e32 v2, s47
	v_mov_b32_e32 v3, v34
	ds_add_u64 v0, v[2:3]
	s_trap 2
.LBB6_13310:                            ;   in Loop: Header=BB6_13258 Depth=3
	s_or_b64 exec, exec, s[94:95]
	s_trap 2
	ds_read_b64 v[2:3], v0
	s_waitcnt lgkmcnt(0)
	buffer_load_dword v4, off, s[0:3], s33 offset:76 ; 4-byte Folded Reload
	buffer_load_dword v5, off, s[0:3], s33 offset:80 ; 4-byte Folded Reload
	s_waitcnt vmcnt(1)
	v_add_co_u32_e32 v4, vcc, v4, v39
	s_waitcnt vmcnt(0)
	v_addc_co_u32_e32 v5, vcc, 0, v5, vcc
	buffer_store_dword v4, off, s[0:3], s33 offset:76 ; 4-byte Folded Spill
	s_nop 0
	buffer_store_dword v5, off, s[0:3], s33 offset:80 ; 4-byte Folded Spill
	v_cmp_lt_u64_e32 vcc, v[2:3], v[4:5]
	s_and_saveexec_b64 s[94:95], vcc
	s_cbranch_execz .LBB6_13319
; %bb.13311:                            ;   in Loop: Header=BB6_13258 Depth=3
	s_mov_b32 s47, 0
	s_mov_b64 s[30:31], 0
                                        ; implicit-def: $sgpr34_sgpr35
                                        ; implicit-def: $sgpr36_sgpr37
	s_branch .LBB6_13313
.LBB6_13312:                            ;   in Loop: Header=BB6_13313 Depth=4
	s_or_b64 exec, exec, s[48:49]
	s_and_b64 vcc, exec, vcc
	s_or_b64 s[30:31], vcc, s[30:31]
	s_andn2_b64 vcc, s[34:35], exec
	s_and_b64 s[34:35], s[36:37], exec
	s_or_b64 s[34:35], vcc, s[34:35]
	s_andn2_b64 exec, exec, s[30:31]
	s_cbranch_execz .LBB6_13317
.LBB6_13313:                            ;   Parent Loop BB6_47 Depth=1
                                        ;     Parent Loop BB6_13255 Depth=2
                                        ;       Parent Loop BB6_13258 Depth=3
                                        ; =>      This Inner Loop Header: Depth=4
	s_add_i32 s47, s47, 1
	s_cmpk_lg_i32 s47, 0x2710
	s_cselect_b64 s[38:39], -1, 0
	s_and_b64 vcc, exec, s[38:39]
	s_cbranch_vccz .LBB6_13315
; %bb.13314:                            ;   in Loop: Header=BB6_13313 Depth=4
	s_mov_b64 vcc, -1
	s_or_b64 s[36:37], s[36:37], exec
	s_and_saveexec_b64 s[48:49], s[38:39]
	s_cbranch_execz .LBB6_13312
	s_branch .LBB6_13316
.LBB6_13315:                            ;   in Loop: Header=BB6_13313 Depth=4
	s_trap 2
	ds_read_b64 v[2:3], v0
	s_andn2_b64 s[38:39], s[38:39], exec
	s_mov_b32 s47, 0
	s_waitcnt vmcnt(0) lgkmcnt(0)
	flat_load_dword v2, v[2:3] glc
	s_waitcnt vmcnt(0) lgkmcnt(0)
	buffer_wbinvl1_vol
	v_cmp_eq_u32_e32 vcc, 0, v2
	s_and_b64 vcc, vcc, exec
	s_or_b64 s[38:39], s[38:39], vcc
	s_mov_b64 vcc, -1
	s_or_b64 s[36:37], s[36:37], exec
	s_and_saveexec_b64 s[48:49], s[38:39]
	s_cbranch_execz .LBB6_13312
.LBB6_13316:                            ;   in Loop: Header=BB6_13313 Depth=4
	s_sleep 1
	s_trap 2
	ds_read_b64 v[2:3], v0
	s_waitcnt lgkmcnt(0)
	buffer_load_dword v4, off, s[0:3], s33 offset:76 ; 4-byte Folded Reload
	buffer_load_dword v5, off, s[0:3], s33 offset:80 ; 4-byte Folded Reload
	s_andn2_b64 s[36:37], s[36:37], exec
	s_waitcnt vmcnt(0)
	v_cmp_ge_u64_e32 vcc, v[2:3], v[4:5]
	s_orn2_b64 vcc, vcc, exec
	s_branch .LBB6_13312
.LBB6_13317:                            ;   in Loop: Header=BB6_13258 Depth=3
	s_or_b64 exec, exec, s[30:31]
	s_and_saveexec_b64 vcc, s[34:35]
	s_xor_b64 vcc, exec, vcc
	s_cbranch_execz .LBB6_13319
; %bb.13318:                            ;   in Loop: Header=BB6_13258 Depth=3
	v_mov_b32_e32 v2, 1
	ds_write_b32 v0, v2
	s_trap 2
.LBB6_13319:                            ;   in Loop: Header=BB6_13258 Depth=3
	s_or_b64 exec, exec, s[94:95]
	;;#ASMSTART
	s_wakeup
	;;#ASMEND
.LBB6_13320:                            ;   in Loop: Header=BB6_13258 Depth=3
	s_or_b64 exec, exec, s[40:41]
.LBB6_13321:                            ;   in Loop: Header=BB6_13258 Depth=3
	s_andn2_saveexec_b64 s[28:29], s[28:29]
	s_cbranch_execz .LBB6_13323
; %bb.13322:                            ;   in Loop: Header=BB6_13258 Depth=3
	s_waitcnt vmcnt(0) lgkmcnt(0)
	buffer_wbinvl1_vol
	s_barrier
.LBB6_13323:                            ;   in Loop: Header=BB6_13258 Depth=3
	s_or_b64 exec, exec, s[28:29]
.LBB6_13324:                            ;   in Loop: Header=BB6_13258 Depth=3
	s_or_b64 exec, exec, s[26:27]
	s_trap 2
	ds_read_b64 v[4:5], v0
	s_waitcnt lgkmcnt(0)
	v_cmp_eq_u64_e32 vcc, 0, v[4:5]
	s_cbranch_vccnz .LBB6_13333
; %bb.13325:                            ;   in Loop: Header=BB6_13258 Depth=3
	s_trap 2
	ds_read_b64 v[6:7], v0
	s_waitcnt lgkmcnt(0)
	v_cmp_eq_u64_e32 vcc, 0, v[6:7]
	s_cbranch_vccnz .LBB6_13333
; %bb.13326:                            ;   in Loop: Header=BB6_13258 Depth=3
	s_trap 2
	ds_read_b64 v[2:3], v0
	v_cmp_eq_u32_e64 s[26:27], 0, v8
	v_cndmask_b32_e64 v17, 0, v1, s[26:27]
	s_waitcnt lgkmcnt(0)
	v_cmp_ne_u64_e32 vcc, 0, v[2:3]
	s_cbranch_vccz .LBB6_13338
; %bb.13327:                            ;   in Loop: Header=BB6_13258 Depth=3
	s_mov_b64 s[28:29], -1
	s_and_saveexec_b64 s[26:27], s[20:21]
	s_cbranch_execz .LBB6_13329
; %bb.13328:                            ;   in Loop: Header=BB6_13258 Depth=3
	ds_read_b32 v8, v0 offset:720
	s_waitcnt lgkmcnt(0)
	v_and_b32_e32 v8, 15, v8
	v_cmp_eq_u32_e32 vcc, 0, v8
	s_orn2_b64 s[28:29], vcc, exec
.LBB6_13329:                            ;   in Loop: Header=BB6_13258 Depth=3
	s_or_b64 exec, exec, s[26:27]
	s_and_saveexec_b64 s[26:27], s[22:23]
	s_cbranch_execz .LBB6_13331
; %bb.13330:                            ;   in Loop: Header=BB6_13258 Depth=3
	ds_read_b32 v8, v0 offset:784
	s_waitcnt lgkmcnt(0)
	v_and_b32_e32 v8, 15, v8
	v_cmp_eq_u32_e32 vcc, 0, v8
	s_and_b64 s[40:41], s[28:29], vcc
	s_andn2_b64 s[28:29], s[28:29], exec
	s_and_b64 s[40:41], s[40:41], exec
	s_or_b64 s[28:29], s[28:29], s[40:41]
.LBB6_13331:                            ;   in Loop: Header=BB6_13258 Depth=3
	s_or_b64 exec, exec, s[26:27]
	s_xor_b64 s[28:29], s[28:29], -1
	v_cndmask_b32_e64 v8, 0, 1, s[28:29]
	v_cmp_ne_u32_e32 vcc, 0, v8
	buffer_load_dword v20, off, s[0:3], s33 offset:348 ; 4-byte Folded Reload
	buffer_load_dword v8, off, s[0:3], s33 offset:320 ; 4-byte Folded Reload
	s_mov_b64 s[26:27], -1
	v_mov_b32_e32 v18, 0
	v_mov_b32_e32 v19, v17
	s_cbranch_vccz .LBB6_13340
; %bb.13332:                            ;   in Loop: Header=BB6_13258 Depth=3
	s_and_saveexec_b64 s[40:41], s[26:27]
	s_cbranch_execnz .LBB6_13355
	s_branch .LBB6_13365
.LBB6_13333:                            ;   in Loop: Header=BB6_13258 Depth=3
	s_mov_b64 s[26:27], 0
	s_and_saveexec_b64 s[28:29], s[10:11]
	s_cbranch_execnz .LBB6_13394
.LBB6_13334:                            ;   in Loop: Header=BB6_13258 Depth=3
	s_or_b64 exec, exec, s[28:29]
                                        ; implicit-def: $vgpr2
	s_and_saveexec_b64 s[28:29], s[24:25]
	s_xor_b64 s[28:29], exec, s[28:29]
	s_cbranch_execz .LBB6_13412
.LBB6_13335:                            ;   in Loop: Header=BB6_13258 Depth=3
	buffer_load_dword v3, off, s[0:3], s33 offset:72 ; 4-byte Folded Reload
	s_waitcnt vmcnt(0)
	v_and_b32_e32 v2, 16, v3
	v_and_b32_e32 v3, 16, v3
	v_cmp_ne_u32_e32 vcc, 0, v3
	s_and_b64 s[40:41], vcc, s[26:27]
	s_and_saveexec_b64 s[26:27], s[40:41]
	s_cbranch_execz .LBB6_13337
; %bb.13336:                            ;   in Loop: Header=BB6_13258 Depth=3
	v_mov_b32_e32 v2, 1
	s_waitcnt lgkmcnt(0)
	buffer_wbinvl1_vol
.LBB6_13337:                            ;   in Loop: Header=BB6_13258 Depth=3
	s_or_b64 exec, exec, s[26:27]
	s_andn2_saveexec_b64 s[26:27], s[28:29]
	s_cbranch_execz .LBB6_13431
	s_branch .LBB6_13413
.LBB6_13338:                            ;   in Loop: Header=BB6_13258 Depth=3
	s_cbranch_execnz .LBB6_13366
.LBB6_13339:                            ;   in Loop: Header=BB6_13258 Depth=3
	v_cmp_lt_i32_e64 s[26:27], 0, v17
	s_and_saveexec_b64 s[28:29], s[10:11]
	s_cbranch_execnz .LBB6_13394
	s_branch .LBB6_13334
.LBB6_13340:                            ;   in Loop: Header=BB6_13258 Depth=3
	s_waitcnt vmcnt(0)
	v_ashrrev_i32_e32 v8, 31, v17
	v_lshrrev_b32_e32 v8, 20, v8
	v_add_u32_e32 v8, v17, v8
	v_ashrrev_i32_e32 v18, 12, v8
	buffer_load_dword v8, off, s[0:3], s33 offset:320 ; 4-byte Folded Reload
	s_waitcnt vmcnt(0)
	v_sub_u32_e32 v22, v18, v8
	v_cmp_lt_i32_e32 vcc, 0, v22
	s_and_saveexec_b64 s[26:27], vcc
	s_cbranch_execz .LBB6_13344
; %bb.13341:                            ;   in Loop: Header=BB6_13258 Depth=3
	buffer_load_dword v12, off, s[0:3], s33 offset:424 ; 4-byte Folded Reload
	buffer_load_dword v13, off, s[0:3], s33 offset:428 ; 4-byte Folded Reload
	;; [unrolled: 1-line block ×3, first 2 shown]
	s_mov_b64 s[28:29], 0
	s_waitcnt vmcnt(2)
	v_add_co_u32_e32 v8, vcc, v4, v12
	s_waitcnt vmcnt(1)
	v_addc_co_u32_e32 v9, vcc, v5, v13, vcc
	v_add_co_u32_e32 v10, vcc, v6, v12
	v_addc_co_u32_e32 v11, vcc, v7, v13, vcc
	v_add_co_u32_e32 v12, vcc, v2, v12
	v_addc_co_u32_e32 v13, vcc, v3, v13, vcc
.LBB6_13342:                            ;   Parent Loop BB6_47 Depth=1
                                        ;     Parent Loop BB6_13255 Depth=2
                                        ;       Parent Loop BB6_13258 Depth=3
                                        ; =>      This Inner Loop Header: Depth=4
	global_load_dwordx4 v[23:26], v[8:9], off glc slc
	global_load_dwordx4 v[27:30], v[8:9], off offset:1024 glc slc
	global_load_dwordx4 v[35:38], v[8:9], off offset:2048 glc slc
	global_load_dwordx4 v[48:51], v[8:9], off offset:3072 glc slc
	s_waitcnt vmcnt(4)
	v_add_co_u32_e32 v8, vcc, v8, v19
	v_addc_co_u32_e32 v9, vcc, 0, v9, vcc
	v_sub_u32_e32 v22, v22, v39
	v_cmp_gt_i32_e32 vcc, 1, v22
	s_or_b64 s[28:29], vcc, s[28:29]
	s_waitcnt vmcnt(3)
	global_store_dwordx4 v[10:11], v[23:26], off glc slc
	s_waitcnt vmcnt(3)
	global_store_dwordx4 v[10:11], v[27:30], off offset:1024 glc slc
	s_waitcnt vmcnt(3)
	global_store_dwordx4 v[10:11], v[35:38], off offset:2048 glc slc
	s_waitcnt vmcnt(3)
	global_store_dwordx4 v[10:11], v[48:51], off offset:3072 glc slc
	global_store_dwordx4 v[12:13], v[23:26], off glc slc
	global_store_dwordx4 v[12:13], v[27:30], off offset:1024 glc slc
	global_store_dwordx4 v[12:13], v[35:38], off offset:2048 glc slc
	;; [unrolled: 1-line block ×3, first 2 shown]
	v_add_co_u32_e32 v10, vcc, v10, v19
	v_addc_co_u32_e32 v11, vcc, 0, v11, vcc
	v_add_co_u32_e32 v12, vcc, v12, v19
	v_addc_co_u32_e32 v13, vcc, 0, v13, vcc
	s_andn2_b64 exec, exec, s[28:29]
	s_cbranch_execnz .LBB6_13342
; %bb.13343:                            ;   in Loop: Header=BB6_13258 Depth=3
	s_or_b64 exec, exec, s[28:29]
.LBB6_13344:                            ;   in Loop: Header=BB6_13258 Depth=3
	s_or_b64 exec, exec, s[26:27]
	v_lshlrev_b32_e32 v21, 12, v18
	v_cmp_ne_u32_e32 vcc, v17, v21
	s_mov_b64 s[26:27], 0
	v_mov_b32_e32 v18, 0
                                        ; implicit-def: $vgpr19
                                        ; implicit-def: $vgpr20
                                        ; implicit-def: $vgpr8
	s_and_saveexec_b64 s[94:95], vcc
	s_cbranch_execz .LBB6_13354
; %bb.13345:                            ;   in Loop: Header=BB6_13258 Depth=3
	buffer_load_dword v10, off, s[0:3], s33 offset:460 ; 4-byte Folded Reload
	v_lshlrev_b32_e32 v8, 6, v22
	v_sub_u32_e32 v9, v17, v21
	s_waitcnt vmcnt(0)
	v_sub_u32_e32 v8, v10, v8
	v_ashrrev_i32_e32 v10, 31, v8
	v_lshrrev_b32_e32 v10, 26, v10
	v_add_u32_e32 v10, v8, v10
	v_ashrrev_i32_e32 v11, 6, v10
	v_and_b32_e32 v10, 0xffffffc0, v10
	v_sub_u32_e32 v22, v8, v10
	v_ashrrev_i32_e32 v10, 31, v9
	v_lshrrev_b32_e32 v10, 22, v10
	v_add_u32_e32 v10, v9, v10
	v_and_b32_e32 v23, 0xfffffc00, v10
	v_lshlrev_b32_e32 v8, 4, v22
	v_sub_u32_e32 v25, v9, v23
	v_lshl_add_u32 v8, v11, 10, v8
	v_ashrrev_i32_e32 v12, 10, v10
	v_cmp_lt_i32_e64 s[26:27], 15, v25
	v_sub_u32_e32 v18, v9, v8
	v_addc_co_u32_e64 v9, vcc, 0, v12, s[26:27]
	v_sub_u32_e32 v24, v9, v11
	v_cmp_lt_i32_e32 vcc, 15, v18
	s_and_saveexec_b64 s[30:31], vcc
	s_cbranch_execz .LBB6_13351
; %bb.13346:                            ;   in Loop: Header=BB6_13258 Depth=3
	v_add_u32_e32 v8, v8, v21
	v_ashrrev_i32_e32 v9, 31, v8
	v_add_co_u32_e32 v12, vcc, v8, v4
	v_addc_co_u32_e32 v13, vcc, v9, v5, vcc
	v_add_co_u32_e32 v19, vcc, v8, v6
	v_addc_co_u32_e32 v20, vcc, v9, v7, vcc
	;; [unrolled: 2-line block ×3, first 2 shown]
	s_mov_b64 s[34:35], 0
.LBB6_13347:                            ;   Parent Loop BB6_47 Depth=1
                                        ;     Parent Loop BB6_13255 Depth=2
                                        ;       Parent Loop BB6_13258 Depth=3
                                        ; =>      This Loop Header: Depth=4
                                        ;           Child Loop BB6_13348 Depth 5
	global_load_dwordx4 v[8:11], v[12:13], off glc slc
	s_mov_b64 s[36:37], -1
	s_mov_b64 s[38:39], 0
	s_waitcnt vmcnt(0)
.LBB6_13348:                            ;   Parent Loop BB6_47 Depth=1
                                        ;     Parent Loop BB6_13255 Depth=2
                                        ;       Parent Loop BB6_13258 Depth=3
                                        ;         Parent Loop BB6_13347 Depth=4
                                        ; =>        This Inner Loop Header: Depth=5
	s_cmp_eq_u32 s38, 1
	s_cselect_b64 s[28:29], -1, 0
	v_cndmask_b32_e64 v29, v20, v27, s[28:29]
	v_cndmask_b32_e64 v28, v19, v26, s[28:29]
	global_store_dwordx4 v[28:29], v[8:11], off glc slc
	v_add_co_u32_e32 v28, vcc, 0x400, v28
	s_cmp_eq_u32 s38, 0
	v_addc_co_u32_e32 v29, vcc, 0, v29, vcc
	s_cselect_b64 vcc, -1, 0
	s_and_b64 s[40:41], exec, s[36:37]
	s_mov_b64 s[38:39], 1
	v_cndmask_b32_e64 v26, v26, v28, s[28:29]
	s_mov_b64 s[36:37], 0
	v_cndmask_b32_e64 v27, v27, v29, s[28:29]
	v_cndmask_b32_e32 v20, v20, v29, vcc
	v_cndmask_b32_e32 v19, v19, v28, vcc
	s_mov_b64 vcc, s[40:41]
	s_cbranch_vccnz .LBB6_13348
; %bb.13349:                            ;   in Loop: Header=BB6_13347 Depth=4
	buffer_load_dword v8, off, s[0:3], s33 offset:352 ; 4-byte Folded Reload
	buffer_load_dword v9, off, s[0:3], s33 offset:356 ; 4-byte Folded Reload
	v_sub_u32_e32 v24, v24, v39
	s_waitcnt vmcnt(1)
	v_add_co_u32_e32 v19, vcc, v19, v8
	s_waitcnt vmcnt(0)
	v_addc_co_u32_e32 v20, vcc, v20, v9, vcc
	v_add_co_u32_e32 v26, vcc, v26, v8
	buffer_load_dword v8, off, s[0:3], s33 offset:360 ; 4-byte Folded Reload
	v_addc_co_u32_e32 v27, vcc, v27, v9, vcc
	s_waitcnt vmcnt(0)
	v_add_co_u32_e32 v12, vcc, v8, v12
	buffer_load_dword v8, off, s[0:3], s33 offset:364 ; 4-byte Folded Reload
	s_waitcnt vmcnt(0)
	v_addc_co_u32_e32 v13, vcc, v8, v13, vcc
	buffer_load_dword v8, off, s[0:3], s33 offset:316 ; 4-byte Folded Reload
	s_waitcnt vmcnt(0)
	v_sub_u32_e32 v18, v18, v8
	v_cmp_gt_i32_e32 vcc, 16, v18
	s_or_b64 s[34:35], vcc, s[34:35]
	s_andn2_b64 exec, exec, s[34:35]
	s_cbranch_execnz .LBB6_13347
; %bb.13350:                            ;   in Loop: Header=BB6_13258 Depth=3
	s_or_b64 exec, exec, s[34:35]
.LBB6_13351:                            ;   in Loop: Header=BB6_13258 Depth=3
	s_or_b64 exec, exec, s[30:31]
	v_and_b32_e32 v9, 15, v17
	v_cndmask_b32_e64 v19, v25, v9, s[26:27]
	v_mov_b32_e32 v18, 0
	v_cmp_ne_u32_e32 vcc, 0, v19
	s_mov_b64 s[40:41], 0
                                        ; implicit-def: $vgpr20
                                        ; implicit-def: $vgpr8
	s_and_saveexec_b64 s[28:29], vcc
	s_cbranch_execz .LBB6_13353
; %bb.13352:                            ;   in Loop: Header=BB6_13258 Depth=3
	v_sub_u32_e32 v8, v25, v9
	v_cndmask_b32_e64 v8, 0, v8, s[26:27]
	v_cmp_lt_i32_e32 vcc, 0, v24
	v_add3_u32 v18, v23, v21, v8
	v_cndmask_b32_e32 v8, 0, v39, vcc
	v_sub_u32_e32 v8, v8, v24
	v_lshl_add_u32 v20, v8, 6, v22
	v_ashrrev_i32_e32 v8, 31, v20
	v_lshrrev_b32_e32 v8, 26, v8
	v_add_u32_e32 v8, v20, v8
	v_ashrrev_i32_e32 v8, 6, v8
	s_mov_b64 s[40:41], exec
.LBB6_13353:                            ;   in Loop: Header=BB6_13258 Depth=3
	s_or_b64 exec, exec, s[28:29]
	s_and_b64 s[26:27], s[40:41], exec
.LBB6_13354:                            ;   in Loop: Header=BB6_13258 Depth=3
	s_or_b64 exec, exec, s[94:95]
	s_and_saveexec_b64 s[40:41], s[26:27]
	s_cbranch_execz .LBB6_13365
.LBB6_13355:                            ;   in Loop: Header=BB6_13258 Depth=3
	v_ashrrev_i32_e32 v9, 31, v19
	v_lshrrev_b32_e32 v9, 21, v9
	v_add_u32_e32 v9, v19, v9
	v_ashrrev_i32_e32 v23, 11, v9
	s_waitcnt vmcnt(0)
	v_sub_u32_e32 v21, v23, v8
	v_ashrrev_i32_e32 v9, 31, v20
	v_cmp_lt_i32_e32 vcc, 0, v21
	v_lshrrev_b32_e32 v22, 26, v9
	s_and_saveexec_b64 s[26:27], vcc
	s_cbranch_execz .LBB6_13359
; %bb.13356:                            ;   in Loop: Header=BB6_13258 Depth=3
	buffer_load_dword v47, off, s[0:3], s33 offset:272 ; 4-byte Folded Reload
	v_add_u32_e32 v9, v20, v22
	v_and_b32_e32 v9, 0xffffffc0, v9
	v_sub_u32_e32 v9, v20, v9
	v_lshlrev_b32_e32 v8, 11, v8
	v_add3_u32 v12, v18, v9, v8
	v_ashrrev_i32_e32 v13, 31, v12
	v_add_co_u32_e32 v8, vcc, v12, v6
	v_addc_co_u32_e32 v9, vcc, v13, v7, vcc
	v_add_co_u32_e32 v10, vcc, v12, v2
	v_addc_co_u32_e32 v11, vcc, v13, v3, vcc
	;; [unrolled: 2-line block ×4, first 2 shown]
	s_mov_b64 s[28:29], 0
.LBB6_13357:                            ;   Parent Loop BB6_47 Depth=1
                                        ;     Parent Loop BB6_13255 Depth=2
                                        ;       Parent Loop BB6_13258 Depth=3
                                        ; =>      This Inner Loop Header: Depth=4
	v_add_co_u32_e32 v2, vcc, 0xfffff840, v12
	v_addc_co_u32_e32 v3, vcc, -1, v13, vcc
	v_add_co_u32_e32 v24, vcc, 0xfffff880, v12
	v_addc_co_u32_e32 v25, vcc, -1, v13, vcc
	flat_load_ubyte v2, v[2:3] glc slc
	s_nop 0
	flat_load_ubyte v3, v[24:25] glc slc
	v_add_co_u32_e32 v24, vcc, 0xfffff8c0, v12
	v_addc_co_u32_e32 v25, vcc, -1, v13, vcc
	flat_load_ubyte v24, v[24:25] glc slc
	v_add_co_u32_e32 v25, vcc, 0xfffff900, v12
	v_addc_co_u32_e32 v26, vcc, -1, v13, vcc
	;; [unrolled: 3-line block ×9, first 2 shown]
	v_add_co_u32_e32 v35, vcc, 0xfffffb00, v12
	v_addc_co_u32_e32 v36, vcc, -1, v13, vcc
	flat_load_ubyte v32, v[32:33] glc slc
	s_nop 0
	flat_load_ubyte v33, v[35:36] glc slc
	v_add_co_u32_e32 v35, vcc, 0xfffffb40, v12
	v_addc_co_u32_e32 v36, vcc, -1, v13, vcc
	flat_load_ubyte v35, v[35:36] glc slc
	v_add_co_u32_e32 v36, vcc, 0xfffffb80, v12
	v_addc_co_u32_e32 v37, vcc, -1, v13, vcc
	flat_load_ubyte v36, v[36:37] glc slc
	v_add_co_u32_e32 v37, vcc, 0xfffffbc0, v12
	v_addc_co_u32_e32 v38, vcc, -1, v13, vcc
	flat_load_ubyte v37, v[37:38] glc slc
	v_add_co_u32_e32 v38, vcc, s69, v12
	v_addc_co_u32_e32 v39, vcc, -1, v13, vcc
	v_add_co_u32_e32 v48, vcc, 0xfffffc40, v12
	v_addc_co_u32_e32 v49, vcc, -1, v13, vcc
	flat_load_ubyte v38, v[38:39] glc slc
	s_nop 0
	flat_load_ubyte v39, v[48:49] glc slc
	v_add_co_u32_e32 v48, vcc, 0xfffffc80, v12
	v_addc_co_u32_e32 v49, vcc, -1, v13, vcc
	flat_load_ubyte v48, v[48:49] glc slc
	v_add_co_u32_e32 v49, vcc, 0xfffffcc0, v12
	v_addc_co_u32_e32 v50, vcc, -1, v13, vcc
	;; [unrolled: 3-line block ×7, first 2 shown]
	v_add_co_u32_e32 v40, vcc, 0xfffffe40, v12
	v_addc_co_u32_e32 v41, vcc, -1, v13, vcc
	flat_load_ubyte v54, v[54:55] glc slc
	s_nop 0
	flat_load_ubyte v55, v[40:41] glc slc
	v_add_co_u32_e32 v40, vcc, 0xfffffe80, v12
	v_addc_co_u32_e32 v41, vcc, -1, v13, vcc
	flat_load_ubyte v40, v[40:41] glc slc
	v_add_co_u32_e32 v41, vcc, 0xfffffec0, v12
	v_addc_co_u32_e32 v42, vcc, -1, v13, vcc
	;; [unrolled: 3-line block ×6, first 2 shown]
	flat_load_ubyte v45, v[45:46] glc slc
	s_nop 0
	flat_load_ubyte v46, v[12:13] glc slc
	s_waitcnt vmcnt(0) lgkmcnt(0)
	flat_store_byte v[8:9], v2 glc slc
	flat_store_byte v[8:9], v3 offset:64 glc slc
	flat_store_byte v[8:9], v24 offset:128 glc slc
	;; [unrolled: 1-line block ×31, first 2 shown]
	flat_store_byte v[10:11], v2 glc slc
	flat_store_byte v[10:11], v3 offset:64 glc slc
	flat_store_byte v[10:11], v24 offset:128 glc slc
	;; [unrolled: 1-line block ×16, first 2 shown]
	buffer_load_dword v39, off, s[0:3], s33 offset:100 ; 4-byte Folded Reload
	v_add_co_u32_e32 v8, vcc, v8, v47
	v_addc_co_u32_e32 v9, vcc, 0, v9, vcc
	flat_store_byte v[10:11], v48 offset:1088 glc slc
	flat_store_byte v[10:11], v49 offset:1152 glc slc
	;; [unrolled: 1-line block ×15, first 2 shown]
	v_add_co_u32_e32 v10, vcc, v10, v47
	v_addc_co_u32_e32 v11, vcc, 0, v11, vcc
	v_add_co_u32_e32 v12, vcc, v12, v47
	v_addc_co_u32_e32 v13, vcc, 0, v13, vcc
	s_waitcnt vmcnt(0)
	v_sub_u32_e32 v21, v21, v39
	v_cmp_gt_i32_e32 vcc, 1, v21
	s_or_b64 s[28:29], vcc, s[28:29]
	s_andn2_b64 exec, exec, s[28:29]
	s_cbranch_execnz .LBB6_13357
; %bb.13358:                            ;   in Loop: Header=BB6_13258 Depth=3
	s_or_b64 exec, exec, s[28:29]
.LBB6_13359:                            ;   in Loop: Header=BB6_13258 Depth=3
	s_or_b64 exec, exec, s[26:27]
	v_lshlrev_b32_e32 v2, 11, v23
	v_cmp_ne_u32_e32 vcc, v19, v2
	s_and_b64 exec, exec, vcc
	s_cbranch_execz .LBB6_13365
; %bb.13360:                            ;   in Loop: Header=BB6_13258 Depth=3
	v_add_u32_e32 v3, v20, v22
	v_and_b32_e32 v3, 0xffffffc0, v3
	v_sub_u32_e32 v3, v20, v3
	v_lshlrev_b32_e32 v8, 6, v21
	v_sub_u32_e32 v3, v3, v8
	v_add_u32_e32 v2, v2, v3
	v_sub_u32_e32 v8, v19, v2
	v_cmp_lt_i32_e32 vcc, 0, v8
	s_and_b64 exec, exec, vcc
	s_cbranch_execz .LBB6_13365
; %bb.13361:                            ;   in Loop: Header=BB6_13258 Depth=3
	v_add_u32_e32 v13, v2, v18
	s_trap 2
	ds_read_b64 v[2:3], v0
	ds_read_b128 v[9:12], v0
	v_ashrrev_i32_e32 v18, 31, v13
	s_mov_b64 s[94:95], 0
	s_waitcnt lgkmcnt(0)
	v_add_co_u32_e32 v2, vcc, v2, v13
	v_addc_co_u32_e32 v3, vcc, v3, v18, vcc
	v_add_co_u32_e32 v9, vcc, v9, v13
	v_addc_co_u32_e32 v10, vcc, v10, v18, vcc
	;; [unrolled: 2-line block ×3, first 2 shown]
.LBB6_13362:                            ;   Parent Loop BB6_47 Depth=1
                                        ;     Parent Loop BB6_13255 Depth=2
                                        ;       Parent Loop BB6_13258 Depth=3
                                        ; =>      This Loop Header: Depth=4
                                        ;           Child Loop BB6_13363 Depth 5
	flat_load_ubyte v13, v[2:3] glc slc
	s_mov_b64 s[30:31], -1
	s_mov_b64 s[34:35], 0
	s_waitcnt vmcnt(0)
.LBB6_13363:                            ;   Parent Loop BB6_47 Depth=1
                                        ;     Parent Loop BB6_13255 Depth=2
                                        ;       Parent Loop BB6_13258 Depth=3
                                        ;         Parent Loop BB6_13362 Depth=4
                                        ; =>        This Inner Loop Header: Depth=5
	s_cmp_eq_u32 s34, 1
	s_cselect_b64 vcc, -1, 0
	v_cndmask_b32_e32 v19, v10, v12, vcc
	v_cndmask_b32_e32 v18, v9, v11, vcc
	s_waitcnt lgkmcnt(0)
	flat_store_byte v[18:19], v13 glc slc
	v_add_co_u32_e64 v18, s[26:27], 64, v18
	s_cmp_eq_u32 s34, 0
	v_addc_co_u32_e64 v19, s[26:27], 0, v19, s[26:27]
	s_cselect_b64 s[26:27], -1, 0
	s_and_b64 s[28:29], exec, s[30:31]
	s_mov_b64 s[34:35], 1
	s_mov_b64 s[30:31], 0
	v_cndmask_b32_e32 v12, v12, v19, vcc
	v_cndmask_b32_e32 v11, v11, v18, vcc
	v_cndmask_b32_e64 v10, v10, v19, s[26:27]
	v_cndmask_b32_e64 v9, v9, v18, s[26:27]
	s_mov_b64 vcc, s[28:29]
	s_cbranch_vccnz .LBB6_13363
; %bb.13364:                            ;   in Loop: Header=BB6_13362 Depth=4
	buffer_load_dword v13, off, s[0:3], s33 offset:328 ; 4-byte Folded Reload
	buffer_load_dword v18, off, s[0:3], s33 offset:332 ; 4-byte Folded Reload
	s_waitcnt vmcnt(0)
	v_add_co_u32_e32 v9, vcc, v9, v13
	v_addc_co_u32_e32 v10, vcc, v10, v18, vcc
	v_add_co_u32_e32 v11, vcc, v11, v13
	buffer_load_dword v13, off, s[0:3], s33 offset:276 ; 4-byte Folded Reload
	v_addc_co_u32_e32 v12, vcc, v12, v18, vcc
	s_waitcnt vmcnt(0)
	v_sub_u32_e32 v8, v8, v13
	buffer_load_dword v13, off, s[0:3], s33 offset:336 ; 4-byte Folded Reload
	v_cmp_gt_i32_e32 vcc, 1, v8
	s_or_b64 s[94:95], vcc, s[94:95]
	s_waitcnt vmcnt(0)
	v_add_co_u32_e32 v2, vcc, v13, v2
	buffer_load_dword v13, off, s[0:3], s33 offset:340 ; 4-byte Folded Reload
	s_waitcnt vmcnt(0)
	v_addc_co_u32_e32 v3, vcc, v13, v3, vcc
	s_andn2_b64 exec, exec, s[94:95]
	s_cbranch_execnz .LBB6_13362
.LBB6_13365:                            ;   in Loop: Header=BB6_13258 Depth=3
	s_or_b64 exec, exec, s[40:41]
	s_branch .LBB6_13339
.LBB6_13366:                            ;   in Loop: Header=BB6_13258 Depth=3
	s_mov_b64 s[26:27], -1
	s_and_saveexec_b64 s[28:29], s[20:21]
	s_cbranch_execz .LBB6_13368
; %bb.13367:                            ;   in Loop: Header=BB6_13258 Depth=3
	ds_read_b32 v2, v0 offset:720
	s_waitcnt lgkmcnt(0)
	v_and_b32_e32 v2, 15, v2
	v_cmp_eq_u32_e32 vcc, 0, v2
	s_orn2_b64 s[26:27], vcc, exec
.LBB6_13368:                            ;   in Loop: Header=BB6_13258 Depth=3
	s_or_b64 exec, exec, s[28:29]
	s_and_saveexec_b64 s[28:29], s[18:19]
	s_cbranch_execz .LBB6_13370
; %bb.13369:                            ;   in Loop: Header=BB6_13258 Depth=3
	ds_read_b32 v2, v0 offset:784
	s_waitcnt lgkmcnt(0)
	v_and_b32_e32 v2, 15, v2
	v_cmp_eq_u32_e32 vcc, 0, v2
	s_and_b64 s[40:41], s[26:27], vcc
	s_andn2_b64 s[26:27], s[26:27], exec
	s_and_b64 s[40:41], s[40:41], exec
	s_or_b64 s[26:27], s[26:27], s[40:41]
.LBB6_13370:                            ;   in Loop: Header=BB6_13258 Depth=3
	s_or_b64 exec, exec, s[28:29]
	buffer_load_dword v8, off, s[0:3], s33 offset:348 ; 4-byte Folded Reload
	buffer_load_dword v11, off, s[0:3], s33 offset:320 ; 4-byte Folded Reload
	s_xor_b64 s[26:27], s[26:27], -1
	v_cndmask_b32_e64 v3, 0, 1, s[26:27]
	s_mov_b64 s[40:41], -1
	v_mov_b32_e32 v2, 0
	v_cmp_ne_u32_e32 vcc, 0, v3
	v_mov_b32_e32 v3, v17
	s_cbranch_vccz .LBB6_13372
; %bb.13371:                            ;   in Loop: Header=BB6_13258 Depth=3
	s_and_saveexec_b64 s[26:27], s[40:41]
	s_cbranch_execnz .LBB6_13385
	s_branch .LBB6_13393
.LBB6_13372:                            ;   in Loop: Header=BB6_13258 Depth=3
	v_ashrrev_i32_e32 v2, 31, v17
	v_lshrrev_b32_e32 v2, 19, v2
	v_add_u32_e32 v2, v17, v2
	s_waitcnt vmcnt(0)
	v_ashrrev_i32_e32 v11, 13, v2
	buffer_load_dword v2, off, s[0:3], s33 offset:320 ; 4-byte Folded Reload
	s_waitcnt vmcnt(0)
	v_sub_u32_e32 v10, v11, v2
	v_cmp_lt_i32_e32 vcc, 0, v10
	s_and_saveexec_b64 s[28:29], vcc
	s_cbranch_execz .LBB6_13376
; %bb.13373:                            ;   in Loop: Header=BB6_13258 Depth=3
	buffer_load_dword v46, off, s[0:3], s33 offset:480 ; 4-byte Folded Reload
	buffer_load_dword v47, off, s[0:3], s33 offset:484 ; 4-byte Folded Reload
	;; [unrolled: 1-line block ×3, first 2 shown]
	v_mov_b32_e32 v2, v6
	v_mov_b32_e32 v9, v5
	s_mov_b64 s[40:41], 0
	v_mov_b32_e32 v3, v7
	v_mov_b32_e32 v8, v4
	;; [unrolled: 1-line block ×3, first 2 shown]
.LBB6_13374:                            ;   Parent Loop BB6_47 Depth=1
                                        ;     Parent Loop BB6_13255 Depth=2
                                        ;       Parent Loop BB6_13258 Depth=3
                                        ; =>      This Inner Loop Header: Depth=4
	s_waitcnt vmcnt(0)
	v_add_co_u32_e32 v12, vcc, v47, v8
	v_addc_co_u32_e32 v13, vcc, v56, v9, vcc
	global_load_dwordx4 v[18:21], v[12:13], off glc slc
	global_load_dwordx4 v[22:25], v[12:13], off offset:1024 glc slc
	global_load_dwordx4 v[26:29], v[12:13], off offset:2048 glc slc
	global_load_dwordx4 v[30:33], v[12:13], off offset:3072 glc slc
	v_add_co_u32_e32 v12, vcc, s70, v12
	v_addc_co_u32_e32 v13, vcc, 0, v13, vcc
	global_load_dwordx4 v[35:38], v[12:13], off glc slc
	global_load_dwordx4 v[48:51], v[12:13], off offset:1024 glc slc
	global_load_dwordx4 v[52:55], v[12:13], off offset:2048 glc slc
	;; [unrolled: 1-line block ×3, first 2 shown]
	v_add_co_u32_e32 v12, vcc, v47, v2
	v_addc_co_u32_e32 v13, vcc, v56, v3, vcc
	v_add_co_u32_e32 v8, vcc, v8, v46
	v_addc_co_u32_e32 v9, vcc, 0, v9, vcc
	v_sub_u32_e32 v10, v10, v45
	v_add_co_u32_e32 v2, vcc, v2, v46
	v_addc_co_u32_e32 v3, vcc, 0, v3, vcc
	v_cmp_gt_i32_e64 s[26:27], 1, v10
	v_add_co_u32_e32 v43, vcc, s70, v12
	s_or_b64 s[40:41], s[26:27], s[40:41]
	v_addc_co_u32_e32 v44, vcc, 0, v13, vcc
	s_waitcnt vmcnt(0)
	global_store_dwordx4 v[12:13], v[18:21], off glc slc
	global_store_dwordx4 v[12:13], v[22:25], off offset:1024 glc slc
	global_store_dwordx4 v[12:13], v[26:29], off offset:2048 glc slc
	;; [unrolled: 1-line block ×3, first 2 shown]
	global_store_dwordx4 v[43:44], v[35:38], off glc slc
	global_store_dwordx4 v[43:44], v[48:51], off offset:1024 glc slc
	global_store_dwordx4 v[43:44], v[52:55], off offset:2048 glc slc
	;; [unrolled: 1-line block ×3, first 2 shown]
	s_andn2_b64 exec, exec, s[40:41]
	s_cbranch_execnz .LBB6_13374
; %bb.13375:                            ;   in Loop: Header=BB6_13258 Depth=3
	s_or_b64 exec, exec, s[40:41]
	v_mov_b32_e32 v39, v45
.LBB6_13376:                            ;   in Loop: Header=BB6_13258 Depth=3
	s_or_b64 exec, exec, s[28:29]
	v_lshlrev_b32_e32 v9, 13, v11
	v_cmp_ne_u32_e32 vcc, v17, v9
	s_mov_b64 s[40:41], 0
	v_mov_b32_e32 v2, 0
                                        ; implicit-def: $vgpr3
                                        ; implicit-def: $vgpr8
                                        ; implicit-def: $vgpr11
	s_and_saveexec_b64 s[28:29], vcc
	s_cbranch_execz .LBB6_13384
; %bb.13377:                            ;   in Loop: Header=BB6_13258 Depth=3
	buffer_load_dword v3, off, s[0:3], s33 offset:460 ; 4-byte Folded Reload
	v_lshlrev_b32_e32 v2, 6, v10
	v_sub_u32_e32 v8, v17, v9
	v_ashrrev_i32_e32 v12, 31, v8
	v_lshrrev_b32_e32 v12, 22, v12
	v_add_u32_e32 v12, v8, v12
	v_ashrrev_i32_e32 v13, 10, v12
	v_and_b32_e32 v12, 0xfffffc00, v12
	v_sub_u32_e32 v18, v8, v12
	v_cmp_lt_i32_e32 vcc, 15, v18
	s_waitcnt vmcnt(0)
	v_sub_u32_e32 v2, v3, v2
	v_ashrrev_i32_e32 v3, 31, v2
	v_lshrrev_b32_e32 v3, 26, v3
	v_add_u32_e32 v3, v2, v3
	v_ashrrev_i32_e32 v11, 6, v3
	v_and_b32_e32 v3, 0xffffffc0, v3
	v_sub_u32_e32 v10, v2, v3
	v_lshlrev_b32_e32 v2, 4, v10
	v_lshl_add_u32 v3, v11, 10, v2
	v_sub_u32_e32 v2, v8, v3
	v_addc_co_u32_e64 v8, s[26:27], 0, v13, vcc
	v_sub_u32_e32 v13, v8, v11
	v_cmp_lt_i32_e64 s[26:27], 15, v2
	s_and_saveexec_b64 s[40:41], s[26:27]
	s_cbranch_execz .LBB6_13381
; %bb.13378:                            ;   in Loop: Header=BB6_13258 Depth=3
	buffer_load_dword v11, off, s[0:3], s33 offset:316 ; 4-byte Folded Reload
	v_add_u32_e32 v3, v3, v9
	v_ashrrev_i32_e32 v8, 31, v3
	s_mov_b64 s[94:95], 0
.LBB6_13379:                            ;   Parent Loop BB6_47 Depth=1
                                        ;     Parent Loop BB6_13255 Depth=2
                                        ;       Parent Loop BB6_13258 Depth=3
                                        ; =>      This Inner Loop Header: Depth=4
	v_add_co_u32_e64 v19, s[26:27], v4, v3
	v_addc_co_u32_e64 v20, s[26:27], v5, v8, s[26:27]
	global_load_dwordx4 v[19:22], v[19:20], off glc slc
	v_add_co_u32_e64 v23, s[26:27], v6, v3
	v_addc_co_u32_e64 v24, s[26:27], v7, v8, s[26:27]
	s_waitcnt vmcnt(0)
	v_add_co_u32_e64 v3, s[26:27], v3, v11
	v_sub_u32_e32 v2, v2, v11
	v_addc_co_u32_e64 v8, s[26:27], 0, v8, s[26:27]
	v_cmp_gt_i32_e64 s[26:27], 16, v2
	v_sub_u32_e32 v13, v13, v39
	s_or_b64 s[94:95], s[26:27], s[94:95]
	global_store_dwordx4 v[23:24], v[19:22], off glc slc
	s_andn2_b64 exec, exec, s[94:95]
	s_cbranch_execnz .LBB6_13379
; %bb.13380:                            ;   in Loop: Header=BB6_13258 Depth=3
	s_or_b64 exec, exec, s[94:95]
.LBB6_13381:                            ;   in Loop: Header=BB6_13258 Depth=3
	s_or_b64 exec, exec, s[40:41]
	v_and_b32_e32 v19, 15, v17
	v_cndmask_b32_e32 v3, v18, v19, vcc
	v_mov_b32_e32 v2, 0
	v_cmp_ne_u32_e64 s[26:27], 0, v3
	s_mov_b64 s[94:95], 0
                                        ; implicit-def: $vgpr8
                                        ; implicit-def: $vgpr11
	s_and_saveexec_b64 s[40:41], s[26:27]
	s_cbranch_execz .LBB6_13383
; %bb.13382:                            ;   in Loop: Header=BB6_13258 Depth=3
	v_sub_u32_e32 v2, v18, v19
	v_cndmask_b32_e32 v2, 0, v2, vcc
	v_cmp_lt_i32_e32 vcc, 0, v13
	v_cndmask_b32_e32 v8, 0, v39, vcc
	v_sub_u32_e32 v8, v8, v13
	v_lshl_add_u32 v8, v8, 6, v10
	v_add3_u32 v2, v12, v9, v2
	v_ashrrev_i32_e32 v9, 31, v8
	v_lshrrev_b32_e32 v9, 26, v9
	v_add_u32_e32 v9, v8, v9
	v_ashrrev_i32_e32 v11, 6, v9
	s_mov_b64 s[94:95], exec
.LBB6_13383:                            ;   in Loop: Header=BB6_13258 Depth=3
	s_or_b64 exec, exec, s[40:41]
	s_and_b64 s[40:41], s[94:95], exec
.LBB6_13384:                            ;   in Loop: Header=BB6_13258 Depth=3
	s_or_b64 exec, exec, s[28:29]
	s_and_saveexec_b64 s[26:27], s[40:41]
	s_cbranch_execz .LBB6_13393
.LBB6_13385:                            ;   in Loop: Header=BB6_13258 Depth=3
	v_ashrrev_i32_e32 v9, 31, v3
	v_lshrrev_b32_e32 v9, 21, v9
	v_add_u32_e32 v9, v3, v9
	v_ashrrev_i32_e32 v10, 11, v9
	s_waitcnt vmcnt(0)
	v_sub_u32_e32 v9, v10, v11
	v_cmp_lt_i32_e32 vcc, 0, v9
	s_and_saveexec_b64 s[28:29], vcc
	s_cbranch_execz .LBB6_13389
; %bb.13386:                            ;   in Loop: Header=BB6_13258 Depth=3
	buffer_load_dword v45, off, s[0:3], s33 offset:272 ; 4-byte Folded Reload
	v_ashrrev_i32_e32 v12, 31, v8
	v_lshrrev_b32_e32 v12, 26, v12
	v_add_u32_e32 v12, v8, v12
	v_and_b32_e32 v12, 0xffffffc0, v12
	v_sub_u32_e32 v12, v8, v12
	v_lshlrev_b32_e32 v11, 11, v11
	v_add3_u32 v11, v2, v12, v11
	v_ashrrev_i32_e32 v12, 31, v11
	s_mov_b64 s[40:41], 0
	v_mov_b32_e32 v44, v39
.LBB6_13387:                            ;   Parent Loop BB6_47 Depth=1
                                        ;     Parent Loop BB6_13255 Depth=2
                                        ;       Parent Loop BB6_13258 Depth=3
                                        ; =>      This Inner Loop Header: Depth=4
	v_add_co_u32_e32 v18, vcc, v11, v4
	v_addc_co_u32_e32 v19, vcc, v12, v5, vcc
	flat_load_ubyte v13, v[18:19] glc slc
	flat_load_ubyte v20, v[18:19] offset:64 glc slc
	flat_load_ubyte v21, v[18:19] offset:128 glc slc
	flat_load_ubyte v22, v[18:19] offset:192 glc slc
	flat_load_ubyte v23, v[18:19] offset:256 glc slc
	flat_load_ubyte v24, v[18:19] offset:320 glc slc
	flat_load_ubyte v25, v[18:19] offset:384 glc slc
	flat_load_ubyte v26, v[18:19] offset:448 glc slc
	flat_load_ubyte v27, v[18:19] offset:512 glc slc
	flat_load_ubyte v28, v[18:19] offset:576 glc slc
	flat_load_ubyte v29, v[18:19] offset:640 glc slc
	flat_load_ubyte v30, v[18:19] offset:704 glc slc
	flat_load_ubyte v31, v[18:19] offset:768 glc slc
	flat_load_ubyte v32, v[18:19] offset:832 glc slc
	flat_load_ubyte v33, v[18:19] offset:896 glc slc
	flat_load_ubyte v35, v[18:19] offset:960 glc slc
	flat_load_ubyte v36, v[18:19] offset:1024 glc slc
	flat_load_ubyte v37, v[18:19] offset:1088 glc slc
	flat_load_ubyte v38, v[18:19] offset:1152 glc slc
	flat_load_ubyte v39, v[18:19] offset:1216 glc slc
	flat_load_ubyte v48, v[18:19] offset:1280 glc slc
	flat_load_ubyte v49, v[18:19] offset:1344 glc slc
	flat_load_ubyte v50, v[18:19] offset:1408 glc slc
	flat_load_ubyte v51, v[18:19] offset:1472 glc slc
	flat_load_ubyte v52, v[18:19] offset:1536 glc slc
	flat_load_ubyte v53, v[18:19] offset:1600 glc slc
	flat_load_ubyte v54, v[18:19] offset:1664 glc slc
	flat_load_ubyte v55, v[18:19] offset:1728 glc slc
	flat_load_ubyte v40, v[18:19] offset:1792 glc slc
	flat_load_ubyte v41, v[18:19] offset:1856 glc slc
	flat_load_ubyte v42, v[18:19] offset:1920 glc slc
	flat_load_ubyte v43, v[18:19] offset:1984 glc slc
	v_add_co_u32_e32 v18, vcc, v11, v6
	v_addc_co_u32_e32 v19, vcc, v12, v7, vcc
	s_waitcnt vmcnt(0)
	v_add_co_u32_e32 v4, vcc, v4, v45
	v_addc_co_u32_e32 v5, vcc, 0, v5, vcc
	v_add_co_u32_e32 v6, vcc, v6, v45
	v_sub_u32_e32 v9, v9, v44
	v_addc_co_u32_e32 v7, vcc, 0, v7, vcc
	v_cmp_gt_i32_e32 vcc, 1, v9
	s_or_b64 s[40:41], vcc, s[40:41]
	s_waitcnt lgkmcnt(0)
	flat_store_byte v[18:19], v13 glc slc
	flat_store_byte v[18:19], v20 offset:64 glc slc
	flat_store_byte v[18:19], v21 offset:128 glc slc
	;; [unrolled: 1-line block ×31, first 2 shown]
	s_andn2_b64 exec, exec, s[40:41]
	s_cbranch_execnz .LBB6_13387
; %bb.13388:                            ;   in Loop: Header=BB6_13258 Depth=3
	s_or_b64 exec, exec, s[40:41]
	v_mov_b32_e32 v39, v44
.LBB6_13389:                            ;   in Loop: Header=BB6_13258 Depth=3
	s_or_b64 exec, exec, s[28:29]
	v_lshlrev_b32_e32 v4, 11, v10
	buffer_load_dword v10, off, s[0:3], s33 offset:276 ; 4-byte Folded Reload
	v_cmp_ne_u32_e32 vcc, v3, v4
	s_and_b64 s[28:29], exec, vcc
	s_mov_b64 exec, s[28:29]
	s_cbranch_execz .LBB6_13393
; %bb.13390:                            ;   in Loop: Header=BB6_13258 Depth=3
	v_ashrrev_i32_e32 v5, 31, v8
	v_lshrrev_b32_e32 v5, 26, v5
	v_add_u32_e32 v5, v8, v5
	v_and_b32_e32 v5, 0xffffffc0, v5
	v_sub_u32_e32 v5, v8, v5
	v_lshlrev_b32_e32 v6, 6, v9
	v_sub_u32_e32 v5, v5, v6
	v_add_u32_e32 v5, v4, v5
	v_sub_u32_e32 v4, v3, v5
	v_cmp_lt_i32_e32 vcc, 0, v4
	s_and_b64 exec, exec, vcc
	s_cbranch_execz .LBB6_13393
; %bb.13391:                            ;   in Loop: Header=BB6_13258 Depth=3
	v_add_u32_e32 v5, v5, v2
	s_trap 2
	ds_read_b64 v[2:3], v0
	v_ashrrev_i32_e32 v6, 31, v5
	s_mov_b64 s[28:29], 0
.LBB6_13392:                            ;   Parent Loop BB6_47 Depth=1
                                        ;     Parent Loop BB6_13255 Depth=2
                                        ;       Parent Loop BB6_13258 Depth=3
                                        ; =>      This Inner Loop Header: Depth=4
	s_waitcnt lgkmcnt(0)
	v_add_co_u32_e32 v7, vcc, v2, v5
	v_addc_co_u32_e32 v8, vcc, v3, v6, vcc
	flat_load_ubyte v9, v[7:8] glc slc
	s_waitcnt vmcnt(0)
	v_add_co_u32_e32 v5, vcc, v5, v10
	v_sub_u32_e32 v4, v4, v10
	v_addc_co_u32_e32 v6, vcc, 0, v6, vcc
	v_cmp_gt_i32_e32 vcc, 1, v4
	s_or_b64 s[28:29], vcc, s[28:29]
	s_waitcnt lgkmcnt(0)
	flat_store_byte v[7:8], v9 glc slc
	s_andn2_b64 exec, exec, s[28:29]
	s_cbranch_execnz .LBB6_13392
.LBB6_13393:                            ;   in Loop: Header=BB6_13258 Depth=3
	s_or_b64 exec, exec, s[26:27]
	v_cmp_lt_i32_e64 s[26:27], 0, v17
	s_and_saveexec_b64 s[28:29], s[10:11]
	s_cbranch_execz .LBB6_13334
.LBB6_13394:                            ;   in Loop: Header=BB6_13258 Depth=3
	s_and_saveexec_b64 s[40:41], s[58:59]
	s_xor_b64 s[40:41], exec, s[40:41]
	s_cbranch_execz .LBB6_13409
; %bb.13395:                            ;   in Loop: Header=BB6_13258 Depth=3
	s_and_saveexec_b64 s[94:95], s[16:17]
	s_cbranch_execz .LBB6_13408
; %bb.13396:                            ;   in Loop: Header=BB6_13258 Depth=3
	s_mov_b64 s[34:35], exec
	v_mbcnt_lo_u32_b32 v2, s34, 0
	v_mbcnt_hi_u32_b32 v2, s35, v2
	v_cmp_eq_u32_e32 vcc, 0, v2
	s_waitcnt vmcnt(0) lgkmcnt(0)
	buffer_wbinvl1_vol
	s_and_saveexec_b64 s[30:31], vcc
	s_cbranch_execz .LBB6_13398
; %bb.13397:                            ;   in Loop: Header=BB6_13258 Depth=3
	s_bcnt1_i32_b64 s47, s[34:35]
	v_mov_b32_e32 v2, s47
	v_mov_b32_e32 v3, v34
	ds_add_u64 v0, v[2:3]
	s_trap 2
.LBB6_13398:                            ;   in Loop: Header=BB6_13258 Depth=3
	s_or_b64 exec, exec, s[30:31]
	s_trap 2
	ds_read_b64 v[2:3], v0
	s_waitcnt lgkmcnt(0)
	buffer_load_dword v4, off, s[0:3], s33 offset:76 ; 4-byte Folded Reload
	buffer_load_dword v5, off, s[0:3], s33 offset:80 ; 4-byte Folded Reload
	s_waitcnt vmcnt(1)
	v_add_co_u32_e32 v4, vcc, v4, v39
	s_waitcnt vmcnt(0)
	v_addc_co_u32_e32 v5, vcc, 0, v5, vcc
	buffer_store_dword v4, off, s[0:3], s33 offset:76 ; 4-byte Folded Spill
	s_nop 0
	buffer_store_dword v5, off, s[0:3], s33 offset:80 ; 4-byte Folded Spill
	v_cmp_lt_u64_e32 vcc, v[2:3], v[4:5]
	s_and_saveexec_b64 s[30:31], vcc
	s_cbranch_execz .LBB6_13407
; %bb.13399:                            ;   in Loop: Header=BB6_13258 Depth=3
	s_mov_b32 s47, 0
	s_mov_b64 s[34:35], 0
                                        ; implicit-def: $sgpr36_sgpr37
                                        ; implicit-def: $sgpr38_sgpr39
	s_branch .LBB6_13401
.LBB6_13400:                            ;   in Loop: Header=BB6_13401 Depth=4
	s_or_b64 exec, exec, s[50:51]
	s_and_b64 vcc, exec, vcc
	s_or_b64 s[34:35], vcc, s[34:35]
	s_andn2_b64 vcc, s[36:37], exec
	s_and_b64 s[36:37], s[38:39], exec
	s_or_b64 s[36:37], vcc, s[36:37]
	s_andn2_b64 exec, exec, s[34:35]
	s_cbranch_execz .LBB6_13405
.LBB6_13401:                            ;   Parent Loop BB6_47 Depth=1
                                        ;     Parent Loop BB6_13255 Depth=2
                                        ;       Parent Loop BB6_13258 Depth=3
                                        ; =>      This Inner Loop Header: Depth=4
	s_add_i32 s47, s47, 1
	s_cmpk_lg_i32 s47, 0x2710
	s_cselect_b64 s[48:49], -1, 0
	s_and_b64 vcc, exec, s[48:49]
	s_cbranch_vccz .LBB6_13403
; %bb.13402:                            ;   in Loop: Header=BB6_13401 Depth=4
	s_mov_b64 vcc, -1
	s_or_b64 s[38:39], s[38:39], exec
	s_and_saveexec_b64 s[50:51], s[48:49]
	s_cbranch_execz .LBB6_13400
	s_branch .LBB6_13404
.LBB6_13403:                            ;   in Loop: Header=BB6_13401 Depth=4
	s_trap 2
	ds_read_b64 v[2:3], v0
	s_andn2_b64 s[48:49], s[48:49], exec
	s_mov_b32 s47, 0
	s_waitcnt vmcnt(0) lgkmcnt(0)
	flat_load_dword v2, v[2:3] glc
	s_waitcnt vmcnt(0) lgkmcnt(0)
	buffer_wbinvl1_vol
	v_cmp_eq_u32_e32 vcc, 0, v2
	s_and_b64 vcc, vcc, exec
	s_or_b64 s[48:49], s[48:49], vcc
	s_mov_b64 vcc, -1
	s_or_b64 s[38:39], s[38:39], exec
	s_and_saveexec_b64 s[50:51], s[48:49]
	s_cbranch_execz .LBB6_13400
.LBB6_13404:                            ;   in Loop: Header=BB6_13401 Depth=4
	s_sleep 1
	s_trap 2
	ds_read_b64 v[2:3], v0
	s_waitcnt lgkmcnt(0)
	buffer_load_dword v4, off, s[0:3], s33 offset:76 ; 4-byte Folded Reload
	buffer_load_dword v5, off, s[0:3], s33 offset:80 ; 4-byte Folded Reload
	s_andn2_b64 s[38:39], s[38:39], exec
	s_waitcnt vmcnt(0)
	v_cmp_ge_u64_e32 vcc, v[2:3], v[4:5]
	s_orn2_b64 vcc, vcc, exec
	s_branch .LBB6_13400
.LBB6_13405:                            ;   in Loop: Header=BB6_13258 Depth=3
	s_or_b64 exec, exec, s[34:35]
	s_and_saveexec_b64 vcc, s[36:37]
	s_xor_b64 vcc, exec, vcc
	s_cbranch_execz .LBB6_13407
; %bb.13406:                            ;   in Loop: Header=BB6_13258 Depth=3
	v_mov_b32_e32 v2, 1
	ds_write_b32 v0, v2
	s_trap 2
.LBB6_13407:                            ;   in Loop: Header=BB6_13258 Depth=3
	s_or_b64 exec, exec, s[30:31]
	;;#ASMSTART
	s_wakeup
	;;#ASMEND
.LBB6_13408:                            ;   in Loop: Header=BB6_13258 Depth=3
	s_or_b64 exec, exec, s[94:95]
.LBB6_13409:                            ;   in Loop: Header=BB6_13258 Depth=3
	s_andn2_saveexec_b64 s[40:41], s[40:41]
	s_cbranch_execz .LBB6_13411
; %bb.13410:                            ;   in Loop: Header=BB6_13258 Depth=3
	s_waitcnt vmcnt(0) lgkmcnt(0)
	buffer_wbinvl1_vol
	s_barrier
.LBB6_13411:                            ;   in Loop: Header=BB6_13258 Depth=3
	s_or_b64 exec, exec, s[40:41]
	s_or_b64 exec, exec, s[28:29]
                                        ; implicit-def: $vgpr2
	s_and_saveexec_b64 s[28:29], s[24:25]
	s_xor_b64 s[28:29], exec, s[28:29]
	s_cbranch_execnz .LBB6_13335
.LBB6_13412:                            ;   in Loop: Header=BB6_13258 Depth=3
	s_andn2_saveexec_b64 s[26:27], s[28:29]
	s_cbranch_execz .LBB6_13431
.LBB6_13413:                            ;   in Loop: Header=BB6_13258 Depth=3
	s_and_saveexec_b64 s[28:29], s[58:59]
	s_xor_b64 s[28:29], exec, s[28:29]
	s_cbranch_execz .LBB6_13428
; %bb.13414:                            ;   in Loop: Header=BB6_13258 Depth=3
	s_and_saveexec_b64 s[40:41], s[16:17]
	s_cbranch_execz .LBB6_13427
; %bb.13415:                            ;   in Loop: Header=BB6_13258 Depth=3
	s_mov_b64 s[30:31], exec
	v_mbcnt_lo_u32_b32 v2, s30, 0
	v_mbcnt_hi_u32_b32 v2, s31, v2
	v_cmp_eq_u32_e32 vcc, 0, v2
	;;#ASMSTART
	s_waitcnt lgkmcnt(0) vmcnt(0)
	;;#ASMEND
	s_and_saveexec_b64 s[94:95], vcc
	s_cbranch_execz .LBB6_13417
; %bb.13416:                            ;   in Loop: Header=BB6_13258 Depth=3
	s_bcnt1_i32_b64 s47, s[30:31]
	v_mov_b32_e32 v2, s47
	v_mov_b32_e32 v3, v34
	s_waitcnt lgkmcnt(0)
	ds_add_u64 v0, v[2:3]
	s_trap 2
.LBB6_13417:                            ;   in Loop: Header=BB6_13258 Depth=3
	s_or_b64 exec, exec, s[94:95]
	s_trap 2
	ds_read_b64 v[2:3], v0
	s_waitcnt lgkmcnt(0)
	buffer_load_dword v4, off, s[0:3], s33 offset:76 ; 4-byte Folded Reload
	buffer_load_dword v5, off, s[0:3], s33 offset:80 ; 4-byte Folded Reload
	s_waitcnt vmcnt(0)
	v_add_co_u32_e32 v4, vcc, v4, v39
	v_addc_co_u32_e32 v5, vcc, 0, v5, vcc
	buffer_store_dword v4, off, s[0:3], s33 offset:76 ; 4-byte Folded Spill
	s_nop 0
	buffer_store_dword v5, off, s[0:3], s33 offset:80 ; 4-byte Folded Spill
	v_cmp_lt_u64_e32 vcc, v[2:3], v[4:5]
	s_and_saveexec_b64 s[94:95], vcc
	s_cbranch_execz .LBB6_13426
; %bb.13418:                            ;   in Loop: Header=BB6_13258 Depth=3
	s_mov_b32 s47, 0
	s_mov_b64 s[30:31], 0
                                        ; implicit-def: $sgpr34_sgpr35
                                        ; implicit-def: $sgpr36_sgpr37
	s_branch .LBB6_13420
.LBB6_13419:                            ;   in Loop: Header=BB6_13420 Depth=4
	s_or_b64 exec, exec, s[48:49]
	s_and_b64 vcc, exec, vcc
	s_or_b64 s[30:31], vcc, s[30:31]
	s_andn2_b64 vcc, s[34:35], exec
	s_and_b64 s[34:35], s[36:37], exec
	s_or_b64 s[34:35], vcc, s[34:35]
	s_andn2_b64 exec, exec, s[30:31]
	s_cbranch_execz .LBB6_13424
.LBB6_13420:                            ;   Parent Loop BB6_47 Depth=1
                                        ;     Parent Loop BB6_13255 Depth=2
                                        ;       Parent Loop BB6_13258 Depth=3
                                        ; =>      This Inner Loop Header: Depth=4
	s_add_i32 s47, s47, 1
	s_cmpk_lg_i32 s47, 0x2710
	s_cselect_b64 s[38:39], -1, 0
	s_and_b64 vcc, exec, s[38:39]
	s_cbranch_vccz .LBB6_13422
; %bb.13421:                            ;   in Loop: Header=BB6_13420 Depth=4
	s_mov_b64 vcc, -1
	s_or_b64 s[36:37], s[36:37], exec
	s_and_saveexec_b64 s[48:49], s[38:39]
	s_cbranch_execz .LBB6_13419
	s_branch .LBB6_13423
.LBB6_13422:                            ;   in Loop: Header=BB6_13420 Depth=4
	s_trap 2
	ds_read_b64 v[2:3], v0
	s_andn2_b64 s[38:39], s[38:39], exec
	s_mov_b32 s47, 0
	s_waitcnt vmcnt(0) lgkmcnt(0)
	flat_load_dword v2, v[2:3] glc
	s_waitcnt vmcnt(0) lgkmcnt(0)
	buffer_wbinvl1_vol
	v_cmp_eq_u32_e32 vcc, 0, v2
	s_and_b64 vcc, vcc, exec
	s_or_b64 s[38:39], s[38:39], vcc
	s_mov_b64 vcc, -1
	s_or_b64 s[36:37], s[36:37], exec
	s_and_saveexec_b64 s[48:49], s[38:39]
	s_cbranch_execz .LBB6_13419
.LBB6_13423:                            ;   in Loop: Header=BB6_13420 Depth=4
	s_sleep 1
	s_trap 2
	ds_read_b64 v[2:3], v0
	s_waitcnt lgkmcnt(0)
	buffer_load_dword v4, off, s[0:3], s33 offset:76 ; 4-byte Folded Reload
	buffer_load_dword v5, off, s[0:3], s33 offset:80 ; 4-byte Folded Reload
	s_andn2_b64 s[36:37], s[36:37], exec
	s_waitcnt vmcnt(0)
	v_cmp_ge_u64_e32 vcc, v[2:3], v[4:5]
	s_orn2_b64 vcc, vcc, exec
	s_branch .LBB6_13419
.LBB6_13424:                            ;   in Loop: Header=BB6_13258 Depth=3
	s_or_b64 exec, exec, s[30:31]
	s_and_saveexec_b64 vcc, s[34:35]
	s_xor_b64 vcc, exec, vcc
	s_cbranch_execz .LBB6_13426
; %bb.13425:                            ;   in Loop: Header=BB6_13258 Depth=3
	v_mov_b32_e32 v2, 1
	ds_write_b32 v0, v2
	s_trap 2
.LBB6_13426:                            ;   in Loop: Header=BB6_13258 Depth=3
	s_or_b64 exec, exec, s[94:95]
	;;#ASMSTART
	s_wakeup
	;;#ASMEND
.LBB6_13427:                            ;   in Loop: Header=BB6_13258 Depth=3
	s_or_b64 exec, exec, s[40:41]
.LBB6_13428:                            ;   in Loop: Header=BB6_13258 Depth=3
	s_andn2_saveexec_b64 s[28:29], s[28:29]
	s_cbranch_execz .LBB6_13430
; %bb.13429:                            ;   in Loop: Header=BB6_13258 Depth=3
	;;#ASMSTART
	s_waitcnt lgkmcnt(0) vmcnt(0)
	;;#ASMEND
	s_waitcnt vmcnt(0) lgkmcnt(0)
	s_barrier
.LBB6_13430:                            ;   in Loop: Header=BB6_13258 Depth=3
	s_or_b64 exec, exec, s[28:29]
	buffer_load_dword v2, off, s[0:3], s33 offset:72 ; 4-byte Folded Reload
	s_waitcnt vmcnt(0)
	v_and_b32_e32 v2, 16, v2
.LBB6_13431:                            ;   in Loop: Header=BB6_13258 Depth=3
	s_or_b64 exec, exec, s[26:27]
	v_cmp_ne_u32_e32 vcc, 0, v2
	s_xor_b64 s[26:27], s[12:13], -1
	s_and_b64 s[28:29], vcc, s[26:27]
	s_and_saveexec_b64 s[26:27], s[28:29]
	s_cbranch_execz .LBB6_13433
; %bb.13432:                            ;   in Loop: Header=BB6_13258 Depth=3
	buffer_load_dword v2, off, s[0:3], s33 offset:308 ; 4-byte Folded Reload
	buffer_load_dword v3, off, s[0:3], s33 offset:312 ; 4-byte Folded Reload
	v_mov_b32_e32 v4, 1
	s_waitcnt vmcnt(0)
	flat_store_dword v[2:3], v4
.LBB6_13433:                            ;   in Loop: Header=BB6_13258 Depth=3
	s_or_b64 exec, exec, s[26:27]
	buffer_load_dword v2, off, s[0:3], s33 offset:72 ; 4-byte Folded Reload
	s_waitcnt vmcnt(0)
	v_and_b32_e32 v2, 48, v2
	v_cmp_ne_u32_e32 vcc, 0, v2
	s_and_saveexec_b64 s[26:27], vcc
	s_cbranch_execz .LBB6_13257
; %bb.13434:                            ;   in Loop: Header=BB6_13258 Depth=3
	buffer_load_dword v4, off, s[0:3], s33 offset:84 ; 4-byte Folded Reload
	buffer_load_dword v5, off, s[0:3], s33 offset:88 ; 4-byte Folded Reload
	;; [unrolled: 1-line block ×4, first 2 shown]
	s_waitcnt vmcnt(0)
	v_add_co_u32_e32 v4, vcc, 2, v4
	v_addc_co_u32_e32 v5, vcc, 0, v5, vcc
	buffer_store_dword v4, off, s[0:3], s33 offset:84 ; 4-byte Folded Spill
	s_nop 0
	buffer_store_dword v5, off, s[0:3], s33 offset:88 ; 4-byte Folded Spill
	flat_store_dwordx2 v[2:3], v[4:5]
	s_branch .LBB6_13257
.LBB6_13435:                            ;   in Loop: Header=BB6_13255 Depth=2
	s_or_b64 exec, exec, s[42:43]
	v_cmp_gt_i32_e32 vcc, 2, v4
	s_and_saveexec_b64 s[28:29], vcc
	s_cbranch_execz .LBB6_13511
.LBB6_13436:                            ;   in Loop: Header=BB6_13255 Depth=2
	v_cmp_eq_u32_e64 s[42:43], 0, v4
	s_mov_b64 s[40:41], 0
	s_branch .LBB6_13438
.LBB6_13437:                            ;   in Loop: Header=BB6_13438 Depth=3
	s_or_b64 exec, exec, s[26:27]
	v_add_u32_e32 v14, v1, v14
	s_mov_b64 s[42:43], 0
	s_andn2_b64 exec, exec, s[40:41]
	s_cbranch_execz .LBB6_13512
.LBB6_13438:                            ;   Parent Loop BB6_47 Depth=1
                                        ;     Parent Loop BB6_13255 Depth=2
                                        ; =>    This Loop Header: Depth=3
                                        ;         Child Loop BB6_13444 Depth 4
                                        ;         Child Loop BB6_13472 Depth 4
                                        ;         Child Loop BB6_13495 Depth 4
	v_sub_u32_e32 v2, v0, v14
	v_min_i32_e32 v1, v1, v2
	buffer_load_dword v2, off, s[0:3], s33 offset:72 ; 4-byte Folded Reload
	s_waitcnt vmcnt(0)
	v_and_b32_e32 v2, 12, v2
	v_cmp_ne_u32_e32 vcc, 0, v2
	s_and_saveexec_b64 s[90:91], vcc
	s_cbranch_execz .LBB6_13464
; %bb.13439:                            ;   in Loop: Header=BB6_13438 Depth=3
	buffer_load_dword v2, off, s[0:3], s33 offset:72 ; 4-byte Folded Reload
	s_waitcnt vmcnt(0)
	v_and_b32_e32 v11, 8, v2
	buffer_load_dword v2, off, s[0:3], s33 offset:56 ; 4-byte Folded Reload
	buffer_load_dword v3, off, s[0:3], s33 offset:60 ; 4-byte Folded Reload
	s_waitcnt vmcnt(0)
	v_add_co_u32_e32 v5, vcc, v2, v11
	v_addc_co_u32_e32 v6, vcc, 0, v3, vcc
	buffer_load_dword v3, off, s[0:3], s33 offset:84 ; 4-byte Folded Reload
	buffer_load_dword v4, off, s[0:3], s33 offset:88 ; 4-byte Folded Reload
	s_waitcnt vmcnt(0)
	v_add_co_u32_e32 v3, vcc, 2, v3
	v_addc_co_u32_e32 v4, vcc, 0, v4, vcc
	v_cmp_lt_u64_e32 vcc, v[5:6], v[3:4]
	s_and_saveexec_b64 s[92:93], vcc
	s_cbranch_execz .LBB6_13451
; %bb.13440:                            ;   in Loop: Header=BB6_13438 Depth=3
	buffer_load_dword v2, off, s[0:3], s33 offset:72 ; 4-byte Folded Reload
	s_mov_b32 s47, 0
	s_mov_b64 s[94:95], 0
                                        ; implicit-def: $sgpr30_sgpr31
                                        ; implicit-def: $sgpr34_sgpr35
                                        ; implicit-def: $sgpr36_sgpr37
	s_waitcnt vmcnt(0)
	v_and_b32_e32 v2, 64, v2
	v_cmp_eq_u32_e32 vcc, 0, v2
	s_branch .LBB6_13444
.LBB6_13441:                            ;   in Loop: Header=BB6_13444 Depth=4
	buffer_load_dword v5, off, s[0:3], s33 offset:56 ; 4-byte Folded Reload
	buffer_load_dword v6, off, s[0:3], s33 offset:60 ; 4-byte Folded Reload
	s_or_b64 s[50:51], s[50:51], exec
	s_waitcnt vmcnt(1)
	v_add_co_u32_e64 v5, s[26:27], v5, v11
	s_waitcnt vmcnt(0)
	v_addc_co_u32_e64 v6, s[26:27], 0, v6, s[26:27]
	v_cmp_ge_u64_e64 s[26:27], v[5:6], v[3:4]
	s_orn2_b64 s[48:49], s[26:27], exec
.LBB6_13442:                            ;   in Loop: Header=BB6_13444 Depth=4
	s_or_b64 exec, exec, s[54:55]
	s_andn2_b64 s[26:27], s[36:37], exec
	s_and_b64 s[36:37], s[50:51], exec
	s_or_b64 s[36:37], s[26:27], s[36:37]
	s_andn2_b64 s[26:27], s[34:35], exec
	s_and_b64 s[34:35], s[48:49], exec
	s_or_b64 s[34:35], s[26:27], s[34:35]
.LBB6_13443:                            ;   in Loop: Header=BB6_13444 Depth=4
	s_or_b64 exec, exec, s[38:39]
	s_and_b64 s[26:27], exec, s[34:35]
	s_or_b64 s[94:95], s[26:27], s[94:95]
	s_andn2_b64 s[26:27], s[30:31], exec
	s_and_b64 s[30:31], s[36:37], exec
	s_or_b64 s[30:31], s[26:27], s[30:31]
	s_andn2_b64 exec, exec, s[94:95]
	s_cbranch_execz .LBB6_13448
.LBB6_13444:                            ;   Parent Loop BB6_47 Depth=1
                                        ;     Parent Loop BB6_13255 Depth=2
                                        ;       Parent Loop BB6_13438 Depth=3
                                        ; =>      This Inner Loop Header: Depth=4
	s_sleep 1
	buffer_load_dword v5, off, s[0:3], s33 offset:64 ; 4-byte Folded Reload
	buffer_load_dword v6, off, s[0:3], s33 offset:68 ; 4-byte Folded Reload
	s_or_b64 s[36:37], s[36:37], exec
	s_or_b64 s[34:35], s[34:35], exec
                                        ; implicit-def: $vgpr2
	s_waitcnt vmcnt(0)
	flat_load_dwordx2 v[5:6], v[5:6] glc
	s_waitcnt vmcnt(0) lgkmcnt(0)
	buffer_store_dword v5, off, s[0:3], s33 offset:56 ; 4-byte Folded Spill
	s_nop 0
	buffer_store_dword v6, off, s[0:3], s33 offset:60 ; 4-byte Folded Spill
	s_and_saveexec_b64 s[38:39], vcc
	s_cbranch_execz .LBB6_13443
; %bb.13445:                            ;   in Loop: Header=BB6_13444 Depth=4
	s_cmpk_lt_i32 s47, 0x270f
	s_cselect_b64 s[52:53], -1, 0
	s_cmpk_gt_i32 s47, 0x270e
	s_mov_b64 s[48:49], -1
	s_cbranch_scc0 .LBB6_13447
; %bb.13446:                            ;   in Loop: Header=BB6_13444 Depth=4
	s_trap 2
	ds_read_b64 v[5:6], v0
	s_andn2_b64 s[52:53], s[52:53], exec
	s_mov_b32 s47, 0
	s_mov_b64 s[50:51], 0
	s_waitcnt vmcnt(0) lgkmcnt(0)
	flat_load_dword v2, v[5:6] glc
	s_waitcnt vmcnt(0) lgkmcnt(0)
	buffer_wbinvl1_vol
	v_cmp_eq_u32_e64 s[26:27], 0, v2
	s_and_b64 s[26:27], s[26:27], exec
	s_or_b64 s[52:53], s[52:53], s[26:27]
	s_and_saveexec_b64 s[54:55], s[52:53]
	s_cbranch_execz .LBB6_13442
	s_branch .LBB6_13441
.LBB6_13447:                            ;   in Loop: Header=BB6_13444 Depth=4
	s_add_i32 s47, s47, 1
	s_mov_b64 s[50:51], -1
                                        ; implicit-def: $vgpr2
	s_and_saveexec_b64 s[54:55], s[52:53]
	s_cbranch_execz .LBB6_13442
	s_branch .LBB6_13441
.LBB6_13448:                            ;   in Loop: Header=BB6_13438 Depth=3
	s_or_b64 exec, exec, s[94:95]
	s_xor_b64 s[26:27], s[30:31], -1
	s_and_saveexec_b64 s[94:95], s[26:27]
	s_xor_b64 s[26:27], exec, s[94:95]
	s_cbranch_execz .LBB6_13450
; %bb.13449:                            ;   in Loop: Header=BB6_13438 Depth=3
	ds_write_b32 v0, v2
	s_trap 2
	buffer_load_dword v2, off, s[0:3], s33 offset:72 ; 4-byte Folded Reload
	s_waitcnt vmcnt(0)
	v_or_b32_e32 v2, 64, v2
	buffer_store_dword v2, off, s[0:3], s33 offset:72 ; 4-byte Folded Spill
.LBB6_13450:                            ;   in Loop: Header=BB6_13438 Depth=3
	s_or_b64 exec, exec, s[26:27]
.LBB6_13451:                            ;   in Loop: Header=BB6_13438 Depth=3
	s_or_b64 exec, exec, s[92:93]
	;;#ASMSTART
	s_wakeup
	;;#ASMEND
	buffer_load_dword v2, off, s[0:3], s33 offset:72 ; 4-byte Folded Reload
                                        ; implicit-def: $vgpr5_vgpr6
	s_waitcnt vmcnt(0)
	v_and_b32_e32 v2, 0x108, v2
	v_cmp_ne_u32_e32 vcc, s71, v2
	s_and_saveexec_b64 s[26:27], vcc
	s_xor_b64 s[26:27], exec, s[26:27]
	s_cbranch_execz .LBB6_13453
; %bb.13452:                            ;   in Loop: Header=BB6_13438 Depth=3
	buffer_load_dword v5, off, s[0:3], s33 offset:84 ; 4-byte Folded Reload
	buffer_load_dword v6, off, s[0:3], s33 offset:88 ; 4-byte Folded Reload
	s_waitcnt vmcnt(0)
	v_mov_b32_e32 v6, v34
                                        ; implicit-def: $vgpr7_vgpr8
                                        ; kill: killed $vgpr7_vgpr8
	v_and_b32_e32 v5, 7, v5
.LBB6_13453:                            ;   in Loop: Header=BB6_13438 Depth=3
	s_andn2_saveexec_b64 s[26:27], s[26:27]
	s_cbranch_execz .LBB6_13455
; %bb.13454:                            ;   in Loop: Header=BB6_13438 Depth=3
	buffer_load_dword v5, off, s[0:3], s33 offset:84 ; 4-byte Folded Reload
	buffer_load_dword v6, off, s[0:3], s33 offset:88 ; 4-byte Folded Reload
	;; [unrolled: 1-line block ×6, first 2 shown]
	v_ashrrev_i32_e32 v2, 31, v1
	s_waitcnt vmcnt(0)
	v_and_b32_e32 v5, 7, v5
	v_mad_u64_u32 v[7:8], s[92:93], v5, 24, v[6:7]
	v_mov_b32_e32 v6, v34
	flat_store_dwordx2 v[7:8], v[1:2] offset:8
.LBB6_13455:                            ;   in Loop: Header=BB6_13438 Depth=3
	s_or_b64 exec, exec, s[26:27]
	buffer_load_dword v2, off, s[0:3], s33 offset:72 ; 4-byte Folded Reload
	s_mov_b64 s[26:27], -1
                                        ; implicit-def: $vgpr7_vgpr8
	s_waitcnt vmcnt(0)
	v_and_b32_e32 v2, 0x100, v2
	v_cmp_ne_u32_e32 vcc, 0, v2
	s_and_saveexec_b64 s[92:93], vcc
	s_cbranch_execz .LBB6_13459
; %bb.13456:                            ;   in Loop: Header=BB6_13438 Depth=3
	buffer_load_dword v7, off, s[0:3], s33 offset:292 ; 4-byte Folded Reload
	buffer_load_dword v8, off, s[0:3], s33 offset:296 ; 4-byte Folded Reload
	;; [unrolled: 1-line block ×4, first 2 shown]
	s_waitcnt vmcnt(0)
	v_mad_u64_u32 v[9:10], s[26:27], v5, 24, v[7:8]
	v_mov_b32_e32 v2, v10
	v_mad_u64_u32 v[7:8], s[26:27], v6, 24, v[2:3]
	v_mov_b32_e32 v10, v7
	flat_load_dword v2, v[9:10]
                                        ; implicit-def: $vgpr7_vgpr8
	s_waitcnt vmcnt(0) lgkmcnt(0)
	v_cmp_ne_u32_e32 vcc, 1, v2
	v_cmp_eq_u32_e64 s[26:27], 1, v2
	s_and_saveexec_b64 s[94:95], s[26:27]
	s_cbranch_execz .LBB6_13458
; %bb.13457:                            ;   in Loop: Header=BB6_13438 Depth=3
	flat_load_dword v7, v[9:10] offset:4 glc
	s_waitcnt vmcnt(0) lgkmcnt(0)
	v_ashrrev_i32_e32 v8, 31, v7
.LBB6_13458:                            ;   in Loop: Header=BB6_13438 Depth=3
	s_or_b64 exec, exec, s[94:95]
	s_orn2_b64 s[26:27], vcc, exec
.LBB6_13459:                            ;   in Loop: Header=BB6_13438 Depth=3
	s_or_b64 exec, exec, s[92:93]
	s_and_saveexec_b64 s[92:93], s[26:27]
	s_cbranch_execz .LBB6_13461
; %bb.13460:                            ;   in Loop: Header=BB6_13438 Depth=3
	buffer_load_dword v7, off, s[0:3], s33 offset:324 ; 4-byte Folded Reload
	s_waitcnt vmcnt(0)
	v_mul_lo_u32 v2, v6, v7
	buffer_load_dword v6, off, s[0:3], s33 offset:344 ; 4-byte Folded Reload
	v_mad_u64_u32 v[7:8], s[26:27], v5, v7, 0
	s_waitcnt vmcnt(0)
	v_mul_lo_u32 v6, v5, v6
	v_add3_u32 v8, v8, v6, v2
.LBB6_13461:                            ;   in Loop: Header=BB6_13438 Depth=3
	s_or_b64 exec, exec, s[92:93]
	v_cmp_eq_u32_e32 vcc, 0, v11
	v_mov_b32_e32 v2, 0xd0
	v_mov_b32_e32 v5, 0x88
	v_cndmask_b32_e32 v2, v2, v5, vcc
	buffer_load_dword v5, off, s[0:3], s33 offset:284 ; 4-byte Folded Reload
	buffer_load_dword v6, off, s[0:3], s33 offset:288 ; 4-byte Folded Reload
	v_add_u32_e32 v2, v0, v2
	s_waitcnt vmcnt(0)
	v_add_co_u32_e32 v5, vcc, v5, v7
	v_addc_co_u32_e32 v6, vcc, v6, v8, vcc
	ds_write_b64 v2, v[5:6] offset:584
	buffer_load_dword v2, off, s[0:3], s33 offset:72 ; 4-byte Folded Reload
	s_waitcnt vmcnt(0)
	v_and_b32_e32 v2, 0x2000, v2
	v_cmp_ne_u32_e32 vcc, 0, v2
	s_and_saveexec_b64 s[26:27], vcc
	s_cbranch_execz .LBB6_13463
; %bb.13462:                            ;   in Loop: Header=BB6_13438 Depth=3
	ds_read_b64 v[5:6], v0 offset:872
	s_waitcnt lgkmcnt(0)
	v_add_co_u32_e32 v5, vcc, 1, v5
	v_addc_co_u32_e32 v6, vcc, 0, v6, vcc
	ds_write_b64 v0, v[5:6] offset:872
.LBB6_13463:                            ;   in Loop: Header=BB6_13438 Depth=3
	s_or_b64 exec, exec, s[26:27]
	buffer_store_dword v3, off, s[0:3], s33 offset:84 ; 4-byte Folded Spill
	s_nop 0
	buffer_store_dword v4, off, s[0:3], s33 offset:88 ; 4-byte Folded Spill
.LBB6_13464:                            ;   in Loop: Header=BB6_13438 Depth=3
	s_or_b64 exec, exec, s[90:91]
	s_xor_b64 s[26:27], s[42:43], -1
	s_and_b64 s[26:27], exec, s[26:27]
	s_or_b64 s[40:41], s[26:27], s[40:41]
	s_and_saveexec_b64 s[26:27], s[10:11]
	s_cbranch_execz .LBB6_13483
; %bb.13465:                            ;   in Loop: Header=BB6_13438 Depth=3
	s_and_saveexec_b64 s[42:43], s[58:59]
	s_xor_b64 s[42:43], exec, s[42:43]
	s_cbranch_execz .LBB6_13480
; %bb.13466:                            ;   in Loop: Header=BB6_13438 Depth=3
	s_and_saveexec_b64 s[90:91], s[16:17]
	s_cbranch_execz .LBB6_13479
; %bb.13467:                            ;   in Loop: Header=BB6_13438 Depth=3
	s_mov_b64 s[94:95], exec
	v_mbcnt_lo_u32_b32 v2, s94, 0
	v_mbcnt_hi_u32_b32 v2, s95, v2
	v_cmp_eq_u32_e32 vcc, 0, v2
	s_waitcnt vmcnt(0) lgkmcnt(0)
	buffer_wbinvl1_vol
	s_and_saveexec_b64 s[92:93], vcc
	s_cbranch_execz .LBB6_13469
; %bb.13468:                            ;   in Loop: Header=BB6_13438 Depth=3
	s_bcnt1_i32_b64 s47, s[94:95]
	v_mov_b32_e32 v2, s47
	v_mov_b32_e32 v3, v34
	ds_add_u64 v0, v[2:3]
	s_trap 2
.LBB6_13469:                            ;   in Loop: Header=BB6_13438 Depth=3
	s_or_b64 exec, exec, s[92:93]
	s_trap 2
	ds_read_b64 v[2:3], v0
	s_waitcnt lgkmcnt(0)
	buffer_load_dword v4, off, s[0:3], s33 offset:76 ; 4-byte Folded Reload
	buffer_load_dword v5, off, s[0:3], s33 offset:80 ; 4-byte Folded Reload
	s_waitcnt vmcnt(1)
	v_add_co_u32_e32 v4, vcc, v4, v39
	s_waitcnt vmcnt(0)
	v_addc_co_u32_e32 v5, vcc, 0, v5, vcc
	buffer_store_dword v4, off, s[0:3], s33 offset:76 ; 4-byte Folded Spill
	s_nop 0
	buffer_store_dword v5, off, s[0:3], s33 offset:80 ; 4-byte Folded Spill
	v_cmp_lt_u64_e32 vcc, v[2:3], v[4:5]
	s_and_saveexec_b64 s[92:93], vcc
	s_cbranch_execz .LBB6_13478
; %bb.13470:                            ;   in Loop: Header=BB6_13438 Depth=3
	s_mov_b32 s47, 0
	s_mov_b64 s[94:95], 0
                                        ; implicit-def: $sgpr30_sgpr31
                                        ; implicit-def: $sgpr34_sgpr35
	s_branch .LBB6_13472
.LBB6_13471:                            ;   in Loop: Header=BB6_13472 Depth=4
	s_or_b64 exec, exec, s[38:39]
	s_and_b64 vcc, exec, vcc
	s_or_b64 s[94:95], vcc, s[94:95]
	s_andn2_b64 vcc, s[30:31], exec
	s_and_b64 s[30:31], s[34:35], exec
	s_or_b64 s[30:31], vcc, s[30:31]
	s_andn2_b64 exec, exec, s[94:95]
	s_cbranch_execz .LBB6_13476
.LBB6_13472:                            ;   Parent Loop BB6_47 Depth=1
                                        ;     Parent Loop BB6_13255 Depth=2
                                        ;       Parent Loop BB6_13438 Depth=3
                                        ; =>      This Inner Loop Header: Depth=4
	s_add_i32 s47, s47, 1
	s_cmpk_lg_i32 s47, 0x2710
	s_cselect_b64 s[36:37], -1, 0
	s_and_b64 vcc, exec, s[36:37]
	s_cbranch_vccz .LBB6_13474
; %bb.13473:                            ;   in Loop: Header=BB6_13472 Depth=4
	s_mov_b64 vcc, -1
	s_or_b64 s[34:35], s[34:35], exec
	s_and_saveexec_b64 s[38:39], s[36:37]
	s_cbranch_execz .LBB6_13471
	s_branch .LBB6_13475
.LBB6_13474:                            ;   in Loop: Header=BB6_13472 Depth=4
	s_trap 2
	ds_read_b64 v[2:3], v0
	s_andn2_b64 s[36:37], s[36:37], exec
	s_mov_b32 s47, 0
	s_waitcnt vmcnt(0) lgkmcnt(0)
	flat_load_dword v2, v[2:3] glc
	s_waitcnt vmcnt(0) lgkmcnt(0)
	buffer_wbinvl1_vol
	v_cmp_eq_u32_e32 vcc, 0, v2
	s_and_b64 vcc, vcc, exec
	s_or_b64 s[36:37], s[36:37], vcc
	s_mov_b64 vcc, -1
	s_or_b64 s[34:35], s[34:35], exec
	s_and_saveexec_b64 s[38:39], s[36:37]
	s_cbranch_execz .LBB6_13471
.LBB6_13475:                            ;   in Loop: Header=BB6_13472 Depth=4
	s_sleep 1
	s_trap 2
	ds_read_b64 v[2:3], v0
	s_waitcnt lgkmcnt(0)
	buffer_load_dword v4, off, s[0:3], s33 offset:76 ; 4-byte Folded Reload
	buffer_load_dword v5, off, s[0:3], s33 offset:80 ; 4-byte Folded Reload
	s_andn2_b64 s[34:35], s[34:35], exec
	s_waitcnt vmcnt(0)
	v_cmp_ge_u64_e32 vcc, v[2:3], v[4:5]
	s_orn2_b64 vcc, vcc, exec
	s_branch .LBB6_13471
.LBB6_13476:                            ;   in Loop: Header=BB6_13438 Depth=3
	s_or_b64 exec, exec, s[94:95]
	s_and_saveexec_b64 s[94:95], s[30:31]
	s_xor_b64 s[94:95], exec, s[94:95]
	s_cbranch_execz .LBB6_13478
; %bb.13477:                            ;   in Loop: Header=BB6_13438 Depth=3
	v_mov_b32_e32 v2, 1
	ds_write_b32 v0, v2
	s_trap 2
.LBB6_13478:                            ;   in Loop: Header=BB6_13438 Depth=3
	s_or_b64 exec, exec, s[92:93]
	;;#ASMSTART
	s_wakeup
	;;#ASMEND
.LBB6_13479:                            ;   in Loop: Header=BB6_13438 Depth=3
	s_or_b64 exec, exec, s[90:91]
.LBB6_13480:                            ;   in Loop: Header=BB6_13438 Depth=3
	s_andn2_saveexec_b64 s[42:43], s[42:43]
	s_cbranch_execz .LBB6_13482
; %bb.13481:                            ;   in Loop: Header=BB6_13438 Depth=3
	s_waitcnt vmcnt(0) lgkmcnt(0)
	buffer_wbinvl1_vol
	s_barrier
.LBB6_13482:                            ;   in Loop: Header=BB6_13438 Depth=3
	s_or_b64 exec, exec, s[42:43]
.LBB6_13483:                            ;   in Loop: Header=BB6_13438 Depth=3
	s_or_b64 exec, exec, s[26:27]
                                        ; implicit-def: $vgpr2
	s_and_saveexec_b64 s[26:27], s[24:25]
	s_xor_b64 s[26:27], exec, s[26:27]
	s_cbranch_execz .LBB6_13487
; %bb.13484:                            ;   in Loop: Header=BB6_13438 Depth=3
	s_trap 2
	buffer_load_dword v3, off, s[0:3], s33 offset:72 ; 4-byte Folded Reload
	ds_read_b32 v2, v0
	v_cmp_lt_i32_e32 vcc, 0, v1
	s_waitcnt lgkmcnt(0)
	v_readfirstlane_b32 s42, v2
	s_cmp_eq_u32 s42, 0
	s_cselect_b64 s[42:43], -1, 0
	s_and_b64 s[42:43], vcc, s[42:43]
	s_waitcnt vmcnt(0)
	v_and_b32_e32 v2, 16, v3
	v_and_b32_e32 v3, 16, v3
	v_cmp_ne_u32_e32 vcc, 0, v3
	s_and_b64 s[90:91], vcc, s[42:43]
	s_and_saveexec_b64 s[42:43], s[90:91]
	s_cbranch_execz .LBB6_13486
; %bb.13485:                            ;   in Loop: Header=BB6_13438 Depth=3
	v_mov_b32_e32 v2, 1
	buffer_wbinvl1_vol
.LBB6_13486:                            ;   in Loop: Header=BB6_13438 Depth=3
	s_or_b64 exec, exec, s[42:43]
	s_andn2_saveexec_b64 s[26:27], s[26:27]
	s_cbranch_execz .LBB6_13506
	s_branch .LBB6_13488
.LBB6_13487:                            ;   in Loop: Header=BB6_13438 Depth=3
	s_andn2_saveexec_b64 s[26:27], s[26:27]
	s_cbranch_execz .LBB6_13506
.LBB6_13488:                            ;   in Loop: Header=BB6_13438 Depth=3
	s_and_saveexec_b64 s[42:43], s[58:59]
	s_xor_b64 s[42:43], exec, s[42:43]
	s_cbranch_execz .LBB6_13503
; %bb.13489:                            ;   in Loop: Header=BB6_13438 Depth=3
	s_and_saveexec_b64 s[90:91], s[16:17]
	s_cbranch_execz .LBB6_13502
; %bb.13490:                            ;   in Loop: Header=BB6_13438 Depth=3
	s_mov_b64 s[94:95], exec
	v_mbcnt_lo_u32_b32 v2, s94, 0
	v_mbcnt_hi_u32_b32 v2, s95, v2
	v_cmp_eq_u32_e32 vcc, 0, v2
	;;#ASMSTART
	s_waitcnt lgkmcnt(0) vmcnt(0)
	;;#ASMEND
	s_and_saveexec_b64 s[92:93], vcc
	s_cbranch_execz .LBB6_13492
; %bb.13491:                            ;   in Loop: Header=BB6_13438 Depth=3
	s_bcnt1_i32_b64 s47, s[94:95]
	v_mov_b32_e32 v2, s47
	v_mov_b32_e32 v3, v34
	s_waitcnt lgkmcnt(0)
	ds_add_u64 v0, v[2:3]
	s_trap 2
.LBB6_13492:                            ;   in Loop: Header=BB6_13438 Depth=3
	s_or_b64 exec, exec, s[92:93]
	s_trap 2
	ds_read_b64 v[2:3], v0
	s_waitcnt lgkmcnt(0)
	buffer_load_dword v4, off, s[0:3], s33 offset:76 ; 4-byte Folded Reload
	buffer_load_dword v5, off, s[0:3], s33 offset:80 ; 4-byte Folded Reload
	s_waitcnt vmcnt(1)
	v_add_co_u32_e32 v4, vcc, v4, v39
	s_waitcnt vmcnt(0)
	v_addc_co_u32_e32 v5, vcc, 0, v5, vcc
	buffer_store_dword v4, off, s[0:3], s33 offset:76 ; 4-byte Folded Spill
	s_nop 0
	buffer_store_dword v5, off, s[0:3], s33 offset:80 ; 4-byte Folded Spill
	v_cmp_lt_u64_e32 vcc, v[2:3], v[4:5]
	s_and_saveexec_b64 s[92:93], vcc
	s_cbranch_execz .LBB6_13501
; %bb.13493:                            ;   in Loop: Header=BB6_13438 Depth=3
	s_mov_b32 s47, 0
	s_mov_b64 s[94:95], 0
                                        ; implicit-def: $sgpr30_sgpr31
                                        ; implicit-def: $sgpr34_sgpr35
	s_branch .LBB6_13495
.LBB6_13494:                            ;   in Loop: Header=BB6_13495 Depth=4
	s_or_b64 exec, exec, s[38:39]
	s_and_b64 vcc, exec, vcc
	s_or_b64 s[94:95], vcc, s[94:95]
	s_andn2_b64 vcc, s[30:31], exec
	s_and_b64 s[30:31], s[34:35], exec
	s_or_b64 s[30:31], vcc, s[30:31]
	s_andn2_b64 exec, exec, s[94:95]
	s_cbranch_execz .LBB6_13499
.LBB6_13495:                            ;   Parent Loop BB6_47 Depth=1
                                        ;     Parent Loop BB6_13255 Depth=2
                                        ;       Parent Loop BB6_13438 Depth=3
                                        ; =>      This Inner Loop Header: Depth=4
	s_add_i32 s47, s47, 1
	s_cmpk_lg_i32 s47, 0x2710
	s_cselect_b64 s[36:37], -1, 0
	s_and_b64 vcc, exec, s[36:37]
	s_cbranch_vccz .LBB6_13497
; %bb.13496:                            ;   in Loop: Header=BB6_13495 Depth=4
	s_mov_b64 vcc, -1
	s_or_b64 s[34:35], s[34:35], exec
	s_and_saveexec_b64 s[38:39], s[36:37]
	s_cbranch_execz .LBB6_13494
	s_branch .LBB6_13498
.LBB6_13497:                            ;   in Loop: Header=BB6_13495 Depth=4
	s_trap 2
	ds_read_b64 v[2:3], v0
	s_andn2_b64 s[36:37], s[36:37], exec
	s_mov_b32 s47, 0
	s_waitcnt vmcnt(0) lgkmcnt(0)
	flat_load_dword v2, v[2:3] glc
	s_waitcnt vmcnt(0) lgkmcnt(0)
	buffer_wbinvl1_vol
	v_cmp_eq_u32_e32 vcc, 0, v2
	s_and_b64 vcc, vcc, exec
	s_or_b64 s[36:37], s[36:37], vcc
	s_mov_b64 vcc, -1
	s_or_b64 s[34:35], s[34:35], exec
	s_and_saveexec_b64 s[38:39], s[36:37]
	s_cbranch_execz .LBB6_13494
.LBB6_13498:                            ;   in Loop: Header=BB6_13495 Depth=4
	s_sleep 1
	s_trap 2
	ds_read_b64 v[2:3], v0
	s_waitcnt lgkmcnt(0)
	buffer_load_dword v4, off, s[0:3], s33 offset:76 ; 4-byte Folded Reload
	buffer_load_dword v5, off, s[0:3], s33 offset:80 ; 4-byte Folded Reload
	s_andn2_b64 s[34:35], s[34:35], exec
	s_waitcnt vmcnt(0)
	v_cmp_ge_u64_e32 vcc, v[2:3], v[4:5]
	s_orn2_b64 vcc, vcc, exec
	s_branch .LBB6_13494
.LBB6_13499:                            ;   in Loop: Header=BB6_13438 Depth=3
	s_or_b64 exec, exec, s[94:95]
	s_and_saveexec_b64 s[94:95], s[30:31]
	s_xor_b64 s[94:95], exec, s[94:95]
	s_cbranch_execz .LBB6_13501
; %bb.13500:                            ;   in Loop: Header=BB6_13438 Depth=3
	v_mov_b32_e32 v2, 1
	ds_write_b32 v0, v2
	s_trap 2
.LBB6_13501:                            ;   in Loop: Header=BB6_13438 Depth=3
	s_or_b64 exec, exec, s[92:93]
	;;#ASMSTART
	s_wakeup
	;;#ASMEND
.LBB6_13502:                            ;   in Loop: Header=BB6_13438 Depth=3
	s_or_b64 exec, exec, s[90:91]
.LBB6_13503:                            ;   in Loop: Header=BB6_13438 Depth=3
	s_andn2_saveexec_b64 s[42:43], s[42:43]
	s_cbranch_execz .LBB6_13505
; %bb.13504:                            ;   in Loop: Header=BB6_13438 Depth=3
	;;#ASMSTART
	s_waitcnt lgkmcnt(0) vmcnt(0)
	;;#ASMEND
	s_waitcnt vmcnt(0) lgkmcnt(0)
	s_barrier
.LBB6_13505:                            ;   in Loop: Header=BB6_13438 Depth=3
	s_or_b64 exec, exec, s[42:43]
	buffer_load_dword v2, off, s[0:3], s33 offset:72 ; 4-byte Folded Reload
	s_waitcnt vmcnt(0)
	v_and_b32_e32 v2, 16, v2
.LBB6_13506:                            ;   in Loop: Header=BB6_13438 Depth=3
	s_or_b64 exec, exec, s[26:27]
	v_cmp_ne_u32_e32 vcc, 0, v2
	s_xor_b64 s[26:27], s[12:13], -1
	s_and_b64 s[42:43], vcc, s[26:27]
	s_and_saveexec_b64 s[26:27], s[42:43]
	s_cbranch_execz .LBB6_13508
; %bb.13507:                            ;   in Loop: Header=BB6_13438 Depth=3
	buffer_load_dword v2, off, s[0:3], s33 offset:308 ; 4-byte Folded Reload
	buffer_load_dword v3, off, s[0:3], s33 offset:312 ; 4-byte Folded Reload
	v_mov_b32_e32 v4, 1
	s_waitcnt vmcnt(0)
	flat_store_dword v[2:3], v4
.LBB6_13508:                            ;   in Loop: Header=BB6_13438 Depth=3
	s_or_b64 exec, exec, s[26:27]
	buffer_load_dword v2, off, s[0:3], s33 offset:72 ; 4-byte Folded Reload
	s_waitcnt vmcnt(0)
	v_and_b32_e32 v2, 48, v2
	v_cmp_ne_u32_e32 vcc, 0, v2
	s_and_saveexec_b64 s[26:27], vcc
	s_cbranch_execz .LBB6_13437
; %bb.13509:                            ;   in Loop: Header=BB6_13438 Depth=3
	buffer_load_dword v4, off, s[0:3], s33 offset:84 ; 4-byte Folded Reload
	buffer_load_dword v5, off, s[0:3], s33 offset:88 ; 4-byte Folded Reload
	;; [unrolled: 1-line block ×4, first 2 shown]
	s_waitcnt vmcnt(0)
	v_add_co_u32_e32 v4, vcc, 2, v4
	v_addc_co_u32_e32 v5, vcc, 0, v5, vcc
	buffer_store_dword v4, off, s[0:3], s33 offset:84 ; 4-byte Folded Spill
	s_nop 0
	buffer_store_dword v5, off, s[0:3], s33 offset:88 ; 4-byte Folded Spill
	flat_store_dwordx2 v[2:3], v[4:5]
	s_branch .LBB6_13437
.LBB6_13510:                            ;   in Loop: Header=BB6_13255 Depth=2
	s_or_b64 exec, exec, s[90:91]
	s_or_b64 exec, exec, s[42:43]
	v_cmp_gt_i32_e32 vcc, 2, v4
	s_and_saveexec_b64 s[28:29], vcc
	s_cbranch_execnz .LBB6_13436
.LBB6_13511:                            ;   in Loop: Header=BB6_13255 Depth=2
	s_or_b64 exec, exec, s[28:29]
	s_add_i32 s26, s64, 1
	s_cmp_eq_u32 s64, s97
	s_cbranch_scc0 .LBB6_13513
	s_branch .LBB6_13514
.LBB6_13512:                            ;   in Loop: Header=BB6_13255 Depth=2
	s_or_b64 exec, exec, s[40:41]
	s_or_b64 exec, exec, s[28:29]
	s_add_i32 s26, s64, 1
	s_cmp_eq_u32 s64, s97
	s_cbranch_scc1 .LBB6_13514
.LBB6_13513:                            ;   in Loop: Header=BB6_13255 Depth=2
	s_mov_b32 s64, s26
	s_branch .LBB6_13255
.LBB6_13514:                            ;   in Loop: Header=BB6_47 Depth=1
	buffer_load_dword v4, off, s[0:3], s33 offset:472 ; 4-byte Folded Reload
	buffer_load_dword v5, off, s[0:3], s33 offset:476 ; 4-byte Folded Reload
	v_readlane_b32 s26, v62, 9
	v_mov_b32_e32 v10, 0
	s_waitcnt vmcnt(0)
	v_mul_lo_u32 v3, v4, s26
	v_mul_lo_u32 v2, v5, s46
	v_mad_u64_u32 v[0:1], s[26:27], v4, s46, 0
	v_add3_u32 v1, v1, v3, v2
	buffer_load_dword v2, off, s[0:3], s33 offset:464 ; 4-byte Folded Reload
	buffer_load_dword v3, off, s[0:3], s33 offset:468 ; 4-byte Folded Reload
	s_waitcnt vmcnt(0)
	v_sub_co_u32_e32 v2, vcc, v2, v0
	v_subb_co_u32_e32 v3, vcc, v3, v1, vcc
	v_cmp_lt_i64_e32 vcc, v[4:5], v[2:3]
	v_cndmask_b32_e32 v3, v2, v4, vcc
	v_max_i32_e32 v8, 0, v3
	v_add_u32_e32 v4, 31, v8
	v_lshrrev_b32_e32 v4, 1, v4
	v_and_b32_e32 v4, 0x3ffffff0, v4
	v_cmp_lt_i32_e32 vcc, 0, v3
	v_mov_b32_e32 v2, 0
	v_max_i32_e32 v9, s96, v4
	s_and_b64 s[26:27], s[74:75], vcc
	s_and_saveexec_b64 s[28:29], s[26:27]
	s_cbranch_execz .LBB6_13654
; %bb.13515:                            ;   in Loop: Header=BB6_47 Depth=1
	buffer_load_dword v2, off, s[0:3], s33 offset:368 ; 4-byte Folded Reload
	s_mov_b32 s64, 1
	s_mov_b64 s[42:43], -1
	v_mov_b32_e32 v10, 0
	s_mov_b64 s[40:41], 0
	s_waitcnt vmcnt(0)
	v_add_co_u32_e32 v11, vcc, v0, v2
	buffer_load_dword v0, off, s[0:3], s33 offset:372 ; 4-byte Folded Reload
	s_waitcnt vmcnt(0)
	v_addc_co_u32_e32 v12, vcc, v1, v0, vcc
	s_branch .LBB6_13517
.LBB6_13516:                            ;   in Loop: Header=BB6_13517 Depth=2
	s_or_b64 exec, exec, s[26:27]
	v_add_u32_e32 v10, v9, v10
	v_cmp_ge_i32_e32 vcc, v10, v8
	s_xor_b64 s[26:27], s[42:43], -1
	s_or_b64 s[26:27], s[26:27], vcc
	s_and_b64 s[26:27], exec, s[26:27]
	s_or_b64 s[40:41], s[26:27], s[40:41]
	s_mov_b64 s[42:43], 0
	v_mov_b32_e32 v2, s64
	s_mov_b32 s64, 2
	s_andn2_b64 exec, exec, s[40:41]
	s_cbranch_execz .LBB6_13653
.LBB6_13517:                            ;   Parent Loop BB6_47 Depth=1
                                        ; =>  This Loop Header: Depth=2
                                        ;       Child Loop BB6_13525 Depth 3
                                        ;       Child Loop BB6_13549 Depth 3
	;; [unrolled: 1-line block ×9, first 2 shown]
	s_and_saveexec_b64 s[26:27], s[4:5]
	s_cbranch_execz .LBB6_13519
; %bb.13518:                            ;   in Loop: Header=BB6_13517 Depth=2
	s_trap 2
	ds_read_b128 v[0:3], v0
	v_ashrrev_i32_e32 v4, 31, v10
	s_waitcnt lgkmcnt(0)
	v_add_co_u32_e32 v0, vcc, v0, v11
	v_addc_co_u32_e32 v1, vcc, v1, v12, vcc
	v_add_co_u32_e32 v0, vcc, v0, v10
	v_addc_co_u32_e32 v1, vcc, v1, v4, vcc
	ds_write_b64 v0, v[0:1]
	v_add_co_u32_e32 v0, vcc, v2, v11
	v_addc_co_u32_e32 v1, vcc, v3, v12, vcc
	v_add_co_u32_e32 v0, vcc, v0, v10
	v_addc_co_u32_e32 v1, vcc, v1, v4, vcc
	v_cmp_ne_u64_e32 vcc, 0, v[2:3]
	v_cndmask_b32_e32 v1, 0, v1, vcc
	v_cndmask_b32_e32 v0, 0, v0, vcc
	ds_write_b64 v0, v[0:1]
.LBB6_13519:                            ;   in Loop: Header=BB6_13517 Depth=2
	s_or_b64 exec, exec, s[26:27]
	buffer_load_dword v0, off, s[0:3], s33 offset:72 ; 4-byte Folded Reload
	s_waitcnt vmcnt(0)
	v_and_b32_e32 v0, 4, v0
	v_cmp_ne_u32_e32 vcc, 0, v0
	s_and_saveexec_b64 s[90:91], vcc
	s_cbranch_execz .LBB6_13541
; %bb.13520:                            ;   in Loop: Header=BB6_13517 Depth=2
	buffer_load_dword v0, off, s[0:3], s33 offset:84 ; 4-byte Folded Reload
	buffer_load_dword v1, off, s[0:3], s33 offset:88 ; 4-byte Folded Reload
	;; [unrolled: 1-line block ×4, first 2 shown]
	s_waitcnt vmcnt(0)
	v_add_co_u32_e32 v0, vcc, 2, v0
	v_addc_co_u32_e32 v1, vcc, 0, v1, vcc
	v_cmp_lt_u64_e32 vcc, v[2:3], v[0:1]
	s_and_saveexec_b64 s[92:93], vcc
	s_cbranch_execz .LBB6_13532
; %bb.13521:                            ;   in Loop: Header=BB6_13517 Depth=2
	buffer_load_dword v2, off, s[0:3], s33 offset:72 ; 4-byte Folded Reload
	s_mov_b32 s47, 0
	s_mov_b64 s[94:95], 0
                                        ; implicit-def: $sgpr30_sgpr31
                                        ; implicit-def: $sgpr34_sgpr35
                                        ; implicit-def: $sgpr36_sgpr37
	s_waitcnt vmcnt(0)
	v_and_b32_e32 v2, 64, v2
	v_cmp_eq_u32_e32 vcc, 0, v2
	s_branch .LBB6_13525
.LBB6_13522:                            ;   in Loop: Header=BB6_13525 Depth=3
	buffer_load_dword v3, off, s[0:3], s33 offset:56 ; 4-byte Folded Reload
	buffer_load_dword v4, off, s[0:3], s33 offset:60 ; 4-byte Folded Reload
	s_or_b64 s[50:51], s[50:51], exec
	s_waitcnt vmcnt(0)
	v_cmp_ge_u64_e64 s[26:27], v[3:4], v[0:1]
	s_orn2_b64 s[48:49], s[26:27], exec
.LBB6_13523:                            ;   in Loop: Header=BB6_13525 Depth=3
	s_or_b64 exec, exec, s[54:55]
	s_andn2_b64 s[26:27], s[36:37], exec
	s_and_b64 s[36:37], s[50:51], exec
	s_or_b64 s[36:37], s[26:27], s[36:37]
	s_andn2_b64 s[26:27], s[34:35], exec
	s_and_b64 s[34:35], s[48:49], exec
	s_or_b64 s[34:35], s[26:27], s[34:35]
.LBB6_13524:                            ;   in Loop: Header=BB6_13525 Depth=3
	s_or_b64 exec, exec, s[38:39]
	s_and_b64 s[26:27], exec, s[34:35]
	s_or_b64 s[94:95], s[26:27], s[94:95]
	s_andn2_b64 s[26:27], s[30:31], exec
	s_and_b64 s[30:31], s[36:37], exec
	s_or_b64 s[30:31], s[26:27], s[30:31]
	s_andn2_b64 exec, exec, s[94:95]
	s_cbranch_execz .LBB6_13529
.LBB6_13525:                            ;   Parent Loop BB6_47 Depth=1
                                        ;     Parent Loop BB6_13517 Depth=2
                                        ; =>    This Inner Loop Header: Depth=3
	s_sleep 1
	buffer_load_dword v2, off, s[0:3], s33 offset:64 ; 4-byte Folded Reload
	buffer_load_dword v3, off, s[0:3], s33 offset:68 ; 4-byte Folded Reload
	s_or_b64 s[36:37], s[36:37], exec
	s_or_b64 s[34:35], s[34:35], exec
	s_waitcnt vmcnt(0)
	flat_load_dwordx2 v[2:3], v[2:3] glc
	s_waitcnt vmcnt(0) lgkmcnt(0)
	buffer_store_dword v2, off, s[0:3], s33 offset:56 ; 4-byte Folded Spill
	s_nop 0
	buffer_store_dword v3, off, s[0:3], s33 offset:60 ; 4-byte Folded Spill
                                        ; implicit-def: $vgpr2
	s_and_saveexec_b64 s[38:39], vcc
	s_cbranch_execz .LBB6_13524
; %bb.13526:                            ;   in Loop: Header=BB6_13525 Depth=3
	s_cmpk_lt_i32 s47, 0x270f
	s_cselect_b64 s[52:53], -1, 0
	s_cmpk_gt_i32 s47, 0x270e
	s_mov_b64 s[48:49], -1
	s_cbranch_scc0 .LBB6_13528
; %bb.13527:                            ;   in Loop: Header=BB6_13525 Depth=3
	s_trap 2
	ds_read_b64 v[2:3], v0
	s_andn2_b64 s[52:53], s[52:53], exec
	s_mov_b32 s47, 0
	s_mov_b64 s[50:51], 0
	s_waitcnt vmcnt(0) lgkmcnt(0)
	flat_load_dword v2, v[2:3] glc
	s_waitcnt vmcnt(0) lgkmcnt(0)
	buffer_wbinvl1_vol
	v_cmp_eq_u32_e64 s[26:27], 0, v2
	s_and_b64 s[26:27], s[26:27], exec
	s_or_b64 s[52:53], s[52:53], s[26:27]
	s_and_saveexec_b64 s[54:55], s[52:53]
	s_cbranch_execz .LBB6_13523
	s_branch .LBB6_13522
.LBB6_13528:                            ;   in Loop: Header=BB6_13525 Depth=3
	s_add_i32 s47, s47, 1
	s_mov_b64 s[50:51], -1
                                        ; implicit-def: $vgpr2
	s_and_saveexec_b64 s[54:55], s[52:53]
	s_cbranch_execz .LBB6_13523
	s_branch .LBB6_13522
.LBB6_13529:                            ;   in Loop: Header=BB6_13517 Depth=2
	s_or_b64 exec, exec, s[94:95]
	s_xor_b64 s[26:27], s[30:31], -1
	s_and_saveexec_b64 s[94:95], s[26:27]
	s_xor_b64 s[26:27], exec, s[94:95]
	s_cbranch_execz .LBB6_13531
; %bb.13530:                            ;   in Loop: Header=BB6_13517 Depth=2
	ds_write_b32 v0, v2
	s_trap 2
	buffer_load_dword v2, off, s[0:3], s33 offset:72 ; 4-byte Folded Reload
	s_waitcnt vmcnt(0)
	v_or_b32_e32 v2, 64, v2
	buffer_store_dword v2, off, s[0:3], s33 offset:72 ; 4-byte Folded Spill
.LBB6_13531:                            ;   in Loop: Header=BB6_13517 Depth=2
	s_or_b64 exec, exec, s[26:27]
.LBB6_13532:                            ;   in Loop: Header=BB6_13517 Depth=2
	s_or_b64 exec, exec, s[92:93]
	;;#ASMSTART
	s_wakeup
	;;#ASMEND
	buffer_load_dword v2, off, s[0:3], s33 offset:72 ; 4-byte Folded Reload
	s_mov_b64 s[26:27], -1
	s_waitcnt vmcnt(0)
	v_and_b32_e32 v2, 0x100, v2
	v_cmp_ne_u32_e32 vcc, 0, v2
	buffer_load_dword v2, off, s[0:3], s33 offset:84 ; 4-byte Folded Reload
	buffer_load_dword v3, off, s[0:3], s33 offset:88 ; 4-byte Folded Reload
	s_waitcnt vmcnt(0)
	v_and_b32_e32 v6, 7, v2
                                        ; implicit-def: $vgpr2_vgpr3
	s_and_saveexec_b64 s[92:93], vcc
	s_cbranch_execz .LBB6_13536
; %bb.13533:                            ;   in Loop: Header=BB6_13517 Depth=2
	buffer_load_dword v2, off, s[0:3], s33 offset:292 ; 4-byte Folded Reload
	buffer_load_dword v3, off, s[0:3], s33 offset:296 ; 4-byte Folded Reload
	;; [unrolled: 1-line block ×4, first 2 shown]
	s_waitcnt vmcnt(0)
	v_mad_u64_u32 v[4:5], s[26:27], v6, 24, v[2:3]
	flat_load_dword v2, v[4:5]
	s_waitcnt vmcnt(0) lgkmcnt(0)
	v_cmp_ne_u32_e32 vcc, 1, v2
	v_cmp_eq_u32_e64 s[26:27], 1, v2
                                        ; implicit-def: $vgpr2_vgpr3
	s_and_saveexec_b64 s[94:95], s[26:27]
	s_cbranch_execz .LBB6_13535
; %bb.13534:                            ;   in Loop: Header=BB6_13517 Depth=2
	flat_load_dword v2, v[4:5] offset:4 glc
	s_waitcnt vmcnt(0) lgkmcnt(0)
	v_ashrrev_i32_e32 v3, 31, v2
.LBB6_13535:                            ;   in Loop: Header=BB6_13517 Depth=2
	s_or_b64 exec, exec, s[94:95]
	s_orn2_b64 s[26:27], vcc, exec
.LBB6_13536:                            ;   in Loop: Header=BB6_13517 Depth=2
	s_or_b64 exec, exec, s[92:93]
	s_and_saveexec_b64 s[92:93], s[26:27]
	s_cbranch_execz .LBB6_13538
; %bb.13537:                            ;   in Loop: Header=BB6_13517 Depth=2
	buffer_load_dword v2, off, s[0:3], s33 offset:324 ; 4-byte Folded Reload
	s_waitcnt vmcnt(0)
	v_mad_i64_i32 v[2:3], s[26:27], v6, v2, 0
.LBB6_13538:                            ;   in Loop: Header=BB6_13517 Depth=2
	s_or_b64 exec, exec, s[92:93]
	buffer_load_dword v4, off, s[0:3], s33 offset:284 ; 4-byte Folded Reload
	buffer_load_dword v5, off, s[0:3], s33 offset:288 ; 4-byte Folded Reload
	s_waitcnt vmcnt(0)
	v_add_co_u32_e32 v2, vcc, v4, v2
	v_addc_co_u32_e32 v3, vcc, v5, v3, vcc
	ds_write_b64 v0, v[2:3] offset:720
	buffer_load_dword v2, off, s[0:3], s33 offset:72 ; 4-byte Folded Reload
	s_waitcnt vmcnt(0)
	v_and_b32_e32 v2, 0x2000, v2
	v_cmp_ne_u32_e32 vcc, 0, v2
	s_and_saveexec_b64 s[26:27], vcc
	s_cbranch_execz .LBB6_13540
; %bb.13539:                            ;   in Loop: Header=BB6_13517 Depth=2
	ds_read_b64 v[2:3], v0 offset:872
	s_waitcnt lgkmcnt(0)
	v_add_co_u32_e32 v2, vcc, 1, v2
	v_addc_co_u32_e32 v3, vcc, 0, v3, vcc
	ds_write_b64 v0, v[2:3] offset:872
.LBB6_13540:                            ;   in Loop: Header=BB6_13517 Depth=2
	s_or_b64 exec, exec, s[26:27]
	buffer_store_dword v0, off, s[0:3], s33 offset:84 ; 4-byte Folded Spill
	s_nop 0
	buffer_store_dword v1, off, s[0:3], s33 offset:88 ; 4-byte Folded Spill
.LBB6_13541:                            ;   in Loop: Header=BB6_13517 Depth=2
	s_or_b64 exec, exec, s[90:91]
	s_and_saveexec_b64 s[26:27], s[10:11]
	s_cbranch_execz .LBB6_13560
; %bb.13542:                            ;   in Loop: Header=BB6_13517 Depth=2
	s_and_saveexec_b64 s[90:91], s[58:59]
	s_xor_b64 s[90:91], exec, s[90:91]
	s_cbranch_execz .LBB6_13557
; %bb.13543:                            ;   in Loop: Header=BB6_13517 Depth=2
	s_and_saveexec_b64 s[92:93], s[16:17]
	s_cbranch_execz .LBB6_13556
; %bb.13544:                            ;   in Loop: Header=BB6_13517 Depth=2
	s_mov_b64 s[30:31], exec
	v_mbcnt_lo_u32_b32 v0, s30, 0
	v_mbcnt_hi_u32_b32 v0, s31, v0
	v_cmp_eq_u32_e32 vcc, 0, v0
	s_waitcnt vmcnt(0) lgkmcnt(0)
	buffer_wbinvl1_vol
	s_and_saveexec_b64 s[94:95], vcc
	s_cbranch_execz .LBB6_13546
; %bb.13545:                            ;   in Loop: Header=BB6_13517 Depth=2
	s_bcnt1_i32_b64 s47, s[30:31]
	v_mov_b32_e32 v0, s47
	v_mov_b32_e32 v1, v34
	ds_add_u64 v0, v[0:1]
	s_trap 2
.LBB6_13546:                            ;   in Loop: Header=BB6_13517 Depth=2
	s_or_b64 exec, exec, s[94:95]
	s_trap 2
	ds_read_b64 v[0:1], v0
	s_waitcnt lgkmcnt(0)
	buffer_load_dword v2, off, s[0:3], s33 offset:76 ; 4-byte Folded Reload
	buffer_load_dword v3, off, s[0:3], s33 offset:80 ; 4-byte Folded Reload
	s_waitcnt vmcnt(1)
	v_add_co_u32_e32 v2, vcc, v2, v39
	s_waitcnt vmcnt(0)
	v_addc_co_u32_e32 v3, vcc, 0, v3, vcc
	buffer_store_dword v2, off, s[0:3], s33 offset:76 ; 4-byte Folded Spill
	s_nop 0
	buffer_store_dword v3, off, s[0:3], s33 offset:80 ; 4-byte Folded Spill
	v_cmp_lt_u64_e32 vcc, v[0:1], v[2:3]
	s_and_saveexec_b64 s[94:95], vcc
	s_cbranch_execz .LBB6_13555
; %bb.13547:                            ;   in Loop: Header=BB6_13517 Depth=2
	s_mov_b32 s47, 0
	s_mov_b64 s[30:31], 0
                                        ; implicit-def: $sgpr34_sgpr35
                                        ; implicit-def: $sgpr36_sgpr37
	s_branch .LBB6_13549
.LBB6_13548:                            ;   in Loop: Header=BB6_13549 Depth=3
	s_or_b64 exec, exec, s[48:49]
	s_and_b64 vcc, exec, vcc
	s_or_b64 s[30:31], vcc, s[30:31]
	s_andn2_b64 vcc, s[34:35], exec
	s_and_b64 s[34:35], s[36:37], exec
	s_or_b64 s[34:35], vcc, s[34:35]
	s_andn2_b64 exec, exec, s[30:31]
	s_cbranch_execz .LBB6_13553
.LBB6_13549:                            ;   Parent Loop BB6_47 Depth=1
                                        ;     Parent Loop BB6_13517 Depth=2
                                        ; =>    This Inner Loop Header: Depth=3
	s_add_i32 s47, s47, 1
	s_cmpk_lg_i32 s47, 0x2710
	s_cselect_b64 s[38:39], -1, 0
	s_and_b64 vcc, exec, s[38:39]
	s_cbranch_vccz .LBB6_13551
; %bb.13550:                            ;   in Loop: Header=BB6_13549 Depth=3
	s_mov_b64 vcc, -1
	s_or_b64 s[36:37], s[36:37], exec
	s_and_saveexec_b64 s[48:49], s[38:39]
	s_cbranch_execz .LBB6_13548
	s_branch .LBB6_13552
.LBB6_13551:                            ;   in Loop: Header=BB6_13549 Depth=3
	s_trap 2
	ds_read_b64 v[0:1], v0
	s_andn2_b64 s[38:39], s[38:39], exec
	s_mov_b32 s47, 0
	s_waitcnt vmcnt(0) lgkmcnt(0)
	flat_load_dword v0, v[0:1] glc
	s_waitcnt vmcnt(0) lgkmcnt(0)
	buffer_wbinvl1_vol
	v_cmp_eq_u32_e32 vcc, 0, v0
	s_and_b64 vcc, vcc, exec
	s_or_b64 s[38:39], s[38:39], vcc
	s_mov_b64 vcc, -1
	s_or_b64 s[36:37], s[36:37], exec
	s_and_saveexec_b64 s[48:49], s[38:39]
	s_cbranch_execz .LBB6_13548
.LBB6_13552:                            ;   in Loop: Header=BB6_13549 Depth=3
	s_sleep 1
	s_trap 2
	ds_read_b64 v[0:1], v0
	s_waitcnt lgkmcnt(0)
	buffer_load_dword v2, off, s[0:3], s33 offset:76 ; 4-byte Folded Reload
	buffer_load_dword v3, off, s[0:3], s33 offset:80 ; 4-byte Folded Reload
	s_andn2_b64 s[36:37], s[36:37], exec
	s_waitcnt vmcnt(0)
	v_cmp_ge_u64_e32 vcc, v[0:1], v[2:3]
	s_orn2_b64 vcc, vcc, exec
	s_branch .LBB6_13548
.LBB6_13553:                            ;   in Loop: Header=BB6_13517 Depth=2
	s_or_b64 exec, exec, s[30:31]
	s_and_saveexec_b64 vcc, s[34:35]
	s_xor_b64 vcc, exec, vcc
	s_cbranch_execz .LBB6_13555
; %bb.13554:                            ;   in Loop: Header=BB6_13517 Depth=2
	v_mov_b32_e32 v0, 1
	ds_write_b32 v0, v0
	s_trap 2
.LBB6_13555:                            ;   in Loop: Header=BB6_13517 Depth=2
	s_or_b64 exec, exec, s[94:95]
	;;#ASMSTART
	s_wakeup
	;;#ASMEND
.LBB6_13556:                            ;   in Loop: Header=BB6_13517 Depth=2
	s_or_b64 exec, exec, s[92:93]
.LBB6_13557:                            ;   in Loop: Header=BB6_13517 Depth=2
	s_andn2_saveexec_b64 s[90:91], s[90:91]
	s_cbranch_execz .LBB6_13559
; %bb.13558:                            ;   in Loop: Header=BB6_13517 Depth=2
	s_waitcnt vmcnt(0) lgkmcnt(0)
	buffer_wbinvl1_vol
	s_barrier
.LBB6_13559:                            ;   in Loop: Header=BB6_13517 Depth=2
	s_or_b64 exec, exec, s[90:91]
.LBB6_13560:                            ;   in Loop: Header=BB6_13517 Depth=2
	s_or_b64 exec, exec, s[26:27]
	s_trap 2
	ds_read_b32 v4, v0
	buffer_load_dword v0, off, s[0:3], s33 offset:72 ; 4-byte Folded Reload
	s_xor_b64 s[26:27], s[6:7], -1
	s_waitcnt vmcnt(0)
	v_and_b32_e32 v0, 0x4000, v0
	v_cmp_ne_u32_e32 vcc, 0, v0
	s_and_b64 s[90:91], s[26:27], vcc
	s_and_saveexec_b64 s[26:27], s[90:91]
	s_cbranch_execz .LBB6_13579
; %bb.13561:                            ;   in Loop: Header=BB6_13517 Depth=2
	s_and_saveexec_b64 s[90:91], s[58:59]
	s_xor_b64 s[90:91], exec, s[90:91]
	s_cbranch_execz .LBB6_13576
; %bb.13562:                            ;   in Loop: Header=BB6_13517 Depth=2
	s_and_saveexec_b64 s[92:93], s[16:17]
	s_cbranch_execz .LBB6_13575
; %bb.13563:                            ;   in Loop: Header=BB6_13517 Depth=2
	s_mov_b64 s[30:31], exec
	v_mbcnt_lo_u32_b32 v0, s30, 0
	v_mbcnt_hi_u32_b32 v0, s31, v0
	v_cmp_eq_u32_e32 vcc, 0, v0
	s_waitcnt lgkmcnt(0)
	buffer_wbinvl1_vol
	s_and_saveexec_b64 s[94:95], vcc
	s_cbranch_execz .LBB6_13565
; %bb.13564:                            ;   in Loop: Header=BB6_13517 Depth=2
	s_bcnt1_i32_b64 s47, s[30:31]
	v_mov_b32_e32 v0, s47
	v_mov_b32_e32 v1, v34
	ds_add_u64 v0, v[0:1]
	s_trap 2
.LBB6_13565:                            ;   in Loop: Header=BB6_13517 Depth=2
	s_or_b64 exec, exec, s[94:95]
	s_trap 2
	ds_read_b64 v[0:1], v0
	s_waitcnt lgkmcnt(0)
	buffer_load_dword v2, off, s[0:3], s33 offset:76 ; 4-byte Folded Reload
	buffer_load_dword v3, off, s[0:3], s33 offset:80 ; 4-byte Folded Reload
	s_waitcnt vmcnt(1)
	v_add_co_u32_e32 v2, vcc, v2, v39
	s_waitcnt vmcnt(0)
	v_addc_co_u32_e32 v3, vcc, 0, v3, vcc
	buffer_store_dword v2, off, s[0:3], s33 offset:76 ; 4-byte Folded Spill
	s_nop 0
	buffer_store_dword v3, off, s[0:3], s33 offset:80 ; 4-byte Folded Spill
	v_cmp_lt_u64_e32 vcc, v[0:1], v[2:3]
	s_and_saveexec_b64 s[94:95], vcc
	s_cbranch_execz .LBB6_13574
; %bb.13566:                            ;   in Loop: Header=BB6_13517 Depth=2
	s_mov_b32 s47, 0
	s_mov_b64 s[30:31], 0
                                        ; implicit-def: $sgpr34_sgpr35
                                        ; implicit-def: $sgpr36_sgpr37
	s_branch .LBB6_13568
.LBB6_13567:                            ;   in Loop: Header=BB6_13568 Depth=3
	s_or_b64 exec, exec, s[48:49]
	s_and_b64 vcc, exec, vcc
	s_or_b64 s[30:31], vcc, s[30:31]
	s_andn2_b64 vcc, s[34:35], exec
	s_and_b64 s[34:35], s[36:37], exec
	s_or_b64 s[34:35], vcc, s[34:35]
	s_andn2_b64 exec, exec, s[30:31]
	s_cbranch_execz .LBB6_13572
.LBB6_13568:                            ;   Parent Loop BB6_47 Depth=1
                                        ;     Parent Loop BB6_13517 Depth=2
                                        ; =>    This Inner Loop Header: Depth=3
	s_add_i32 s47, s47, 1
	s_cmpk_lg_i32 s47, 0x2710
	s_cselect_b64 s[38:39], -1, 0
	s_and_b64 vcc, exec, s[38:39]
	s_cbranch_vccz .LBB6_13570
; %bb.13569:                            ;   in Loop: Header=BB6_13568 Depth=3
	s_mov_b64 vcc, -1
	s_or_b64 s[36:37], s[36:37], exec
	s_and_saveexec_b64 s[48:49], s[38:39]
	s_cbranch_execz .LBB6_13567
	s_branch .LBB6_13571
.LBB6_13570:                            ;   in Loop: Header=BB6_13568 Depth=3
	s_trap 2
	ds_read_b64 v[0:1], v0
	s_andn2_b64 s[38:39], s[38:39], exec
	s_mov_b32 s47, 0
	s_waitcnt vmcnt(0) lgkmcnt(0)
	flat_load_dword v0, v[0:1] glc
	s_waitcnt vmcnt(0) lgkmcnt(0)
	buffer_wbinvl1_vol
	v_cmp_eq_u32_e32 vcc, 0, v0
	s_and_b64 vcc, vcc, exec
	s_or_b64 s[38:39], s[38:39], vcc
	s_mov_b64 vcc, -1
	s_or_b64 s[36:37], s[36:37], exec
	s_and_saveexec_b64 s[48:49], s[38:39]
	s_cbranch_execz .LBB6_13567
.LBB6_13571:                            ;   in Loop: Header=BB6_13568 Depth=3
	s_sleep 1
	s_trap 2
	ds_read_b64 v[0:1], v0
	s_waitcnt lgkmcnt(0)
	buffer_load_dword v2, off, s[0:3], s33 offset:76 ; 4-byte Folded Reload
	buffer_load_dword v3, off, s[0:3], s33 offset:80 ; 4-byte Folded Reload
	s_andn2_b64 s[36:37], s[36:37], exec
	s_waitcnt vmcnt(0)
	v_cmp_ge_u64_e32 vcc, v[0:1], v[2:3]
	s_orn2_b64 vcc, vcc, exec
	s_branch .LBB6_13567
.LBB6_13572:                            ;   in Loop: Header=BB6_13517 Depth=2
	s_or_b64 exec, exec, s[30:31]
	s_and_saveexec_b64 vcc, s[34:35]
	s_xor_b64 vcc, exec, vcc
	s_cbranch_execz .LBB6_13574
; %bb.13573:                            ;   in Loop: Header=BB6_13517 Depth=2
	v_mov_b32_e32 v0, 1
	ds_write_b32 v0, v0
	s_trap 2
.LBB6_13574:                            ;   in Loop: Header=BB6_13517 Depth=2
	s_or_b64 exec, exec, s[94:95]
	;;#ASMSTART
	s_wakeup
	;;#ASMEND
.LBB6_13575:                            ;   in Loop: Header=BB6_13517 Depth=2
	s_or_b64 exec, exec, s[92:93]
.LBB6_13576:                            ;   in Loop: Header=BB6_13517 Depth=2
	s_andn2_saveexec_b64 s[90:91], s[90:91]
	s_cbranch_execz .LBB6_13578
; %bb.13577:                            ;   in Loop: Header=BB6_13517 Depth=2
	s_waitcnt vmcnt(0) lgkmcnt(0)
	buffer_wbinvl1_vol
	s_barrier
.LBB6_13578:                            ;   in Loop: Header=BB6_13517 Depth=2
	s_or_b64 exec, exec, s[90:91]
.LBB6_13579:                            ;   in Loop: Header=BB6_13517 Depth=2
	s_or_b64 exec, exec, s[26:27]
	v_sub_u32_e32 v0, v8, v10
	v_min_i32_e32 v9, v9, v0
	s_trap 2
	ds_read_b64 v[0:1], v0
	s_waitcnt lgkmcnt(0)
	v_cmp_eq_u64_e32 vcc, 0, v[0:1]
	s_cbranch_vccnz .LBB6_13587
; %bb.13580:                            ;   in Loop: Header=BB6_13517 Depth=2
	s_trap 2
	ds_read_b64 v[2:3], v0
	s_waitcnt lgkmcnt(0)
	v_cmp_eq_u64_e32 vcc, 0, v[2:3]
	s_cbranch_vccnz .LBB6_13587
; %bb.13581:                            ;   in Loop: Header=BB6_13517 Depth=2
	s_mov_b64 s[26:27], -1
	s_and_saveexec_b64 s[90:91], s[20:21]
	s_cbranch_execz .LBB6_13583
; %bb.13582:                            ;   in Loop: Header=BB6_13517 Depth=2
	ds_read_b32 v5, v0 offset:720
	s_waitcnt lgkmcnt(0)
	v_and_b32_e32 v5, 15, v5
	v_cmp_eq_u32_e32 vcc, 0, v5
	s_orn2_b64 s[26:27], vcc, exec
.LBB6_13583:                            ;   in Loop: Header=BB6_13517 Depth=2
	s_or_b64 exec, exec, s[90:91]
	s_and_saveexec_b64 s[90:91], s[18:19]
	s_cbranch_execz .LBB6_13585
; %bb.13584:                            ;   in Loop: Header=BB6_13517 Depth=2
	ds_read_b32 v5, v0 offset:784
	s_waitcnt lgkmcnt(0)
	v_and_b32_e32 v5, 15, v5
	v_cmp_eq_u32_e32 vcc, 0, v5
	s_and_b64 s[92:93], s[26:27], vcc
	s_andn2_b64 s[26:27], s[26:27], exec
	s_and_b64 s[92:93], s[92:93], exec
	s_or_b64 s[26:27], s[26:27], s[92:93]
.LBB6_13585:                            ;   in Loop: Header=BB6_13517 Depth=2
	s_or_b64 exec, exec, s[90:91]
	buffer_load_dword v6, off, s[0:3], s33 offset:348 ; 4-byte Folded Reload
	buffer_load_dword v16, off, s[0:3], s33 offset:320 ; 4-byte Folded Reload
	v_cmp_eq_u32_e32 vcc, 0, v4
	s_xor_b64 s[26:27], s[26:27], -1
	v_cndmask_b32_e32 v13, 0, v9, vcc
	v_cndmask_b32_e64 v4, 0, 1, s[26:27]
	s_mov_b64 s[92:93], -1
	v_cmp_ne_u32_e32 vcc, 0, v4
	v_mov_b32_e32 v4, 0
	v_mov_b32_e32 v5, v13
	s_cbranch_vccz .LBB6_13592
; %bb.13586:                            ;   in Loop: Header=BB6_13517 Depth=2
	s_and_saveexec_b64 s[26:27], s[92:93]
	s_cbranch_execnz .LBB6_13605
	s_branch .LBB6_13613
.LBB6_13587:                            ;   in Loop: Header=BB6_13517 Depth=2
	s_mov_b64 s[26:27], 0
	s_and_saveexec_b64 s[90:91], s[10:11]
	s_cbranch_execnz .LBB6_13614
.LBB6_13588:                            ;   in Loop: Header=BB6_13517 Depth=2
	s_or_b64 exec, exec, s[90:91]
	s_and_saveexec_b64 s[90:91], s[24:25]
	s_xor_b64 s[90:91], exec, s[90:91]
	s_cbranch_execz .LBB6_13632
.LBB6_13589:                            ;   in Loop: Header=BB6_13517 Depth=2
	buffer_load_dword v0, off, s[0:3], s33 offset:72 ; 4-byte Folded Reload
	s_waitcnt vmcnt(0)
	v_and_b32_e32 v0, 16, v0
	v_cmp_ne_u32_e32 vcc, 0, v0
	s_and_b64 s[92:93], vcc, s[26:27]
	s_and_saveexec_b64 s[26:27], s[92:93]
	s_cbranch_execz .LBB6_13591
; %bb.13590:                            ;   in Loop: Header=BB6_13517 Depth=2
	s_waitcnt lgkmcnt(0)
	buffer_wbinvl1_vol
.LBB6_13591:                            ;   in Loop: Header=BB6_13517 Depth=2
	s_or_b64 exec, exec, s[26:27]
	s_andn2_saveexec_b64 s[26:27], s[90:91]
	s_cbranch_execz .LBB6_13651
	s_branch .LBB6_13633
.LBB6_13592:                            ;   in Loop: Header=BB6_13517 Depth=2
	v_ashrrev_i32_e32 v4, 31, v13
	v_lshrrev_b32_e32 v4, 19, v4
	v_add_u32_e32 v4, v13, v4
	v_ashrrev_i32_e32 v15, 13, v4
	buffer_load_dword v4, off, s[0:3], s33 offset:320 ; 4-byte Folded Reload
	s_waitcnt vmcnt(0)
	v_sub_u32_e32 v14, v15, v4
	v_cmp_lt_i32_e32 vcc, 0, v14
	s_and_saveexec_b64 s[90:91], vcc
	s_cbranch_execz .LBB6_13596
; %bb.13593:                            ;   in Loop: Header=BB6_13517 Depth=2
	buffer_load_dword v46, off, s[0:3], s33 offset:480 ; 4-byte Folded Reload
	buffer_load_dword v47, off, s[0:3], s33 offset:484 ; 4-byte Folded Reload
	;; [unrolled: 1-line block ×3, first 2 shown]
	v_mov_b32_e32 v5, v3
	v_mov_b32_e32 v7, v1
	s_mov_b64 s[92:93], 0
	v_mov_b32_e32 v4, v2
	v_mov_b32_e32 v6, v0
	;; [unrolled: 1-line block ×3, first 2 shown]
.LBB6_13594:                            ;   Parent Loop BB6_47 Depth=1
                                        ;     Parent Loop BB6_13517 Depth=2
                                        ; =>    This Inner Loop Header: Depth=3
	s_waitcnt vmcnt(1)
	v_add_co_u32_e32 v32, vcc, v47, v6
	s_waitcnt vmcnt(0)
	v_addc_co_u32_e32 v33, vcc, v56, v7, vcc
	global_load_dwordx4 v[16:19], v[32:33], off glc slc
	global_load_dwordx4 v[20:23], v[32:33], off offset:1024 glc slc
	global_load_dwordx4 v[24:27], v[32:33], off offset:2048 glc slc
	;; [unrolled: 1-line block ×3, first 2 shown]
	v_add_co_u32_e32 v32, vcc, s70, v32
	v_addc_co_u32_e32 v33, vcc, 0, v33, vcc
	global_load_dwordx4 v[35:38], v[32:33], off glc slc
	global_load_dwordx4 v[48:51], v[32:33], off offset:1024 glc slc
	global_load_dwordx4 v[52:55], v[32:33], off offset:2048 glc slc
	;; [unrolled: 1-line block ×3, first 2 shown]
	v_add_co_u32_e32 v32, vcc, v47, v4
	v_addc_co_u32_e32 v33, vcc, v56, v5, vcc
	v_add_co_u32_e32 v6, vcc, v6, v46
	v_addc_co_u32_e32 v7, vcc, 0, v7, vcc
	v_sub_u32_e32 v14, v14, v45
	v_add_co_u32_e32 v4, vcc, v4, v46
	v_addc_co_u32_e32 v5, vcc, 0, v5, vcc
	v_cmp_gt_i32_e64 s[26:27], 1, v14
	v_add_co_u32_e32 v43, vcc, s70, v32
	s_or_b64 s[92:93], s[26:27], s[92:93]
	v_addc_co_u32_e32 v44, vcc, 0, v33, vcc
	s_waitcnt vmcnt(7)
	global_store_dwordx4 v[32:33], v[16:19], off glc slc
	s_waitcnt vmcnt(7)
	global_store_dwordx4 v[32:33], v[20:23], off offset:1024 glc slc
	s_waitcnt vmcnt(7)
	global_store_dwordx4 v[32:33], v[24:27], off offset:2048 glc slc
	;; [unrolled: 2-line block ×3, first 2 shown]
	s_waitcnt vmcnt(7)
	global_store_dwordx4 v[43:44], v[35:38], off glc slc
	s_waitcnt vmcnt(7)
	global_store_dwordx4 v[43:44], v[48:51], off offset:1024 glc slc
	s_waitcnt vmcnt(7)
	global_store_dwordx4 v[43:44], v[52:55], off offset:2048 glc slc
	;; [unrolled: 2-line block ×3, first 2 shown]
	s_andn2_b64 exec, exec, s[92:93]
	s_cbranch_execnz .LBB6_13594
; %bb.13595:                            ;   in Loop: Header=BB6_13517 Depth=2
	s_or_b64 exec, exec, s[92:93]
	v_mov_b32_e32 v39, v45
.LBB6_13596:                            ;   in Loop: Header=BB6_13517 Depth=2
	s_or_b64 exec, exec, s[90:91]
	v_lshlrev_b32_e32 v7, 13, v15
	v_cmp_ne_u32_e32 vcc, v13, v7
	s_mov_b64 s[92:93], 0
	v_mov_b32_e32 v4, 0
                                        ; implicit-def: $vgpr5
                                        ; implicit-def: $vgpr6
                                        ; implicit-def: $vgpr16
	s_and_saveexec_b64 s[90:91], vcc
	s_cbranch_execz .LBB6_13604
; %bb.13597:                            ;   in Loop: Header=BB6_13517 Depth=2
	buffer_load_dword v5, off, s[0:3], s33 offset:460 ; 4-byte Folded Reload
	v_lshlrev_b32_e32 v4, 6, v14
	v_sub_u32_e32 v6, v13, v7
	v_ashrrev_i32_e32 v15, 31, v6
	v_lshrrev_b32_e32 v15, 22, v15
	v_add_u32_e32 v15, v6, v15
	v_ashrrev_i32_e32 v17, 10, v15
	v_and_b32_e32 v15, 0xfffffc00, v15
	v_sub_u32_e32 v18, v6, v15
	v_cmp_lt_i32_e32 vcc, 15, v18
	s_waitcnt vmcnt(0)
	v_sub_u32_e32 v4, v5, v4
	v_ashrrev_i32_e32 v5, 31, v4
	v_lshrrev_b32_e32 v5, 26, v5
	v_add_u32_e32 v5, v4, v5
	v_ashrrev_i32_e32 v16, 6, v5
	v_and_b32_e32 v5, 0xffffffc0, v5
	v_sub_u32_e32 v14, v4, v5
	v_lshlrev_b32_e32 v4, 4, v14
	v_lshl_add_u32 v5, v16, 10, v4
	v_sub_u32_e32 v4, v6, v5
	v_addc_co_u32_e64 v6, s[26:27], 0, v17, vcc
	v_sub_u32_e32 v17, v6, v16
	v_cmp_lt_i32_e64 s[26:27], 15, v4
	s_and_saveexec_b64 s[92:93], s[26:27]
	s_cbranch_execz .LBB6_13601
; %bb.13598:                            ;   in Loop: Header=BB6_13517 Depth=2
	buffer_load_dword v16, off, s[0:3], s33 offset:316 ; 4-byte Folded Reload
	v_add_u32_e32 v5, v5, v7
	v_ashrrev_i32_e32 v6, 31, v5
	s_mov_b64 s[94:95], 0
.LBB6_13599:                            ;   Parent Loop BB6_47 Depth=1
                                        ;     Parent Loop BB6_13517 Depth=2
                                        ; =>    This Inner Loop Header: Depth=3
	v_add_co_u32_e64 v19, s[26:27], v0, v5
	v_addc_co_u32_e64 v20, s[26:27], v1, v6, s[26:27]
	global_load_dwordx4 v[19:22], v[19:20], off glc slc
	v_add_co_u32_e64 v23, s[26:27], v2, v5
	v_addc_co_u32_e64 v24, s[26:27], v3, v6, s[26:27]
	s_waitcnt vmcnt(1)
	v_add_co_u32_e64 v5, s[26:27], v5, v16
	v_sub_u32_e32 v4, v4, v16
	v_addc_co_u32_e64 v6, s[26:27], 0, v6, s[26:27]
	v_cmp_gt_i32_e64 s[26:27], 16, v4
	v_sub_u32_e32 v17, v17, v39
	s_or_b64 s[94:95], s[26:27], s[94:95]
	s_waitcnt vmcnt(0)
	global_store_dwordx4 v[23:24], v[19:22], off glc slc
	s_andn2_b64 exec, exec, s[94:95]
	s_cbranch_execnz .LBB6_13599
; %bb.13600:                            ;   in Loop: Header=BB6_13517 Depth=2
	s_or_b64 exec, exec, s[94:95]
.LBB6_13601:                            ;   in Loop: Header=BB6_13517 Depth=2
	s_or_b64 exec, exec, s[92:93]
	v_and_b32_e32 v19, 15, v13
	v_cndmask_b32_e32 v5, v18, v19, vcc
	v_mov_b32_e32 v4, 0
	v_cmp_ne_u32_e64 s[26:27], 0, v5
	s_mov_b64 s[94:95], 0
                                        ; implicit-def: $vgpr6
                                        ; implicit-def: $vgpr16
	s_and_saveexec_b64 s[92:93], s[26:27]
	s_cbranch_execz .LBB6_13603
; %bb.13602:                            ;   in Loop: Header=BB6_13517 Depth=2
	v_sub_u32_e32 v4, v18, v19
	v_cndmask_b32_e32 v4, 0, v4, vcc
	v_cmp_lt_i32_e32 vcc, 0, v17
	v_cndmask_b32_e32 v6, 0, v39, vcc
	v_sub_u32_e32 v6, v6, v17
	v_lshl_add_u32 v6, v6, 6, v14
	v_add3_u32 v4, v15, v7, v4
	v_ashrrev_i32_e32 v7, 31, v6
	v_lshrrev_b32_e32 v7, 26, v7
	v_add_u32_e32 v7, v6, v7
	v_ashrrev_i32_e32 v16, 6, v7
	s_mov_b64 s[94:95], exec
.LBB6_13603:                            ;   in Loop: Header=BB6_13517 Depth=2
	s_or_b64 exec, exec, s[92:93]
	s_and_b64 s[92:93], s[94:95], exec
.LBB6_13604:                            ;   in Loop: Header=BB6_13517 Depth=2
	s_or_b64 exec, exec, s[90:91]
	s_and_saveexec_b64 s[26:27], s[92:93]
	s_cbranch_execz .LBB6_13613
.LBB6_13605:                            ;   in Loop: Header=BB6_13517 Depth=2
	v_ashrrev_i32_e32 v7, 31, v5
	v_lshrrev_b32_e32 v7, 21, v7
	v_add_u32_e32 v7, v5, v7
	v_ashrrev_i32_e32 v15, 11, v7
	s_waitcnt vmcnt(0)
	v_sub_u32_e32 v7, v15, v16
	v_ashrrev_i32_e32 v14, 31, v6
	v_cmp_lt_i32_e32 vcc, 0, v7
	v_lshrrev_b32_e32 v14, 26, v14
	s_and_saveexec_b64 s[90:91], vcc
	s_cbranch_execz .LBB6_13609
; %bb.13606:                            ;   in Loop: Header=BB6_13517 Depth=2
	buffer_load_dword v46, off, s[0:3], s33 offset:272 ; 4-byte Folded Reload
	v_add_u32_e32 v17, v6, v14
	v_and_b32_e32 v17, 0xffffffc0, v17
	v_sub_u32_e32 v17, v6, v17
	v_lshlrev_b32_e32 v16, 11, v16
	v_add3_u32 v16, v4, v17, v16
	v_ashrrev_i32_e32 v17, 31, v16
	s_mov_b64 s[92:93], 0
	v_mov_b32_e32 v45, v39
.LBB6_13607:                            ;   Parent Loop BB6_47 Depth=1
                                        ;     Parent Loop BB6_13517 Depth=2
                                        ; =>    This Inner Loop Header: Depth=3
	v_add_co_u32_e32 v18, vcc, v16, v0
	v_addc_co_u32_e32 v19, vcc, v17, v1, vcc
	flat_load_ubyte v20, v[18:19] glc slc
	flat_load_ubyte v21, v[18:19] offset:64 glc slc
	flat_load_ubyte v22, v[18:19] offset:128 glc slc
	;; [unrolled: 1-line block ×31, first 2 shown]
	v_add_co_u32_e32 v18, vcc, v16, v2
	v_addc_co_u32_e32 v19, vcc, v17, v3, vcc
	s_waitcnt vmcnt(0)
	v_add_co_u32_e32 v0, vcc, v0, v46
	v_addc_co_u32_e32 v1, vcc, 0, v1, vcc
	v_add_co_u32_e32 v2, vcc, v2, v46
	v_sub_u32_e32 v7, v7, v45
	v_addc_co_u32_e32 v3, vcc, 0, v3, vcc
	v_cmp_gt_i32_e32 vcc, 1, v7
	s_or_b64 s[92:93], vcc, s[92:93]
	s_waitcnt lgkmcnt(0)
	flat_store_byte v[18:19], v20 glc slc
	flat_store_byte v[18:19], v21 offset:64 glc slc
	flat_store_byte v[18:19], v22 offset:128 glc slc
	;; [unrolled: 1-line block ×31, first 2 shown]
	s_andn2_b64 exec, exec, s[92:93]
	s_cbranch_execnz .LBB6_13607
; %bb.13608:                            ;   in Loop: Header=BB6_13517 Depth=2
	s_or_b64 exec, exec, s[92:93]
	v_mov_b32_e32 v39, v45
.LBB6_13609:                            ;   in Loop: Header=BB6_13517 Depth=2
	s_or_b64 exec, exec, s[90:91]
	v_lshlrev_b32_e32 v0, 11, v15
	buffer_load_dword v15, off, s[0:3], s33 offset:276 ; 4-byte Folded Reload
	v_cmp_ne_u32_e32 vcc, v5, v0
	s_and_b64 s[90:91], exec, vcc
	s_mov_b64 exec, s[90:91]
	s_cbranch_execz .LBB6_13613
; %bb.13610:                            ;   in Loop: Header=BB6_13517 Depth=2
	v_add_u32_e32 v1, v6, v14
	v_and_b32_e32 v1, 0xffffffc0, v1
	v_sub_u32_e32 v1, v6, v1
	v_lshlrev_b32_e32 v2, 6, v7
	v_sub_u32_e32 v1, v1, v2
	v_add_u32_e32 v0, v0, v1
	v_sub_u32_e32 v2, v5, v0
	v_cmp_lt_i32_e32 vcc, 0, v2
	s_and_b64 exec, exec, vcc
	s_cbranch_execz .LBB6_13613
; %bb.13611:                            ;   in Loop: Header=BB6_13517 Depth=2
	v_add_u32_e32 v3, v0, v4
	s_trap 2
	ds_read_b64 v[0:1], v0
	v_ashrrev_i32_e32 v4, 31, v3
	s_mov_b64 s[90:91], 0
.LBB6_13612:                            ;   Parent Loop BB6_47 Depth=1
                                        ;     Parent Loop BB6_13517 Depth=2
                                        ; =>    This Inner Loop Header: Depth=3
	s_waitcnt lgkmcnt(0)
	v_add_co_u32_e32 v5, vcc, v0, v3
	v_addc_co_u32_e32 v6, vcc, v1, v4, vcc
	flat_load_ubyte v7, v[5:6] glc slc
	s_waitcnt vmcnt(0)
	v_add_co_u32_e32 v3, vcc, v3, v15
	v_sub_u32_e32 v2, v2, v15
	v_addc_co_u32_e32 v4, vcc, 0, v4, vcc
	v_cmp_gt_i32_e32 vcc, 1, v2
	s_or_b64 s[90:91], vcc, s[90:91]
	s_waitcnt lgkmcnt(0)
	flat_store_byte v[5:6], v7 glc slc
	s_andn2_b64 exec, exec, s[90:91]
	s_cbranch_execnz .LBB6_13612
.LBB6_13613:                            ;   in Loop: Header=BB6_13517 Depth=2
	s_or_b64 exec, exec, s[26:27]
	v_cmp_lt_i32_e64 s[26:27], 0, v13
	s_and_saveexec_b64 s[90:91], s[10:11]
	s_cbranch_execz .LBB6_13588
.LBB6_13614:                            ;   in Loop: Header=BB6_13517 Depth=2
	s_and_saveexec_b64 s[92:93], s[58:59]
	s_xor_b64 s[92:93], exec, s[92:93]
	s_cbranch_execz .LBB6_13629
; %bb.13615:                            ;   in Loop: Header=BB6_13517 Depth=2
	s_and_saveexec_b64 s[94:95], s[16:17]
	s_cbranch_execz .LBB6_13628
; %bb.13616:                            ;   in Loop: Header=BB6_13517 Depth=2
	s_mov_b64 s[34:35], exec
	v_mbcnt_lo_u32_b32 v0, s34, 0
	v_mbcnt_hi_u32_b32 v0, s35, v0
	v_cmp_eq_u32_e32 vcc, 0, v0
	s_waitcnt vmcnt(0) lgkmcnt(0)
	buffer_wbinvl1_vol
	s_and_saveexec_b64 s[30:31], vcc
	s_cbranch_execz .LBB6_13618
; %bb.13617:                            ;   in Loop: Header=BB6_13517 Depth=2
	s_bcnt1_i32_b64 s47, s[34:35]
	v_mov_b32_e32 v0, s47
	v_mov_b32_e32 v1, v34
	ds_add_u64 v0, v[0:1]
	s_trap 2
.LBB6_13618:                            ;   in Loop: Header=BB6_13517 Depth=2
	s_or_b64 exec, exec, s[30:31]
	s_trap 2
	ds_read_b64 v[0:1], v0
	s_waitcnt lgkmcnt(0)
	buffer_load_dword v2, off, s[0:3], s33 offset:76 ; 4-byte Folded Reload
	buffer_load_dword v3, off, s[0:3], s33 offset:80 ; 4-byte Folded Reload
	s_waitcnt vmcnt(1)
	v_add_co_u32_e32 v2, vcc, v2, v39
	s_waitcnt vmcnt(0)
	v_addc_co_u32_e32 v3, vcc, 0, v3, vcc
	buffer_store_dword v2, off, s[0:3], s33 offset:76 ; 4-byte Folded Spill
	s_nop 0
	buffer_store_dword v3, off, s[0:3], s33 offset:80 ; 4-byte Folded Spill
	v_cmp_lt_u64_e32 vcc, v[0:1], v[2:3]
	s_and_saveexec_b64 s[30:31], vcc
	s_cbranch_execz .LBB6_13627
; %bb.13619:                            ;   in Loop: Header=BB6_13517 Depth=2
	s_mov_b32 s47, 0
	s_mov_b64 s[34:35], 0
                                        ; implicit-def: $sgpr36_sgpr37
                                        ; implicit-def: $sgpr38_sgpr39
	s_branch .LBB6_13621
.LBB6_13620:                            ;   in Loop: Header=BB6_13621 Depth=3
	s_or_b64 exec, exec, s[50:51]
	s_and_b64 vcc, exec, vcc
	s_or_b64 s[34:35], vcc, s[34:35]
	s_andn2_b64 vcc, s[36:37], exec
	s_and_b64 s[36:37], s[38:39], exec
	s_or_b64 s[36:37], vcc, s[36:37]
	s_andn2_b64 exec, exec, s[34:35]
	s_cbranch_execz .LBB6_13625
.LBB6_13621:                            ;   Parent Loop BB6_47 Depth=1
                                        ;     Parent Loop BB6_13517 Depth=2
                                        ; =>    This Inner Loop Header: Depth=3
	s_add_i32 s47, s47, 1
	s_cmpk_lg_i32 s47, 0x2710
	s_cselect_b64 s[48:49], -1, 0
	s_and_b64 vcc, exec, s[48:49]
	s_cbranch_vccz .LBB6_13623
; %bb.13622:                            ;   in Loop: Header=BB6_13621 Depth=3
	s_mov_b64 vcc, -1
	s_or_b64 s[38:39], s[38:39], exec
	s_and_saveexec_b64 s[50:51], s[48:49]
	s_cbranch_execz .LBB6_13620
	s_branch .LBB6_13624
.LBB6_13623:                            ;   in Loop: Header=BB6_13621 Depth=3
	s_trap 2
	ds_read_b64 v[0:1], v0
	s_andn2_b64 s[48:49], s[48:49], exec
	s_mov_b32 s47, 0
	s_waitcnt vmcnt(0) lgkmcnt(0)
	flat_load_dword v0, v[0:1] glc
	s_waitcnt vmcnt(0) lgkmcnt(0)
	buffer_wbinvl1_vol
	v_cmp_eq_u32_e32 vcc, 0, v0
	s_and_b64 vcc, vcc, exec
	s_or_b64 s[48:49], s[48:49], vcc
	s_mov_b64 vcc, -1
	s_or_b64 s[38:39], s[38:39], exec
	s_and_saveexec_b64 s[50:51], s[48:49]
	s_cbranch_execz .LBB6_13620
.LBB6_13624:                            ;   in Loop: Header=BB6_13621 Depth=3
	s_sleep 1
	s_trap 2
	ds_read_b64 v[0:1], v0
	s_waitcnt lgkmcnt(0)
	buffer_load_dword v2, off, s[0:3], s33 offset:76 ; 4-byte Folded Reload
	buffer_load_dword v3, off, s[0:3], s33 offset:80 ; 4-byte Folded Reload
	s_andn2_b64 s[38:39], s[38:39], exec
	s_waitcnt vmcnt(0)
	v_cmp_ge_u64_e32 vcc, v[0:1], v[2:3]
	s_orn2_b64 vcc, vcc, exec
	s_branch .LBB6_13620
.LBB6_13625:                            ;   in Loop: Header=BB6_13517 Depth=2
	s_or_b64 exec, exec, s[34:35]
	s_and_saveexec_b64 vcc, s[36:37]
	s_xor_b64 vcc, exec, vcc
	s_cbranch_execz .LBB6_13627
; %bb.13626:                            ;   in Loop: Header=BB6_13517 Depth=2
	v_mov_b32_e32 v0, 1
	ds_write_b32 v0, v0
	s_trap 2
.LBB6_13627:                            ;   in Loop: Header=BB6_13517 Depth=2
	s_or_b64 exec, exec, s[30:31]
	;;#ASMSTART
	s_wakeup
	;;#ASMEND
.LBB6_13628:                            ;   in Loop: Header=BB6_13517 Depth=2
	s_or_b64 exec, exec, s[94:95]
.LBB6_13629:                            ;   in Loop: Header=BB6_13517 Depth=2
	s_andn2_saveexec_b64 s[92:93], s[92:93]
	s_cbranch_execz .LBB6_13631
; %bb.13630:                            ;   in Loop: Header=BB6_13517 Depth=2
	s_waitcnt vmcnt(0) lgkmcnt(0)
	buffer_wbinvl1_vol
	s_barrier
.LBB6_13631:                            ;   in Loop: Header=BB6_13517 Depth=2
	s_or_b64 exec, exec, s[92:93]
	s_or_b64 exec, exec, s[90:91]
	s_and_saveexec_b64 s[90:91], s[24:25]
	s_xor_b64 s[90:91], exec, s[90:91]
	s_cbranch_execnz .LBB6_13589
.LBB6_13632:                            ;   in Loop: Header=BB6_13517 Depth=2
	s_andn2_saveexec_b64 s[26:27], s[90:91]
	s_cbranch_execz .LBB6_13651
.LBB6_13633:                            ;   in Loop: Header=BB6_13517 Depth=2
	s_and_saveexec_b64 s[90:91], s[58:59]
	s_xor_b64 s[90:91], exec, s[90:91]
	s_cbranch_execz .LBB6_13648
; %bb.13634:                            ;   in Loop: Header=BB6_13517 Depth=2
	s_and_saveexec_b64 s[92:93], s[16:17]
	s_cbranch_execz .LBB6_13647
; %bb.13635:                            ;   in Loop: Header=BB6_13517 Depth=2
	s_mov_b64 s[30:31], exec
	v_mbcnt_lo_u32_b32 v0, s30, 0
	v_mbcnt_hi_u32_b32 v0, s31, v0
	v_cmp_eq_u32_e32 vcc, 0, v0
	;;#ASMSTART
	s_waitcnt lgkmcnt(0) vmcnt(0)
	;;#ASMEND
	s_and_saveexec_b64 s[94:95], vcc
	s_cbranch_execz .LBB6_13637
; %bb.13636:                            ;   in Loop: Header=BB6_13517 Depth=2
	s_bcnt1_i32_b64 s47, s[30:31]
	v_mov_b32_e32 v0, s47
	v_mov_b32_e32 v1, v34
	s_waitcnt lgkmcnt(0)
	ds_add_u64 v0, v[0:1]
	s_trap 2
.LBB6_13637:                            ;   in Loop: Header=BB6_13517 Depth=2
	s_or_b64 exec, exec, s[94:95]
	s_trap 2
	ds_read_b64 v[0:1], v0
	s_waitcnt lgkmcnt(0)
	buffer_load_dword v2, off, s[0:3], s33 offset:76 ; 4-byte Folded Reload
	buffer_load_dword v3, off, s[0:3], s33 offset:80 ; 4-byte Folded Reload
	s_waitcnt vmcnt(0)
	v_add_co_u32_e32 v2, vcc, v2, v39
	v_addc_co_u32_e32 v3, vcc, 0, v3, vcc
	buffer_store_dword v2, off, s[0:3], s33 offset:76 ; 4-byte Folded Spill
	s_nop 0
	buffer_store_dword v3, off, s[0:3], s33 offset:80 ; 4-byte Folded Spill
	v_cmp_lt_u64_e32 vcc, v[0:1], v[2:3]
	s_and_saveexec_b64 s[94:95], vcc
	s_cbranch_execz .LBB6_13646
; %bb.13638:                            ;   in Loop: Header=BB6_13517 Depth=2
	s_mov_b32 s47, 0
	s_mov_b64 s[30:31], 0
                                        ; implicit-def: $sgpr34_sgpr35
                                        ; implicit-def: $sgpr36_sgpr37
	s_branch .LBB6_13640
.LBB6_13639:                            ;   in Loop: Header=BB6_13640 Depth=3
	s_or_b64 exec, exec, s[48:49]
	s_and_b64 vcc, exec, vcc
	s_or_b64 s[30:31], vcc, s[30:31]
	s_andn2_b64 vcc, s[34:35], exec
	s_and_b64 s[34:35], s[36:37], exec
	s_or_b64 s[34:35], vcc, s[34:35]
	s_andn2_b64 exec, exec, s[30:31]
	s_cbranch_execz .LBB6_13644
.LBB6_13640:                            ;   Parent Loop BB6_47 Depth=1
                                        ;     Parent Loop BB6_13517 Depth=2
                                        ; =>    This Inner Loop Header: Depth=3
	s_add_i32 s47, s47, 1
	s_cmpk_lg_i32 s47, 0x2710
	s_cselect_b64 s[38:39], -1, 0
	s_and_b64 vcc, exec, s[38:39]
	s_cbranch_vccz .LBB6_13642
; %bb.13641:                            ;   in Loop: Header=BB6_13640 Depth=3
	s_mov_b64 vcc, -1
	s_or_b64 s[36:37], s[36:37], exec
	s_and_saveexec_b64 s[48:49], s[38:39]
	s_cbranch_execz .LBB6_13639
	s_branch .LBB6_13643
.LBB6_13642:                            ;   in Loop: Header=BB6_13640 Depth=3
	s_trap 2
	ds_read_b64 v[0:1], v0
	s_andn2_b64 s[38:39], s[38:39], exec
	s_mov_b32 s47, 0
	s_waitcnt vmcnt(0) lgkmcnt(0)
	flat_load_dword v0, v[0:1] glc
	s_waitcnt vmcnt(0) lgkmcnt(0)
	buffer_wbinvl1_vol
	v_cmp_eq_u32_e32 vcc, 0, v0
	s_and_b64 vcc, vcc, exec
	s_or_b64 s[38:39], s[38:39], vcc
	s_mov_b64 vcc, -1
	s_or_b64 s[36:37], s[36:37], exec
	s_and_saveexec_b64 s[48:49], s[38:39]
	s_cbranch_execz .LBB6_13639
.LBB6_13643:                            ;   in Loop: Header=BB6_13640 Depth=3
	s_sleep 1
	s_trap 2
	ds_read_b64 v[0:1], v0
	s_waitcnt lgkmcnt(0)
	buffer_load_dword v2, off, s[0:3], s33 offset:76 ; 4-byte Folded Reload
	buffer_load_dword v3, off, s[0:3], s33 offset:80 ; 4-byte Folded Reload
	s_andn2_b64 s[36:37], s[36:37], exec
	s_waitcnt vmcnt(0)
	v_cmp_ge_u64_e32 vcc, v[0:1], v[2:3]
	s_orn2_b64 vcc, vcc, exec
	s_branch .LBB6_13639
.LBB6_13644:                            ;   in Loop: Header=BB6_13517 Depth=2
	s_or_b64 exec, exec, s[30:31]
	s_and_saveexec_b64 vcc, s[34:35]
	s_xor_b64 vcc, exec, vcc
	s_cbranch_execz .LBB6_13646
; %bb.13645:                            ;   in Loop: Header=BB6_13517 Depth=2
	v_mov_b32_e32 v0, 1
	ds_write_b32 v0, v0
	s_trap 2
.LBB6_13646:                            ;   in Loop: Header=BB6_13517 Depth=2
	s_or_b64 exec, exec, s[94:95]
	;;#ASMSTART
	s_wakeup
	;;#ASMEND
.LBB6_13647:                            ;   in Loop: Header=BB6_13517 Depth=2
	s_or_b64 exec, exec, s[92:93]
.LBB6_13648:                            ;   in Loop: Header=BB6_13517 Depth=2
	s_andn2_saveexec_b64 s[90:91], s[90:91]
	s_cbranch_execz .LBB6_13650
; %bb.13649:                            ;   in Loop: Header=BB6_13517 Depth=2
	;;#ASMSTART
	s_waitcnt lgkmcnt(0) vmcnt(0)
	;;#ASMEND
	s_waitcnt vmcnt(0) lgkmcnt(0)
	s_barrier
.LBB6_13650:                            ;   in Loop: Header=BB6_13517 Depth=2
	s_or_b64 exec, exec, s[90:91]
.LBB6_13651:                            ;   in Loop: Header=BB6_13517 Depth=2
	s_or_b64 exec, exec, s[26:27]
	buffer_load_dword v0, off, s[0:3], s33 offset:72 ; 4-byte Folded Reload
	s_waitcnt vmcnt(0)
	v_and_b32_e32 v0, 32, v0
	v_cmp_ne_u32_e32 vcc, 0, v0
	s_and_saveexec_b64 s[26:27], vcc
	s_cbranch_execz .LBB6_13516
; %bb.13652:                            ;   in Loop: Header=BB6_13517 Depth=2
	buffer_load_dword v2, off, s[0:3], s33 offset:84 ; 4-byte Folded Reload
	buffer_load_dword v3, off, s[0:3], s33 offset:88 ; 4-byte Folded Reload
	;; [unrolled: 1-line block ×4, first 2 shown]
	s_waitcnt vmcnt(0)
	v_add_co_u32_e32 v2, vcc, 2, v2
	v_addc_co_u32_e32 v3, vcc, 0, v3, vcc
	buffer_store_dword v2, off, s[0:3], s33 offset:84 ; 4-byte Folded Spill
	s_nop 0
	buffer_store_dword v3, off, s[0:3], s33 offset:88 ; 4-byte Folded Spill
	flat_store_dwordx2 v[0:1], v[2:3]
	s_branch .LBB6_13516
.LBB6_13653:                            ;   in Loop: Header=BB6_47 Depth=1
	s_or_b64 exec, exec, s[40:41]
.LBB6_13654:                            ;   in Loop: Header=BB6_47 Depth=1
	s_or_b64 exec, exec, s[28:29]
	v_cmp_gt_i32_e32 vcc, 2, v2
	s_and_saveexec_b64 s[28:29], vcc
	s_cbranch_execnz .LBB6_13655
; %bb.13789:                            ;   in Loop: Header=BB6_47 Depth=1
	s_getpc_b64 s[98:99]
.Lpost_getpc28:
	s_add_u32 s98, s98, (.LBB6_46-.Lpost_getpc28)&4294967295
	s_addc_u32 s99, s99, (.LBB6_46-.Lpost_getpc28)>>32
	s_setpc_b64 s[98:99]
.LBB6_13655:                            ;   in Loop: Header=BB6_47 Depth=1
	v_cmp_eq_u32_e64 s[42:43], 0, v2
	s_mov_b64 s[40:41], 0
	s_branch .LBB6_13657
.LBB6_13656:                            ;   in Loop: Header=BB6_13657 Depth=2
	s_or_b64 exec, exec, s[26:27]
	v_add_u32_e32 v10, v9, v10
	s_mov_b64 s[42:43], 0
	s_andn2_b64 exec, exec, s[40:41]
	s_cbranch_execnz .LBB6_13657
; %bb.13791:                            ;   in Loop: Header=BB6_47 Depth=1
	s_getpc_b64 s[98:99]
.Lpost_getpc29:
	s_add_u32 s98, s98, (.LBB6_45-.Lpost_getpc29)&4294967295
	s_addc_u32 s99, s99, (.LBB6_45-.Lpost_getpc29)>>32
	s_setpc_b64 s[98:99]
.LBB6_13657:                            ;   Parent Loop BB6_47 Depth=1
                                        ; =>  This Loop Header: Depth=2
                                        ;       Child Loop BB6_13663 Depth 3
                                        ;       Child Loop BB6_13687 Depth 3
	;; [unrolled: 1-line block ×3, first 2 shown]
	buffer_load_dword v0, off, s[0:3], s33 offset:72 ; 4-byte Folded Reload
	s_waitcnt vmcnt(0)
	v_and_b32_e32 v0, 4, v0
	v_cmp_ne_u32_e32 vcc, 0, v0
	s_and_saveexec_b64 s[90:91], vcc
	s_cbranch_execz .LBB6_13679
; %bb.13658:                            ;   in Loop: Header=BB6_13657 Depth=2
	buffer_load_dword v0, off, s[0:3], s33 offset:84 ; 4-byte Folded Reload
	buffer_load_dword v1, off, s[0:3], s33 offset:88 ; 4-byte Folded Reload
	;; [unrolled: 1-line block ×4, first 2 shown]
	s_waitcnt vmcnt(0)
	v_add_co_u32_e32 v0, vcc, 2, v0
	v_addc_co_u32_e32 v1, vcc, 0, v1, vcc
	v_cmp_lt_u64_e32 vcc, v[2:3], v[0:1]
	s_and_saveexec_b64 s[92:93], vcc
	s_cbranch_execz .LBB6_13670
; %bb.13659:                            ;   in Loop: Header=BB6_13657 Depth=2
	buffer_load_dword v2, off, s[0:3], s33 offset:72 ; 4-byte Folded Reload
	s_mov_b32 s47, 0
	s_mov_b64 s[94:95], 0
                                        ; implicit-def: $sgpr30_sgpr31
                                        ; implicit-def: $sgpr34_sgpr35
                                        ; implicit-def: $sgpr36_sgpr37
	s_waitcnt vmcnt(0)
	v_and_b32_e32 v2, 64, v2
	v_cmp_eq_u32_e32 vcc, 0, v2
	s_branch .LBB6_13663
.LBB6_13660:                            ;   in Loop: Header=BB6_13663 Depth=3
	buffer_load_dword v3, off, s[0:3], s33 offset:56 ; 4-byte Folded Reload
	buffer_load_dword v4, off, s[0:3], s33 offset:60 ; 4-byte Folded Reload
	s_or_b64 s[50:51], s[50:51], exec
	s_waitcnt vmcnt(0)
	v_cmp_ge_u64_e64 s[26:27], v[3:4], v[0:1]
	s_orn2_b64 s[48:49], s[26:27], exec
.LBB6_13661:                            ;   in Loop: Header=BB6_13663 Depth=3
	s_or_b64 exec, exec, s[54:55]
	s_andn2_b64 s[26:27], s[36:37], exec
	s_and_b64 s[36:37], s[50:51], exec
	s_or_b64 s[36:37], s[26:27], s[36:37]
	s_andn2_b64 s[26:27], s[34:35], exec
	s_and_b64 s[34:35], s[48:49], exec
	s_or_b64 s[34:35], s[26:27], s[34:35]
.LBB6_13662:                            ;   in Loop: Header=BB6_13663 Depth=3
	s_or_b64 exec, exec, s[38:39]
	s_and_b64 s[26:27], exec, s[34:35]
	s_or_b64 s[94:95], s[26:27], s[94:95]
	s_andn2_b64 s[26:27], s[30:31], exec
	s_and_b64 s[30:31], s[36:37], exec
	s_or_b64 s[30:31], s[26:27], s[30:31]
	s_andn2_b64 exec, exec, s[94:95]
	s_cbranch_execz .LBB6_13667
.LBB6_13663:                            ;   Parent Loop BB6_47 Depth=1
                                        ;     Parent Loop BB6_13657 Depth=2
                                        ; =>    This Inner Loop Header: Depth=3
	s_sleep 1
	buffer_load_dword v2, off, s[0:3], s33 offset:64 ; 4-byte Folded Reload
	buffer_load_dword v3, off, s[0:3], s33 offset:68 ; 4-byte Folded Reload
	s_or_b64 s[36:37], s[36:37], exec
	s_or_b64 s[34:35], s[34:35], exec
	s_waitcnt vmcnt(0)
	flat_load_dwordx2 v[2:3], v[2:3] glc
	s_waitcnt vmcnt(0) lgkmcnt(0)
	buffer_store_dword v2, off, s[0:3], s33 offset:56 ; 4-byte Folded Spill
	s_nop 0
	buffer_store_dword v3, off, s[0:3], s33 offset:60 ; 4-byte Folded Spill
                                        ; implicit-def: $vgpr2
	s_and_saveexec_b64 s[38:39], vcc
	s_cbranch_execz .LBB6_13662
; %bb.13664:                            ;   in Loop: Header=BB6_13663 Depth=3
	s_cmpk_lt_i32 s47, 0x270f
	s_cselect_b64 s[52:53], -1, 0
	s_cmpk_gt_i32 s47, 0x270e
	s_mov_b64 s[48:49], -1
	s_cbranch_scc0 .LBB6_13666
; %bb.13665:                            ;   in Loop: Header=BB6_13663 Depth=3
	s_trap 2
	ds_read_b64 v[2:3], v0
	s_andn2_b64 s[52:53], s[52:53], exec
	s_mov_b32 s47, 0
	s_mov_b64 s[50:51], 0
	s_waitcnt vmcnt(0) lgkmcnt(0)
	flat_load_dword v2, v[2:3] glc
	s_waitcnt vmcnt(0) lgkmcnt(0)
	buffer_wbinvl1_vol
	v_cmp_eq_u32_e64 s[26:27], 0, v2
	s_and_b64 s[26:27], s[26:27], exec
	s_or_b64 s[52:53], s[52:53], s[26:27]
	s_and_saveexec_b64 s[54:55], s[52:53]
	s_cbranch_execz .LBB6_13661
	s_branch .LBB6_13660
.LBB6_13666:                            ;   in Loop: Header=BB6_13663 Depth=3
	s_add_i32 s47, s47, 1
	s_mov_b64 s[50:51], -1
                                        ; implicit-def: $vgpr2
	s_and_saveexec_b64 s[54:55], s[52:53]
	s_cbranch_execz .LBB6_13661
	s_branch .LBB6_13660
.LBB6_13667:                            ;   in Loop: Header=BB6_13657 Depth=2
	s_or_b64 exec, exec, s[94:95]
	s_xor_b64 s[26:27], s[30:31], -1
	s_and_saveexec_b64 s[94:95], s[26:27]
	s_xor_b64 s[26:27], exec, s[94:95]
	s_cbranch_execz .LBB6_13669
; %bb.13668:                            ;   in Loop: Header=BB6_13657 Depth=2
	ds_write_b32 v0, v2
	s_trap 2
	buffer_load_dword v2, off, s[0:3], s33 offset:72 ; 4-byte Folded Reload
	s_waitcnt vmcnt(0)
	v_or_b32_e32 v2, 64, v2
	buffer_store_dword v2, off, s[0:3], s33 offset:72 ; 4-byte Folded Spill
.LBB6_13669:                            ;   in Loop: Header=BB6_13657 Depth=2
	s_or_b64 exec, exec, s[26:27]
.LBB6_13670:                            ;   in Loop: Header=BB6_13657 Depth=2
	s_or_b64 exec, exec, s[92:93]
	;;#ASMSTART
	s_wakeup
	;;#ASMEND
	buffer_load_dword v2, off, s[0:3], s33 offset:72 ; 4-byte Folded Reload
	s_mov_b64 s[26:27], -1
	s_waitcnt vmcnt(0)
	v_and_b32_e32 v2, 0x100, v2
	v_cmp_ne_u32_e32 vcc, 0, v2
	buffer_load_dword v2, off, s[0:3], s33 offset:84 ; 4-byte Folded Reload
	buffer_load_dword v3, off, s[0:3], s33 offset:88 ; 4-byte Folded Reload
	s_waitcnt vmcnt(0)
	v_and_b32_e32 v6, 7, v2
                                        ; implicit-def: $vgpr2_vgpr3
	s_and_saveexec_b64 s[92:93], vcc
	s_cbranch_execz .LBB6_13674
; %bb.13671:                            ;   in Loop: Header=BB6_13657 Depth=2
	buffer_load_dword v2, off, s[0:3], s33 offset:292 ; 4-byte Folded Reload
	buffer_load_dword v3, off, s[0:3], s33 offset:296 ; 4-byte Folded Reload
	;; [unrolled: 1-line block ×4, first 2 shown]
	s_waitcnt vmcnt(0)
	v_mad_u64_u32 v[4:5], s[26:27], v6, 24, v[2:3]
	flat_load_dword v2, v[4:5]
	s_waitcnt vmcnt(0) lgkmcnt(0)
	v_cmp_ne_u32_e32 vcc, 1, v2
	v_cmp_eq_u32_e64 s[26:27], 1, v2
                                        ; implicit-def: $vgpr2_vgpr3
	s_and_saveexec_b64 s[94:95], s[26:27]
	s_cbranch_execz .LBB6_13673
; %bb.13672:                            ;   in Loop: Header=BB6_13657 Depth=2
	flat_load_dword v2, v[4:5] offset:4 glc
	s_waitcnt vmcnt(0) lgkmcnt(0)
	v_ashrrev_i32_e32 v3, 31, v2
.LBB6_13673:                            ;   in Loop: Header=BB6_13657 Depth=2
	s_or_b64 exec, exec, s[94:95]
	s_orn2_b64 s[26:27], vcc, exec
.LBB6_13674:                            ;   in Loop: Header=BB6_13657 Depth=2
	s_or_b64 exec, exec, s[92:93]
	s_and_saveexec_b64 s[92:93], s[26:27]
	s_cbranch_execz .LBB6_13676
; %bb.13675:                            ;   in Loop: Header=BB6_13657 Depth=2
	buffer_load_dword v2, off, s[0:3], s33 offset:324 ; 4-byte Folded Reload
	s_waitcnt vmcnt(0)
	v_mad_i64_i32 v[2:3], s[26:27], v6, v2, 0
.LBB6_13676:                            ;   in Loop: Header=BB6_13657 Depth=2
	s_or_b64 exec, exec, s[92:93]
	buffer_load_dword v4, off, s[0:3], s33 offset:284 ; 4-byte Folded Reload
	buffer_load_dword v5, off, s[0:3], s33 offset:288 ; 4-byte Folded Reload
	s_waitcnt vmcnt(0)
	v_add_co_u32_e32 v2, vcc, v4, v2
	v_addc_co_u32_e32 v3, vcc, v5, v3, vcc
	ds_write_b64 v0, v[2:3] offset:720
	buffer_load_dword v2, off, s[0:3], s33 offset:72 ; 4-byte Folded Reload
	s_waitcnt vmcnt(0)
	v_and_b32_e32 v2, 0x2000, v2
	v_cmp_ne_u32_e32 vcc, 0, v2
	s_and_saveexec_b64 s[26:27], vcc
	s_cbranch_execz .LBB6_13678
; %bb.13677:                            ;   in Loop: Header=BB6_13657 Depth=2
	ds_read_b64 v[2:3], v0 offset:872
	s_waitcnt lgkmcnt(0)
	v_add_co_u32_e32 v2, vcc, 1, v2
	v_addc_co_u32_e32 v3, vcc, 0, v3, vcc
	ds_write_b64 v0, v[2:3] offset:872
.LBB6_13678:                            ;   in Loop: Header=BB6_13657 Depth=2
	s_or_b64 exec, exec, s[26:27]
	buffer_store_dword v0, off, s[0:3], s33 offset:84 ; 4-byte Folded Spill
	s_nop 0
	buffer_store_dword v1, off, s[0:3], s33 offset:88 ; 4-byte Folded Spill
.LBB6_13679:                            ;   in Loop: Header=BB6_13657 Depth=2
	s_or_b64 exec, exec, s[90:91]
	s_xor_b64 s[26:27], s[42:43], -1
	s_and_b64 s[26:27], exec, s[26:27]
	s_or_b64 s[40:41], s[26:27], s[40:41]
	s_and_saveexec_b64 s[26:27], s[10:11]
	s_cbranch_execz .LBB6_13698
; %bb.13680:                            ;   in Loop: Header=BB6_13657 Depth=2
	s_and_saveexec_b64 s[42:43], s[58:59]
	s_xor_b64 s[42:43], exec, s[42:43]
	s_cbranch_execz .LBB6_13695
; %bb.13681:                            ;   in Loop: Header=BB6_13657 Depth=2
	s_and_saveexec_b64 s[90:91], s[16:17]
	s_cbranch_execz .LBB6_13694
; %bb.13682:                            ;   in Loop: Header=BB6_13657 Depth=2
	s_mov_b64 s[94:95], exec
	v_mbcnt_lo_u32_b32 v0, s94, 0
	v_mbcnt_hi_u32_b32 v0, s95, v0
	v_cmp_eq_u32_e32 vcc, 0, v0
	s_waitcnt vmcnt(0) lgkmcnt(0)
	buffer_wbinvl1_vol
	s_and_saveexec_b64 s[92:93], vcc
	s_cbranch_execz .LBB6_13684
; %bb.13683:                            ;   in Loop: Header=BB6_13657 Depth=2
	s_bcnt1_i32_b64 s47, s[94:95]
	v_mov_b32_e32 v0, s47
	v_mov_b32_e32 v1, v34
	ds_add_u64 v0, v[0:1]
	s_trap 2
.LBB6_13684:                            ;   in Loop: Header=BB6_13657 Depth=2
	s_or_b64 exec, exec, s[92:93]
	s_trap 2
	ds_read_b64 v[0:1], v0
	s_waitcnt lgkmcnt(0)
	buffer_load_dword v2, off, s[0:3], s33 offset:76 ; 4-byte Folded Reload
	buffer_load_dword v3, off, s[0:3], s33 offset:80 ; 4-byte Folded Reload
	s_waitcnt vmcnt(1)
	v_add_co_u32_e32 v2, vcc, v2, v39
	s_waitcnt vmcnt(0)
	v_addc_co_u32_e32 v3, vcc, 0, v3, vcc
	buffer_store_dword v2, off, s[0:3], s33 offset:76 ; 4-byte Folded Spill
	s_nop 0
	buffer_store_dword v3, off, s[0:3], s33 offset:80 ; 4-byte Folded Spill
	v_cmp_lt_u64_e32 vcc, v[0:1], v[2:3]
	s_and_saveexec_b64 s[92:93], vcc
	s_cbranch_execz .LBB6_13693
; %bb.13685:                            ;   in Loop: Header=BB6_13657 Depth=2
	s_mov_b32 s47, 0
	s_mov_b64 s[94:95], 0
                                        ; implicit-def: $sgpr30_sgpr31
                                        ; implicit-def: $sgpr34_sgpr35
	s_branch .LBB6_13687
.LBB6_13686:                            ;   in Loop: Header=BB6_13687 Depth=3
	s_or_b64 exec, exec, s[38:39]
	s_and_b64 vcc, exec, vcc
	s_or_b64 s[94:95], vcc, s[94:95]
	s_andn2_b64 vcc, s[30:31], exec
	s_and_b64 s[30:31], s[34:35], exec
	s_or_b64 s[30:31], vcc, s[30:31]
	s_andn2_b64 exec, exec, s[94:95]
	s_cbranch_execz .LBB6_13691
.LBB6_13687:                            ;   Parent Loop BB6_47 Depth=1
                                        ;     Parent Loop BB6_13657 Depth=2
                                        ; =>    This Inner Loop Header: Depth=3
	s_add_i32 s47, s47, 1
	s_cmpk_lg_i32 s47, 0x2710
	s_cselect_b64 s[36:37], -1, 0
	s_and_b64 vcc, exec, s[36:37]
	s_cbranch_vccz .LBB6_13689
; %bb.13688:                            ;   in Loop: Header=BB6_13687 Depth=3
	s_mov_b64 vcc, -1
	s_or_b64 s[34:35], s[34:35], exec
	s_and_saveexec_b64 s[38:39], s[36:37]
	s_cbranch_execz .LBB6_13686
	s_branch .LBB6_13690
.LBB6_13689:                            ;   in Loop: Header=BB6_13687 Depth=3
	s_trap 2
	ds_read_b64 v[0:1], v0
	s_andn2_b64 s[36:37], s[36:37], exec
	s_mov_b32 s47, 0
	s_waitcnt vmcnt(0) lgkmcnt(0)
	flat_load_dword v0, v[0:1] glc
	s_waitcnt vmcnt(0) lgkmcnt(0)
	buffer_wbinvl1_vol
	v_cmp_eq_u32_e32 vcc, 0, v0
	s_and_b64 vcc, vcc, exec
	s_or_b64 s[36:37], s[36:37], vcc
	s_mov_b64 vcc, -1
	s_or_b64 s[34:35], s[34:35], exec
	s_and_saveexec_b64 s[38:39], s[36:37]
	s_cbranch_execz .LBB6_13686
.LBB6_13690:                            ;   in Loop: Header=BB6_13687 Depth=3
	s_sleep 1
	s_trap 2
	ds_read_b64 v[0:1], v0
	s_waitcnt lgkmcnt(0)
	buffer_load_dword v2, off, s[0:3], s33 offset:76 ; 4-byte Folded Reload
	buffer_load_dword v3, off, s[0:3], s33 offset:80 ; 4-byte Folded Reload
	s_andn2_b64 s[34:35], s[34:35], exec
	s_waitcnt vmcnt(0)
	v_cmp_ge_u64_e32 vcc, v[0:1], v[2:3]
	s_orn2_b64 vcc, vcc, exec
	s_branch .LBB6_13686
.LBB6_13691:                            ;   in Loop: Header=BB6_13657 Depth=2
	s_or_b64 exec, exec, s[94:95]
	s_and_saveexec_b64 s[94:95], s[30:31]
	s_xor_b64 s[94:95], exec, s[94:95]
	s_cbranch_execz .LBB6_13693
; %bb.13692:                            ;   in Loop: Header=BB6_13657 Depth=2
	v_mov_b32_e32 v0, 1
	ds_write_b32 v0, v0
	s_trap 2
.LBB6_13693:                            ;   in Loop: Header=BB6_13657 Depth=2
	s_or_b64 exec, exec, s[92:93]
	;;#ASMSTART
	s_wakeup
	;;#ASMEND
.LBB6_13694:                            ;   in Loop: Header=BB6_13657 Depth=2
	s_or_b64 exec, exec, s[90:91]
.LBB6_13695:                            ;   in Loop: Header=BB6_13657 Depth=2
	s_andn2_saveexec_b64 s[42:43], s[42:43]
	s_cbranch_execz .LBB6_13697
; %bb.13696:                            ;   in Loop: Header=BB6_13657 Depth=2
	s_waitcnt vmcnt(0) lgkmcnt(0)
	buffer_wbinvl1_vol
	s_barrier
.LBB6_13697:                            ;   in Loop: Header=BB6_13657 Depth=2
	s_or_b64 exec, exec, s[42:43]
.LBB6_13698:                            ;   in Loop: Header=BB6_13657 Depth=2
	s_or_b64 exec, exec, s[26:27]
	v_sub_u32_e32 v0, v8, v10
	v_min_i32_e32 v9, v9, v0
	s_and_saveexec_b64 s[26:27], s[24:25]
	s_xor_b64 s[26:27], exec, s[26:27]
	s_cbranch_execz .LBB6_13702
; %bb.13699:                            ;   in Loop: Header=BB6_13657 Depth=2
	s_trap 2
	ds_read_b32 v0, v0
	v_cmp_lt_i32_e32 vcc, 0, v9
	s_waitcnt lgkmcnt(0)
	v_readfirstlane_b32 s42, v0
	buffer_load_dword v0, off, s[0:3], s33 offset:72 ; 4-byte Folded Reload
	s_cmp_eq_u32 s42, 0
	s_cselect_b64 s[42:43], -1, 0
	s_and_b64 s[42:43], vcc, s[42:43]
	s_waitcnt vmcnt(0)
	v_and_b32_e32 v0, 16, v0
	v_cmp_ne_u32_e32 vcc, 0, v0
	s_and_b64 s[90:91], vcc, s[42:43]
	s_and_saveexec_b64 s[42:43], s[90:91]
	s_cbranch_execz .LBB6_13701
; %bb.13700:                            ;   in Loop: Header=BB6_13657 Depth=2
	buffer_wbinvl1_vol
.LBB6_13701:                            ;   in Loop: Header=BB6_13657 Depth=2
	s_or_b64 exec, exec, s[42:43]
.LBB6_13702:                            ;   in Loop: Header=BB6_13657 Depth=2
	s_andn2_saveexec_b64 s[26:27], s[26:27]
	s_cbranch_execz .LBB6_13721
; %bb.13703:                            ;   in Loop: Header=BB6_13657 Depth=2
	s_and_saveexec_b64 s[42:43], s[58:59]
	s_xor_b64 s[42:43], exec, s[42:43]
	s_cbranch_execz .LBB6_13718
; %bb.13704:                            ;   in Loop: Header=BB6_13657 Depth=2
	s_and_saveexec_b64 s[90:91], s[16:17]
	s_cbranch_execz .LBB6_13717
; %bb.13705:                            ;   in Loop: Header=BB6_13657 Depth=2
	s_mov_b64 s[94:95], exec
	v_mbcnt_lo_u32_b32 v0, s94, 0
	v_mbcnt_hi_u32_b32 v0, s95, v0
	v_cmp_eq_u32_e32 vcc, 0, v0
	;;#ASMSTART
	s_waitcnt lgkmcnt(0) vmcnt(0)
	;;#ASMEND
	s_and_saveexec_b64 s[92:93], vcc
	s_cbranch_execz .LBB6_13707
; %bb.13706:                            ;   in Loop: Header=BB6_13657 Depth=2
	s_bcnt1_i32_b64 s47, s[94:95]
	v_mov_b32_e32 v0, s47
	v_mov_b32_e32 v1, v34
	s_waitcnt lgkmcnt(0)
	ds_add_u64 v0, v[0:1]
	s_trap 2
.LBB6_13707:                            ;   in Loop: Header=BB6_13657 Depth=2
	s_or_b64 exec, exec, s[92:93]
	s_trap 2
	ds_read_b64 v[0:1], v0
	s_waitcnt lgkmcnt(0)
	buffer_load_dword v2, off, s[0:3], s33 offset:76 ; 4-byte Folded Reload
	buffer_load_dword v3, off, s[0:3], s33 offset:80 ; 4-byte Folded Reload
	s_waitcnt vmcnt(1)
	v_add_co_u32_e32 v2, vcc, v2, v39
	s_waitcnt vmcnt(0)
	v_addc_co_u32_e32 v3, vcc, 0, v3, vcc
	buffer_store_dword v2, off, s[0:3], s33 offset:76 ; 4-byte Folded Spill
	s_nop 0
	buffer_store_dword v3, off, s[0:3], s33 offset:80 ; 4-byte Folded Spill
	v_cmp_lt_u64_e32 vcc, v[0:1], v[2:3]
	s_and_saveexec_b64 s[92:93], vcc
	s_cbranch_execz .LBB6_13716
; %bb.13708:                            ;   in Loop: Header=BB6_13657 Depth=2
	s_mov_b32 s47, 0
	s_mov_b64 s[94:95], 0
                                        ; implicit-def: $sgpr30_sgpr31
                                        ; implicit-def: $sgpr34_sgpr35
	s_branch .LBB6_13710
.LBB6_13709:                            ;   in Loop: Header=BB6_13710 Depth=3
	s_or_b64 exec, exec, s[38:39]
	s_and_b64 vcc, exec, vcc
	s_or_b64 s[94:95], vcc, s[94:95]
	s_andn2_b64 vcc, s[30:31], exec
	s_and_b64 s[30:31], s[34:35], exec
	s_or_b64 s[30:31], vcc, s[30:31]
	s_andn2_b64 exec, exec, s[94:95]
	s_cbranch_execz .LBB6_13714
.LBB6_13710:                            ;   Parent Loop BB6_47 Depth=1
                                        ;     Parent Loop BB6_13657 Depth=2
                                        ; =>    This Inner Loop Header: Depth=3
	s_add_i32 s47, s47, 1
	s_cmpk_lg_i32 s47, 0x2710
	s_cselect_b64 s[36:37], -1, 0
	s_and_b64 vcc, exec, s[36:37]
	s_cbranch_vccz .LBB6_13712
; %bb.13711:                            ;   in Loop: Header=BB6_13710 Depth=3
	s_mov_b64 vcc, -1
	s_or_b64 s[34:35], s[34:35], exec
	s_and_saveexec_b64 s[38:39], s[36:37]
	s_cbranch_execz .LBB6_13709
	s_branch .LBB6_13713
.LBB6_13712:                            ;   in Loop: Header=BB6_13710 Depth=3
	s_trap 2
	ds_read_b64 v[0:1], v0
	s_andn2_b64 s[36:37], s[36:37], exec
	s_mov_b32 s47, 0
	s_waitcnt vmcnt(0) lgkmcnt(0)
	flat_load_dword v0, v[0:1] glc
	s_waitcnt vmcnt(0) lgkmcnt(0)
	buffer_wbinvl1_vol
	v_cmp_eq_u32_e32 vcc, 0, v0
	s_and_b64 vcc, vcc, exec
	s_or_b64 s[36:37], s[36:37], vcc
	s_mov_b64 vcc, -1
	s_or_b64 s[34:35], s[34:35], exec
	s_and_saveexec_b64 s[38:39], s[36:37]
	s_cbranch_execz .LBB6_13709
.LBB6_13713:                            ;   in Loop: Header=BB6_13710 Depth=3
	s_sleep 1
	s_trap 2
	ds_read_b64 v[0:1], v0
	s_waitcnt lgkmcnt(0)
	buffer_load_dword v2, off, s[0:3], s33 offset:76 ; 4-byte Folded Reload
	buffer_load_dword v3, off, s[0:3], s33 offset:80 ; 4-byte Folded Reload
	s_andn2_b64 s[34:35], s[34:35], exec
	s_waitcnt vmcnt(0)
	v_cmp_ge_u64_e32 vcc, v[0:1], v[2:3]
	s_orn2_b64 vcc, vcc, exec
	s_branch .LBB6_13709
.LBB6_13714:                            ;   in Loop: Header=BB6_13657 Depth=2
	s_or_b64 exec, exec, s[94:95]
	s_and_saveexec_b64 s[94:95], s[30:31]
	s_xor_b64 s[94:95], exec, s[94:95]
	s_cbranch_execz .LBB6_13716
; %bb.13715:                            ;   in Loop: Header=BB6_13657 Depth=2
	v_mov_b32_e32 v0, 1
	ds_write_b32 v0, v0
	s_trap 2
.LBB6_13716:                            ;   in Loop: Header=BB6_13657 Depth=2
	s_or_b64 exec, exec, s[92:93]
	;;#ASMSTART
	s_wakeup
	;;#ASMEND
.LBB6_13717:                            ;   in Loop: Header=BB6_13657 Depth=2
	s_or_b64 exec, exec, s[90:91]
.LBB6_13718:                            ;   in Loop: Header=BB6_13657 Depth=2
	s_andn2_saveexec_b64 s[42:43], s[42:43]
	s_cbranch_execz .LBB6_13720
; %bb.13719:                            ;   in Loop: Header=BB6_13657 Depth=2
	;;#ASMSTART
	s_waitcnt lgkmcnt(0) vmcnt(0)
	;;#ASMEND
	s_waitcnt vmcnt(0) lgkmcnt(0)
	s_barrier
.LBB6_13720:                            ;   in Loop: Header=BB6_13657 Depth=2
	s_or_b64 exec, exec, s[42:43]
.LBB6_13721:                            ;   in Loop: Header=BB6_13657 Depth=2
	s_or_b64 exec, exec, s[26:27]
	buffer_load_dword v0, off, s[0:3], s33 offset:72 ; 4-byte Folded Reload
	s_waitcnt vmcnt(0)
	v_and_b32_e32 v0, 32, v0
	v_cmp_ne_u32_e32 vcc, 0, v0
	s_and_saveexec_b64 s[26:27], vcc
	s_cbranch_execz .LBB6_13656
; %bb.13722:                            ;   in Loop: Header=BB6_13657 Depth=2
	buffer_load_dword v2, off, s[0:3], s33 offset:84 ; 4-byte Folded Reload
	buffer_load_dword v3, off, s[0:3], s33 offset:88 ; 4-byte Folded Reload
	;; [unrolled: 1-line block ×4, first 2 shown]
	s_waitcnt vmcnt(0)
	v_add_co_u32_e32 v2, vcc, 2, v2
	v_addc_co_u32_e32 v3, vcc, 0, v3, vcc
	buffer_store_dword v2, off, s[0:3], s33 offset:84 ; 4-byte Folded Spill
	s_nop 0
	buffer_store_dword v3, off, s[0:3], s33 offset:88 ; 4-byte Folded Spill
	flat_store_dwordx2 v[0:1], v[2:3]
	s_branch .LBB6_13656
.LBB6_13723:
	s_or_b64 exec, exec, s[60:61]
	buffer_load_dword v1, off, s[0:3], s33 offset:572 ; 4-byte Folded Reload
	buffer_load_dword v31, off, s[0:3], s33 offset:576 ; 4-byte Folded Reload
	v_readlane_b32 s28, v62, 4
	v_readlane_b32 s29, v62, 5
.LBB6_13724:
	v_readlane_b32 s4, v62, 2
	v_readlane_b32 s5, v62, 3
	s_or_b64 exec, exec, s[4:5]
	buffer_load_dword v2, off, s[0:3], s33 offset:72 ; 4-byte Folded Reload
	s_waitcnt vmcnt(0)
	v_and_b32_e32 v0, 0x800, v2
	v_cmp_eq_u32_e32 vcc, 0, v0
	s_and_saveexec_b64 s[6:7], vcc
	s_cbranch_execz .LBB6_13757
; %bb.13725:
	v_and_b32_e32 v0, 48, v2
	v_cmp_ne_u32_e32 vcc, 0, v0
	s_and_saveexec_b64 s[4:5], vcc
	s_cbranch_execz .LBB6_13727
; %bb.13726:
	buffer_load_dword v2, off, s[0:3], s33 offset:560 ; 4-byte Folded Reload
	buffer_load_dword v3, off, s[0:3], s33 offset:564 ; 4-byte Folded Reload
	;; [unrolled: 1-line block ×4, first 2 shown]
	s_waitcnt vmcnt(0)
	flat_store_dwordx2 v[2:3], v[4:5] offset:104
.LBB6_13727:
	s_or_b64 exec, exec, s[4:5]
	buffer_load_dword v7, off, s[0:3], s33 offset:72 ; 4-byte Folded Reload
	s_movk_i32 s4, 0x88
	s_waitcnt vmcnt(0)
	v_and_b32_e32 v0, 0x88, v7
	v_cmp_eq_u32_e32 vcc, s4, v0
	s_and_saveexec_b64 s[10:11], vcc
	s_cbranch_execz .LBB6_13737
; %bb.13728:
	buffer_load_dword v2, off, s[0:3], s33 offset:84 ; 4-byte Folded Reload
	buffer_load_dword v3, off, s[0:3], s33 offset:88 ; 4-byte Folded Reload
	s_mov_b32 s8, 0
	s_waitcnt vmcnt(0)
	v_add_u32_e32 v0, 6, v2
	buffer_load_dword v2, off, s[0:3], s33 offset:292 ; 4-byte Folded Reload
	buffer_load_dword v3, off, s[0:3], s33 offset:296 ; 4-byte Folded Reload
	;; [unrolled: 1-line block ×4, first 2 shown]
	v_and_b32_e32 v0, 7, v0
	s_waitcnt vmcnt(0)
	v_and_b32_e32 v4, 64, v7
	v_mad_u64_u32 v[5:6], s[4:5], v0, 24, v[2:3]
	v_cmp_eq_u32_e64 s[4:5], 0, v4
	flat_load_dwordx2 v[2:3], v[5:6] offset:8 glc
	s_waitcnt vmcnt(0) lgkmcnt(0)
	v_cmp_ne_u64_e32 vcc, -1, v[2:3]
	s_and_b64 s[4:5], vcc, s[4:5]
	s_and_b64 exec, exec, s[4:5]
	s_cbranch_execz .LBB6_13737
; %bb.13729:
	s_mov_b64 s[4:5], 0
                                        ; implicit-def: $sgpr12_sgpr13
                                        ; implicit-def: $sgpr14_sgpr15
	s_branch .LBB6_13732
.LBB6_13730:                            ;   in Loop: Header=BB6_13732 Depth=1
	flat_load_dwordx2 v[3:4], v[5:6] offset:8 glc
	s_waitcnt vmcnt(0)
	s_andn2_b64 s[14:15], s[14:15], exec
	s_waitcnt lgkmcnt(0)
	v_cmp_eq_u64_e32 vcc, -1, v[3:4]
	s_orn2_b64 s[18:19], vcc, exec
.LBB6_13731:                            ;   in Loop: Header=BB6_13732 Depth=1
	s_or_b64 exec, exec, s[20:21]
	s_and_b64 s[16:17], exec, s[18:19]
	s_or_b64 s[4:5], s[16:17], s[4:5]
	s_andn2_b64 s[12:13], s[12:13], exec
	s_and_b64 s[16:17], s[14:15], exec
	s_or_b64 s[12:13], s[12:13], s[16:17]
	s_andn2_b64 exec, exec, s[4:5]
	s_cbranch_execz .LBB6_13735
.LBB6_13732:                            ; =>This Inner Loop Header: Depth=1
	s_cmpk_lt_i32 s8, 0x270f
	s_cselect_b64 s[16:17], -1, 0
	s_and_b64 vcc, exec, s[16:17]
	s_cbranch_vccnz .LBB6_13734
; %bb.13733:                            ;   in Loop: Header=BB6_13732 Depth=1
	s_trap 2
	ds_read_b64 v[2:3], v0
	s_andn2_b64 s[16:17], s[16:17], exec
	s_mov_b32 s8, 0
	s_waitcnt lgkmcnt(0)
	flat_load_dword v2, v[2:3] glc
	s_waitcnt vmcnt(0) lgkmcnt(0)
	buffer_wbinvl1_vol
	v_cmp_eq_u32_e32 vcc, 0, v2
	s_and_b64 s[18:19], vcc, exec
	s_or_b64 s[16:17], s[16:17], s[18:19]
	s_mov_b64 s[18:19], -1
	s_or_b64 s[14:15], s[14:15], exec
	s_and_saveexec_b64 s[20:21], s[16:17]
	s_cbranch_execz .LBB6_13731
	s_branch .LBB6_13730
.LBB6_13734:                            ;   in Loop: Header=BB6_13732 Depth=1
	s_add_i32 s8, s8, 1
                                        ; implicit-def: $vgpr2
	s_mov_b64 s[18:19], -1
	s_or_b64 s[14:15], s[14:15], exec
	s_and_saveexec_b64 s[20:21], s[16:17]
	s_cbranch_execz .LBB6_13731
	s_branch .LBB6_13730
.LBB6_13735:
	s_or_b64 exec, exec, s[4:5]
	s_mov_b64 s[4:5], exec
	buffer_load_dword v7, off, s[0:3], s33 offset:72 ; 4-byte Folded Reload
	s_and_b64 s[8:9], s[4:5], s[12:13]
	s_xor_b64 s[4:5], s[8:9], s[4:5]
	s_mov_b64 exec, s[8:9]
	s_cbranch_execz .LBB6_13737
; %bb.13736:
	ds_write_b32 v0, v2
	s_trap 2
.LBB6_13737:
	s_or_b64 exec, exec, s[10:11]
	s_waitcnt vmcnt(0)
	v_and_b32_e32 v0, 0x2000, v7
	v_cmp_ne_u32_e32 vcc, 0, v0
	s_and_saveexec_b64 s[4:5], vcc
	s_cbranch_execz .LBB6_13739
; %bb.13738:
	s_trap 2
	ds_read_b64 v[2:3], v0
	buffer_load_dword v4, off, s[0:3], s33 offset:580 ; 4-byte Folded Reload
	buffer_load_dword v5, off, s[0:3], s33 offset:584 ; 4-byte Folded Reload
	s_waitcnt vmcnt(0) lgkmcnt(0)
	flat_store_dwordx2 v[4:5], v[2:3] offset:16
.LBB6_13739:
	s_or_b64 exec, exec, s[4:5]
	v_cmp_ne_u32_e32 vcc, 64, v1
	s_and_b64 exec, exec, vcc
	s_cbranch_execz .LBB6_13757
; %bb.13740:
	buffer_load_dword v0, off, s[0:3], s33 offset:568 ; 4-byte Folded Reload
	s_waitcnt vmcnt(0)
	v_cmp_ne_u32_sdwa s[4:5], v1, v0 src0_sel:DWORD src1_sel:WORD_0
	s_and_saveexec_b64 s[8:9], s[4:5]
	s_xor_b64 s[4:5], exec, s[8:9]
	s_cbranch_execz .LBB6_13755
; %bb.13741:
	v_and_b32_e32 v0, 63, v31
	v_cmp_eq_u32_e32 vcc, 0, v0
	s_and_saveexec_b64 s[10:11], vcc
	s_cbranch_execz .LBB6_13754
; %bb.13742:
	s_mov_b64 s[14:15], exec
	v_mbcnt_lo_u32_b32 v0, s14, 0
	v_mbcnt_hi_u32_b32 v0, s15, v0
	v_cmp_eq_u32_e32 vcc, 0, v0
	s_waitcnt lgkmcnt(0)
	buffer_wbinvl1_vol
	s_and_saveexec_b64 s[12:13], vcc
	s_cbranch_execz .LBB6_13744
; %bb.13743:
	s_bcnt1_i32_b64 s8, s[14:15]
	v_mov_b32_e32 v2, s8
	v_mov_b32_e32 v3, 0
	ds_add_u64 v0, v[2:3]
	s_trap 2
.LBB6_13744:
	s_or_b64 exec, exec, s[12:13]
	v_lshrrev_b32_e32 v0, 6, v1
	s_trap 2
	ds_read_b64 v[2:3], v0
	s_waitcnt lgkmcnt(0)
	buffer_load_dword v4, off, s[0:3], s33 offset:76 ; 4-byte Folded Reload
	buffer_load_dword v5, off, s[0:3], s33 offset:80 ; 4-byte Folded Reload
	s_waitcnt vmcnt(1)
	v_add_co_u32_e32 v0, vcc, v4, v0
	s_waitcnt vmcnt(0)
	v_addc_co_u32_e32 v1, vcc, 0, v5, vcc
	v_cmp_lt_u64_e32 vcc, v[2:3], v[0:1]
	s_and_saveexec_b64 s[12:13], vcc
	s_cbranch_execz .LBB6_13753
; %bb.13745:
	s_mov_b32 s8, 0
	s_mov_b64 s[14:15], 0
                                        ; implicit-def: $sgpr16_sgpr17
                                        ; implicit-def: $sgpr18_sgpr19
	s_branch .LBB6_13747
.LBB6_13746:                            ;   in Loop: Header=BB6_13747 Depth=1
	s_or_b64 exec, exec, s[22:23]
	s_and_b64 s[20:21], exec, s[24:25]
	s_or_b64 s[14:15], s[20:21], s[14:15]
	s_andn2_b64 s[16:17], s[16:17], exec
	s_and_b64 s[20:21], s[18:19], exec
	s_or_b64 s[16:17], s[16:17], s[20:21]
	s_andn2_b64 exec, exec, s[14:15]
	s_cbranch_execz .LBB6_13751
.LBB6_13747:                            ; =>This Inner Loop Header: Depth=1
	s_add_i32 s8, s8, 1
	s_cmpk_lg_i32 s8, 0x2710
	s_cselect_b64 s[20:21], -1, 0
	s_and_b64 vcc, exec, s[20:21]
	s_cbranch_vccz .LBB6_13749
; %bb.13748:                            ;   in Loop: Header=BB6_13747 Depth=1
	s_mov_b64 s[24:25], -1
	s_or_b64 s[18:19], s[18:19], exec
	s_and_saveexec_b64 s[22:23], s[20:21]
	s_cbranch_execz .LBB6_13746
	s_branch .LBB6_13750
.LBB6_13749:                            ;   in Loop: Header=BB6_13747 Depth=1
	s_trap 2
	ds_read_b64 v[2:3], v0
	s_andn2_b64 s[20:21], s[20:21], exec
	s_mov_b32 s8, 0
	s_waitcnt lgkmcnt(0)
	flat_load_dword v2, v[2:3] glc
	s_waitcnt vmcnt(0) lgkmcnt(0)
	buffer_wbinvl1_vol
	v_cmp_eq_u32_e32 vcc, 0, v2
	s_and_b64 s[22:23], vcc, exec
	s_or_b64 s[20:21], s[20:21], s[22:23]
	s_mov_b64 s[24:25], -1
	s_or_b64 s[18:19], s[18:19], exec
	s_and_saveexec_b64 s[22:23], s[20:21]
	s_cbranch_execz .LBB6_13746
.LBB6_13750:                            ;   in Loop: Header=BB6_13747 Depth=1
	s_sleep 1
	s_trap 2
	ds_read_b64 v[2:3], v0
	s_waitcnt lgkmcnt(0)
	s_andn2_b64 s[18:19], s[18:19], exec
	v_cmp_ge_u64_e32 vcc, v[2:3], v[0:1]
	s_orn2_b64 s[24:25], vcc, exec
	s_branch .LBB6_13746
.LBB6_13751:
	s_or_b64 exec, exec, s[14:15]
	s_and_saveexec_b64 s[8:9], s[16:17]
	s_xor_b64 s[8:9], exec, s[8:9]
	s_cbranch_execz .LBB6_13753
; %bb.13752:
	v_mov_b32_e32 v0, 1
	ds_write_b32 v0, v0
	s_trap 2
.LBB6_13753:
	s_or_b64 exec, exec, s[12:13]
	;;#ASMSTART
	s_wakeup
	;;#ASMEND
.LBB6_13754:
	s_or_b64 exec, exec, s[10:11]
.LBB6_13755:
	s_andn2_saveexec_b64 s[4:5], s[4:5]
	s_cbranch_execz .LBB6_13757
; %bb.13756:
	s_waitcnt lgkmcnt(0)
	buffer_wbinvl1_vol
	s_barrier
.LBB6_13757:
	s_or_b64 exec, exec, s[6:7]
.LBB6_13758:
	v_readlane_b32 s4, v62, 0
	v_readlane_b32 s5, v62, 1
	s_andn2_saveexec_b64 s[26:27], s[4:5]
	s_cbranch_execz .LBB6_13760
; %bb.13759:
	s_getpc_b64 s[4:5]
	s_add_u32 s4, s4, __PRETTY_FUNCTION__._ZN10PrimitivesI14__hip_fp8_e5m28FuncProdIS0_E12FanSymmetricILi1EELi0E11ProtoSimpleILi2ELi2ELi0ELi4ELi0ELi0EELi0ELb0ELi0ELi0ELi0EEC2EiiPKiS9_PKvPvmhhhP15ncclDevWorkCollP14ncclDevWorkP2pii@rel32@lo+4
	s_addc_u32 s5, s5, __PRETTY_FUNCTION__._ZN10PrimitivesI14__hip_fp8_e5m28FuncProdIS0_E12FanSymmetricILi1EELi0E11ProtoSimpleILi2ELi2ELi0ELi4ELi0ELi0EELi0ELb0ELi0ELi0ELi0EEC2EiiPKiS9_PKvPvmhhhP15ncclDevWorkCollP14ncclDevWorkP2pii@rel32@hi+12
	s_getpc_b64 s[6:7]
	s_add_u32 s6, s6, __assert_fail@rel32@lo+4
	s_addc_u32 s7, s7, __assert_fail@rel32@hi+12
	s_mov_b64 s[8:9], s[28:29]
	v_mov_b32_e32 v0, s4
	v_mov_b32_e32 v1, s5
	s_swappc_b64 s[30:31], s[6:7]
	; divergent unreachable
.LBB6_13760:
	s_or_b64 exec, exec, s[26:27]
	buffer_load_dword v61, off, s[0:3], s33 ; 4-byte Folded Reload
	buffer_load_dword v60, off, s[0:3], s33 offset:4 ; 4-byte Folded Reload
	buffer_load_dword v59, off, s[0:3], s33 offset:8 ; 4-byte Folded Reload
	;; [unrolled: 1-line block ×13, first 2 shown]
	v_readlane_b32 s30, v63, 32
	v_readlane_b32 s31, v63, 33
	;; [unrolled: 1-line block ×34, first 2 shown]
	s_mov_b32 s32, s33
	v_readlane_b32 s4, v63, 34
	s_or_saveexec_b64 s[6:7], -1
	buffer_load_dword v63, off, s[0:3], s33 offset:588 ; 4-byte Folded Reload
	buffer_load_dword v62, off, s[0:3], s33 offset:592 ; 4-byte Folded Reload
	s_mov_b64 exec, s[6:7]
	s_mov_b32 s33, s4
	s_waitcnt vmcnt(0) lgkmcnt(0)
	s_setpc_b64 s[30:31]
.Lfunc_end6:
	.size	_ZN12_GLOBAL__N_17runRingI14__hip_fp8_e5m28FuncProdIS1_E11ProtoSimpleILi2ELi2ELi0ELi4ELi0ELi0EELi0ELi0ELi4ELi0EEEviiP15ncclDevWorkColl, .Lfunc_end6-_ZN12_GLOBAL__N_17runRingI14__hip_fp8_e5m28FuncProdIS1_E11ProtoSimpleILi2ELi2ELi0ELi4ELi0ELi0EELi0ELi0ELi4ELi0EEEviiP15ncclDevWorkColl
                                        ; -- End function
	.set .L_ZN12_GLOBAL__N_17runRingI14__hip_fp8_e5m28FuncProdIS1_E11ProtoSimpleILi2ELi2ELi0ELi4ELi0ELi0EELi0ELi0ELi4ELi0EEEviiP15ncclDevWorkColl.num_vgpr, max(64, .L__assert_fail.num_vgpr)
	.set .L_ZN12_GLOBAL__N_17runRingI14__hip_fp8_e5m28FuncProdIS1_E11ProtoSimpleILi2ELi2ELi0ELi4ELi0ELi0EELi0ELi0ELi4ELi0EEEviiP15ncclDevWorkColl.num_agpr, max(0, .L__assert_fail.num_agpr)
	.set .L_ZN12_GLOBAL__N_17runRingI14__hip_fp8_e5m28FuncProdIS1_E11ProtoSimpleILi2ELi2ELi0ELi4ELi0ELi0EELi0ELi0ELi4ELi0EEEviiP15ncclDevWorkColl.numbered_sgpr, max(100, .L__assert_fail.numbered_sgpr)
	.set .L_ZN12_GLOBAL__N_17runRingI14__hip_fp8_e5m28FuncProdIS1_E11ProtoSimpleILi2ELi2ELi0ELi4ELi0ELi0EELi0ELi0ELi4ELi0EEEviiP15ncclDevWorkColl.num_named_barrier, max(0, .L__assert_fail.num_named_barrier)
	.set .L_ZN12_GLOBAL__N_17runRingI14__hip_fp8_e5m28FuncProdIS1_E11ProtoSimpleILi2ELi2ELi0ELi4ELi0ELi0EELi0ELi0ELi4ELi0EEEviiP15ncclDevWorkColl.private_seg_size, 608+max(.L__assert_fail.private_seg_size)
	.set .L_ZN12_GLOBAL__N_17runRingI14__hip_fp8_e5m28FuncProdIS1_E11ProtoSimpleILi2ELi2ELi0ELi4ELi0ELi0EELi0ELi0ELi4ELi0EEEviiP15ncclDevWorkColl.uses_vcc, or(1, .L__assert_fail.uses_vcc)
	.set .L_ZN12_GLOBAL__N_17runRingI14__hip_fp8_e5m28FuncProdIS1_E11ProtoSimpleILi2ELi2ELi0ELi4ELi0ELi0EELi0ELi0ELi4ELi0EEEviiP15ncclDevWorkColl.uses_flat_scratch, or(0, .L__assert_fail.uses_flat_scratch)
	.set .L_ZN12_GLOBAL__N_17runRingI14__hip_fp8_e5m28FuncProdIS1_E11ProtoSimpleILi2ELi2ELi0ELi4ELi0ELi0EELi0ELi0ELi4ELi0EEEviiP15ncclDevWorkColl.has_dyn_sized_stack, or(0, .L__assert_fail.has_dyn_sized_stack)
	.set .L_ZN12_GLOBAL__N_17runRingI14__hip_fp8_e5m28FuncProdIS1_E11ProtoSimpleILi2ELi2ELi0ELi4ELi0ELi0EELi0ELi0ELi4ELi0EEEviiP15ncclDevWorkColl.has_recursion, or(1, .L__assert_fail.has_recursion)
	.set .L_ZN12_GLOBAL__N_17runRingI14__hip_fp8_e5m28FuncProdIS1_E11ProtoSimpleILi2ELi2ELi0ELi4ELi0ELi0EELi0ELi0ELi4ELi0EEEviiP15ncclDevWorkColl.has_indirect_call, or(0, .L__assert_fail.has_indirect_call)
	.section	.AMDGPU.csdata,"",@progbits
; Function info:
; codeLenInByte = 392592
; TotalNumSgprs: 104
; NumVgprs: 64
; ScratchSize: 672
; MemoryBound: 1
	.text
	.p2align	2                               ; -- Begin function _Z51ncclDevFunc_AllReduce_RING_SIMPLE_Prod_f8e5m2_0_0_4v
	.type	_Z51ncclDevFunc_AllReduce_RING_SIMPLE_Prod_f8e5m2_0_0_4v,@function
_Z51ncclDevFunc_AllReduce_RING_SIMPLE_Prod_f8e5m2_0_0_4v: ; @_Z51ncclDevFunc_AllReduce_RING_SIMPLE_Prod_f8e5m2_0_0_4v
; %bb.0:
	s_waitcnt vmcnt(0) expcnt(0) lgkmcnt(0)
	s_mov_b32 s4, s33
	s_mov_b32 s33, s32
	s_or_saveexec_b64 s[6:7], -1
	buffer_store_dword v43, off, s[0:3], s33 offset:20 ; 4-byte Folded Spill
	buffer_store_dword v44, off, s[0:3], s33 offset:24 ; 4-byte Folded Spill
	s_mov_b64 exec, s[6:7]
	v_writelane_b32 v44, s4, 38
	v_writelane_b32 v44, s100, 36
	;; [unrolled: 1-line block ×3, first 2 shown]
	s_addk_i32 s32, 0x800
	buffer_store_dword v40, off, s[0:3], s33 offset:12 ; 4-byte Folded Spill
	buffer_store_dword v41, off, s[0:3], s33 offset:8 ; 4-byte Folded Spill
	;; [unrolled: 1-line block ×3, first 2 shown]
	buffer_store_dword v62, off, s[0:3], s33 ; 4-byte Folded Spill
	v_writelane_b32 v44, s34, 0
	v_writelane_b32 v44, s35, 1
	;; [unrolled: 1-line block ×36, first 2 shown]
	s_trap 2
	ds_read_b32 v0, v0
                                        ; implicit-def: $vgpr43 : SGPR spill to VGPR lane
	v_mov_b32_e32 v40, v31
	v_writelane_b32 v43, s12, 0
	v_writelane_b32 v43, s8, 1
	;; [unrolled: 1-line block ×3, first 2 shown]
	s_waitcnt lgkmcnt(0)
	v_cmp_gt_i32_e32 vcc, 1, v0
	s_cbranch_vccnz .LBB7_8
; %bb.1:
	s_mov_b32 s6, 0
	v_and_b32_e32 v41, 0x3ff, v40
	v_mov_b32_e32 v42, 6
	s_branch .LBB7_3
.LBB7_2:                                ;   in Loop: Header=BB7_3 Depth=1
	s_or_b64 exec, exec, s[8:9]
	s_trap 2
	ds_read_b32 v0, v0
	s_add_i32 s6, s6, 1
	s_waitcnt lgkmcnt(0)
	v_cmp_lt_i32_e32 vcc, s6, v0
	s_cbranch_vccz .LBB7_8
.LBB7_3:                                ; =>This Inner Loop Header: Depth=1
	s_trap 2
	ds_read_b32 v0, v0
	s_cmp_eq_u32 s6, 0
	s_cbranch_scc1 .LBB7_6
; %bb.4:                                ;   in Loop: Header=BB7_3 Depth=1
	s_trap 2
	s_waitcnt lgkmcnt(0)
	ds_read_b32 v1, v0
	s_waitcnt lgkmcnt(0)
	v_xor_b32_e32 v1, v1, v0
	v_and_b32_e32 v1, 0xff0000, v1
	v_cmp_eq_u32_e32 vcc, 0, v1
	s_cbranch_vccnz .LBB7_6
; %bb.5:                                ;   in Loop: Header=BB7_3 Depth=1
	s_waitcnt vmcnt(0)
	s_barrier
	ds_read_b32 v0, v0
.LBB7_6:                                ;   in Loop: Header=BB7_3 Depth=1
	s_waitcnt lgkmcnt(0)
	v_lshlrev_b32_sdwa v1, v42, v0 dst_sel:DWORD dst_unused:UNUSED_PAD src0_sel:DWORD src1_sel:BYTE_2
	v_cmp_lt_u32_e32 vcc, v41, v1
	s_and_saveexec_b64 s[8:9], vcc
	s_cbranch_execz .LBB7_2
; %bb.7:                                ;   in Loop: Header=BB7_3 Depth=1
	v_writelane_b32 v43, s6, 3
	v_writelane_b32 v43, s8, 4
	s_mov_b64 s[4:5], src_shared_base
	s_getpc_b64 s[6:7]
	s_add_u32 s6, s6, _ZN12_GLOBAL__N_17runRingI14__hip_fp8_e5m28FuncProdIS1_E11ProtoSimpleILi2ELi2ELi0ELi4ELi0ELi0EELi0ELi0ELi4ELi0EEEviiP15ncclDevWorkColl@rel32@lo+4
	s_addc_u32 s7, s7, _ZN12_GLOBAL__N_17runRingI14__hip_fp8_e5m28FuncProdIS1_E11ProtoSimpleILi2ELi2ELi0ELi4ELi0ELi0EELi0ELi0ELi4ELi0EEEviiP15ncclDevWorkColl@rel32@hi+12
	v_writelane_b32 v43, s9, 5
	s_or_saveexec_b64 s[100:101], -1
	buffer_store_dword v43, off, s[0:3], s33 offset:16 ; 4-byte Folded Spill
	s_mov_b64 exec, s[100:101]
	v_readlane_b32 s8, v43, 1
	v_readlane_b32 s9, v43, 2
	;; [unrolled: 1-line block ×3, first 2 shown]
	v_mov_b32_e32 v31, v40
	v_mov_b32_e32 v0, v41
	;; [unrolled: 1-line block ×3, first 2 shown]
	s_swappc_b64 s[30:31], s[6:7]
	s_or_saveexec_b64 s[100:101], -1
	buffer_load_dword v43, off, s[0:3], s33 offset:16 ; 4-byte Folded Reload
	s_mov_b64 exec, s[100:101]
	s_waitcnt vmcnt(0)
	v_readlane_b32 s8, v43, 4
	v_readlane_b32 s9, v43, 5
	;; [unrolled: 1-line block ×3, first 2 shown]
	s_branch .LBB7_2
.LBB7_8:
	buffer_load_dword v62, off, s[0:3], s33 ; 4-byte Folded Reload
	buffer_load_dword v42, off, s[0:3], s33 offset:4 ; 4-byte Folded Reload
	buffer_load_dword v41, off, s[0:3], s33 offset:8 ; 4-byte Folded Reload
	;; [unrolled: 1-line block ×3, first 2 shown]
	v_readlane_b32 s30, v44, 34
	v_readlane_b32 s31, v44, 35
	;; [unrolled: 1-line block ×36, first 2 shown]
	s_mov_b32 s32, s33
	v_readlane_b32 s4, v44, 38
	v_readlane_b32 s100, v44, 36
	;; [unrolled: 1-line block ×3, first 2 shown]
	s_or_saveexec_b64 s[6:7], -1
	buffer_load_dword v43, off, s[0:3], s33 offset:20 ; 4-byte Folded Reload
	buffer_load_dword v44, off, s[0:3], s33 offset:24 ; 4-byte Folded Reload
	s_mov_b64 exec, s[6:7]
	s_mov_b32 s33, s4
	s_waitcnt vmcnt(0)
	s_setpc_b64 s[30:31]
.Lfunc_end7:
	.size	_Z51ncclDevFunc_AllReduce_RING_SIMPLE_Prod_f8e5m2_0_0_4v, .Lfunc_end7-_Z51ncclDevFunc_AllReduce_RING_SIMPLE_Prod_f8e5m2_0_0_4v
                                        ; -- End function
	.set .L_Z51ncclDevFunc_AllReduce_RING_SIMPLE_Prod_f8e5m2_0_0_4v.num_vgpr, max(63, .L_ZN12_GLOBAL__N_17runRingI14__hip_fp8_e5m28FuncProdIS1_E11ProtoSimpleILi2ELi2ELi0ELi4ELi0ELi0EELi0ELi0ELi4ELi0EEEviiP15ncclDevWorkColl.num_vgpr)
	.set .L_Z51ncclDevFunc_AllReduce_RING_SIMPLE_Prod_f8e5m2_0_0_4v.num_agpr, max(0, .L_ZN12_GLOBAL__N_17runRingI14__hip_fp8_e5m28FuncProdIS1_E11ProtoSimpleILi2ELi2ELi0ELi4ELi0ELi0EELi0ELi0ELi4ELi0EEEviiP15ncclDevWorkColl.num_agpr)
	.set .L_Z51ncclDevFunc_AllReduce_RING_SIMPLE_Prod_f8e5m2_0_0_4v.numbered_sgpr, max(102, .L_ZN12_GLOBAL__N_17runRingI14__hip_fp8_e5m28FuncProdIS1_E11ProtoSimpleILi2ELi2ELi0ELi4ELi0ELi0EELi0ELi0ELi4ELi0EEEviiP15ncclDevWorkColl.numbered_sgpr)
	.set .L_Z51ncclDevFunc_AllReduce_RING_SIMPLE_Prod_f8e5m2_0_0_4v.num_named_barrier, max(0, .L_ZN12_GLOBAL__N_17runRingI14__hip_fp8_e5m28FuncProdIS1_E11ProtoSimpleILi2ELi2ELi0ELi4ELi0ELi0EELi0ELi0ELi4ELi0EEEviiP15ncclDevWorkColl.num_named_barrier)
	.set .L_Z51ncclDevFunc_AllReduce_RING_SIMPLE_Prod_f8e5m2_0_0_4v.private_seg_size, 32+max(.L_ZN12_GLOBAL__N_17runRingI14__hip_fp8_e5m28FuncProdIS1_E11ProtoSimpleILi2ELi2ELi0ELi4ELi0ELi0EELi0ELi0ELi4ELi0EEEviiP15ncclDevWorkColl.private_seg_size)
	.set .L_Z51ncclDevFunc_AllReduce_RING_SIMPLE_Prod_f8e5m2_0_0_4v.uses_vcc, or(1, .L_ZN12_GLOBAL__N_17runRingI14__hip_fp8_e5m28FuncProdIS1_E11ProtoSimpleILi2ELi2ELi0ELi4ELi0ELi0EELi0ELi0ELi4ELi0EEEviiP15ncclDevWorkColl.uses_vcc)
	.set .L_Z51ncclDevFunc_AllReduce_RING_SIMPLE_Prod_f8e5m2_0_0_4v.uses_flat_scratch, or(0, .L_ZN12_GLOBAL__N_17runRingI14__hip_fp8_e5m28FuncProdIS1_E11ProtoSimpleILi2ELi2ELi0ELi4ELi0ELi0EELi0ELi0ELi4ELi0EEEviiP15ncclDevWorkColl.uses_flat_scratch)
	.set .L_Z51ncclDevFunc_AllReduce_RING_SIMPLE_Prod_f8e5m2_0_0_4v.has_dyn_sized_stack, or(0, .L_ZN12_GLOBAL__N_17runRingI14__hip_fp8_e5m28FuncProdIS1_E11ProtoSimpleILi2ELi2ELi0ELi4ELi0ELi0EELi0ELi0ELi4ELi0EEEviiP15ncclDevWorkColl.has_dyn_sized_stack)
	.set .L_Z51ncclDevFunc_AllReduce_RING_SIMPLE_Prod_f8e5m2_0_0_4v.has_recursion, or(1, .L_ZN12_GLOBAL__N_17runRingI14__hip_fp8_e5m28FuncProdIS1_E11ProtoSimpleILi2ELi2ELi0ELi4ELi0ELi0EELi0ELi0ELi4ELi0EEEviiP15ncclDevWorkColl.has_recursion)
	.set .L_Z51ncclDevFunc_AllReduce_RING_SIMPLE_Prod_f8e5m2_0_0_4v.has_indirect_call, or(0, .L_ZN12_GLOBAL__N_17runRingI14__hip_fp8_e5m28FuncProdIS1_E11ProtoSimpleILi2ELi2ELi0ELi4ELi0ELi0EELi0ELi0ELi4ELi0EEEviiP15ncclDevWorkColl.has_indirect_call)
	.section	.AMDGPU.csdata,"",@progbits
; Function info:
; codeLenInByte = 1124
; TotalNumSgprs: 106
; NumVgprs: 64
; ScratchSize: 704
; MemoryBound: 0
	.section	.AMDGPU.gpr_maximums,"",@progbits
	.set amdgpu.max_num_vgpr, 64
	.set amdgpu.max_num_agpr, 0
	.set amdgpu.max_num_sgpr, 102
	.section	.AMDGPU.csdata,"",@progbits
	.type	__const.__assert_fail.fmt,@object ; @__const.__assert_fail.fmt
	.section	.rodata.str1.16,"aMS",@progbits,1
	.p2align	4, 0x0
__const.__assert_fail.fmt:
	.asciz	"%s:%u: %s: Device-side assertion `%s' failed.\n"
	.size	__const.__assert_fail.fmt, 47

	.type	.str.3,@object                  ; @.str.3
	.section	.rodata.str1.1,"aMS",@progbits,1
.str.3:
	.asciz	"2*(nrecv+nsend) <= nthreads"
	.size	.str.3, 28

	.type	.str.4,@object                  ; @.str.4
.str.4:
	.asciz	"/root/src/amdgpu-assembly/repos/ROCm__rccl/hipify/src/device/prims_simple.h"
	.size	.str.4, 76

	.type	__PRETTY_FUNCTION__._ZN10PrimitivesI14__hip_fp8_e5m28FuncProdIS0_E12FanSymmetricILi1EELi0E11ProtoSimpleILi2ELi2ELi0ELi1ELi0ELi0EELi0ELb0ELi0ELi0ELi0EEC2EiiPKiS9_PKvPvmhhhP15ncclDevWorkCollP14ncclDevWorkP2pii,@object ; @__PRETTY_FUNCTION__._ZN10PrimitivesI14__hip_fp8_e5m28FuncProdIS0_E12FanSymmetricILi1EELi0E11ProtoSimpleILi2ELi2ELi0ELi1ELi0ELi0EELi0ELb0ELi0ELi0ELi0EEC2EiiPKiS9_PKvPvmhhhP15ncclDevWorkCollP14ncclDevWorkP2pii
__PRETTY_FUNCTION__._ZN10PrimitivesI14__hip_fp8_e5m28FuncProdIS0_E12FanSymmetricILi1EELi0E11ProtoSimpleILi2ELi2ELi0ELi1ELi0ELi0EELi0ELb0ELi0ELi0ELi0EEC2EiiPKiS9_PKvPvmhhhP15ncclDevWorkCollP14ncclDevWorkP2pii:
	.asciz	"Primitives<__hip_fp8_e5m2, FuncProd<__hip_fp8_e5m2>, FanSymmetric<1>, 0, ProtoSimple<2, 2, 0, 1>, 0>::Primitives(int, int, const int *, const int *, const void *, void *, uint64_t, uint8_t, uint8_t, uint8_t, struct ncclDevWorkColl *, struct ncclDevWorkP2p *, int, int) [T = __hip_fp8_e5m2, RedOp = FuncProd<__hip_fp8_e5m2>, Fan = FanSymmetric<1>, Direct = 0, Proto = ProtoSimple<2, 2, 0, 1>, P2p = 0, isNetOffload = false, Metadata = 0, Pipeline = 0, useAcc = 0]"
	.size	__PRETTY_FUNCTION__._ZN10PrimitivesI14__hip_fp8_e5m28FuncProdIS0_E12FanSymmetricILi1EELi0E11ProtoSimpleILi2ELi2ELi0ELi1ELi0ELi0EELi0ELb0ELi0ELi0ELi0EEC2EiiPKiS9_PKvPvmhhhP15ncclDevWorkCollP14ncclDevWorkP2pii, 463

	.type	__PRETTY_FUNCTION__._ZN10PrimitivesI14__hip_fp8_e5m28FuncProdIS0_E12FanSymmetricILi1EELi0E11ProtoSimpleILi2ELi2ELi0ELi2ELi0ELi0EELi0ELb0ELi0ELi0ELi0EEC2EiiPKiS9_PKvPvmhhhP15ncclDevWorkCollP14ncclDevWorkP2pii,@object ; @__PRETTY_FUNCTION__._ZN10PrimitivesI14__hip_fp8_e5m28FuncProdIS0_E12FanSymmetricILi1EELi0E11ProtoSimpleILi2ELi2ELi0ELi2ELi0ELi0EELi0ELb0ELi0ELi0ELi0EEC2EiiPKiS9_PKvPvmhhhP15ncclDevWorkCollP14ncclDevWorkP2pii
__PRETTY_FUNCTION__._ZN10PrimitivesI14__hip_fp8_e5m28FuncProdIS0_E12FanSymmetricILi1EELi0E11ProtoSimpleILi2ELi2ELi0ELi2ELi0ELi0EELi0ELb0ELi0ELi0ELi0EEC2EiiPKiS9_PKvPvmhhhP15ncclDevWorkCollP14ncclDevWorkP2pii:
	.asciz	"Primitives<__hip_fp8_e5m2, FuncProd<__hip_fp8_e5m2>, FanSymmetric<1>, 0, ProtoSimple<2, 2, 0, 2>, 0>::Primitives(int, int, const int *, const int *, const void *, void *, uint64_t, uint8_t, uint8_t, uint8_t, struct ncclDevWorkColl *, struct ncclDevWorkP2p *, int, int) [T = __hip_fp8_e5m2, RedOp = FuncProd<__hip_fp8_e5m2>, Fan = FanSymmetric<1>, Direct = 0, Proto = ProtoSimple<2, 2, 0, 2>, P2p = 0, isNetOffload = false, Metadata = 0, Pipeline = 0, useAcc = 0]"
	.size	__PRETTY_FUNCTION__._ZN10PrimitivesI14__hip_fp8_e5m28FuncProdIS0_E12FanSymmetricILi1EELi0E11ProtoSimpleILi2ELi2ELi0ELi2ELi0ELi0EELi0ELb0ELi0ELi0ELi0EEC2EiiPKiS9_PKvPvmhhhP15ncclDevWorkCollP14ncclDevWorkP2pii, 463

	.type	__PRETTY_FUNCTION__._ZN10PrimitivesI14__hip_fp8_e5m28FuncProdIS0_E12FanSymmetricILi1EELi0E11ProtoSimpleILi2ELi2ELi0ELi4ELi0ELi0EELi0ELb0ELi0ELi0ELi0EEC2EiiPKiS9_PKvPvmhhhP15ncclDevWorkCollP14ncclDevWorkP2pii,@object ; @__PRETTY_FUNCTION__._ZN10PrimitivesI14__hip_fp8_e5m28FuncProdIS0_E12FanSymmetricILi1EELi0E11ProtoSimpleILi2ELi2ELi0ELi4ELi0ELi0EELi0ELb0ELi0ELi0ELi0EEC2EiiPKiS9_PKvPvmhhhP15ncclDevWorkCollP14ncclDevWorkP2pii
__PRETTY_FUNCTION__._ZN10PrimitivesI14__hip_fp8_e5m28FuncProdIS0_E12FanSymmetricILi1EELi0E11ProtoSimpleILi2ELi2ELi0ELi4ELi0ELi0EELi0ELb0ELi0ELi0ELi0EEC2EiiPKiS9_PKvPvmhhhP15ncclDevWorkCollP14ncclDevWorkP2pii:
	.asciz	"Primitives<__hip_fp8_e5m2, FuncProd<__hip_fp8_e5m2>, FanSymmetric<1>, 0, ProtoSimple<2, 2, 0, 4>, 0>::Primitives(int, int, const int *, const int *, const void *, void *, uint64_t, uint8_t, uint8_t, uint8_t, struct ncclDevWorkColl *, struct ncclDevWorkP2p *, int, int) [T = __hip_fp8_e5m2, RedOp = FuncProd<__hip_fp8_e5m2>, Fan = FanSymmetric<1>, Direct = 0, Proto = ProtoSimple<2, 2, 0, 4>, P2p = 0, isNetOffload = false, Metadata = 0, Pipeline = 0, useAcc = 0]"
	.size	__PRETTY_FUNCTION__._ZN10PrimitivesI14__hip_fp8_e5m28FuncProdIS0_E12FanSymmetricILi1EELi0E11ProtoSimpleILi2ELi2ELi0ELi4ELi0ELi0EELi0ELb0ELi0ELi0ELi0EEC2EiiPKiS9_PKvPvmhhhP15ncclDevWorkCollP14ncclDevWorkP2pii, 463

	.type	__hip_cuid_de0d9168b9da08d9,@object ; @__hip_cuid_de0d9168b9da08d9
	.section	.bss,"aw",@nobits
	.globl	__hip_cuid_de0d9168b9da08d9
__hip_cuid_de0d9168b9da08d9:
	.byte	0                               ; 0x0
	.size	__hip_cuid_de0d9168b9da08d9, 1

	.ident	"AMD clang version 22.0.0git (https://github.com/RadeonOpenCompute/llvm-project roc-7.2.4 26084 f58b06dce1f9c15707c5f808fd002e18c2accf7e)"
	.section	".note.GNU-stack","",@progbits
	.addrsig
	.addrsig_sym _Z51ncclDevFunc_AllReduce_RING_SIMPLE_Prod_f8e5m2_0_0_1v
	.addrsig_sym _Z51ncclDevFunc_AllReduce_RING_SIMPLE_Prod_f8e5m2_0_0_2v
	.addrsig_sym _Z51ncclDevFunc_AllReduce_RING_SIMPLE_Prod_f8e5m2_0_0_4v
	.addrsig_sym ncclShmem
	.addrsig_sym __hip_cuid_de0d9168b9da08d9
	.amdgpu_metadata
---
amdhsa.kernels:  []
amdhsa.target:   amdgcn-amd-amdhsa--gfx906
amdhsa.version:
  - 1
  - 2
...

	.end_amdgpu_metadata
